;; amdgpu-corpus repo=ROCm/rocSPARSE kind=compiled arch=gfx942 opt=O3
	.text
	.amdgcn_target "amdgcn-amd-amdhsa--gfx942"
	.amdhsa_code_object_version 6
	.section	.text._ZN9rocsparseL35csr2bsr_block_dim_equals_one_kernelILj256EiiiEEvT2_S1_S1_S1_21rocsparse_index_base_PKT0_PKT1_PKS1_S2_PS3_PS6_PS1_,"axG",@progbits,_ZN9rocsparseL35csr2bsr_block_dim_equals_one_kernelILj256EiiiEEvT2_S1_S1_S1_21rocsparse_index_base_PKT0_PKT1_PKS1_S2_PS3_PS6_PS1_,comdat
	.globl	_ZN9rocsparseL35csr2bsr_block_dim_equals_one_kernelILj256EiiiEEvT2_S1_S1_S1_21rocsparse_index_base_PKT0_PKT1_PKS1_S2_PS3_PS6_PS1_ ; -- Begin function _ZN9rocsparseL35csr2bsr_block_dim_equals_one_kernelILj256EiiiEEvT2_S1_S1_S1_21rocsparse_index_base_PKT0_PKT1_PKS1_S2_PS3_PS6_PS1_
	.p2align	8
	.type	_ZN9rocsparseL35csr2bsr_block_dim_equals_one_kernelILj256EiiiEEvT2_S1_S1_S1_21rocsparse_index_base_PKT0_PKT1_PKS1_S2_PS3_PS6_PS1_,@function
_ZN9rocsparseL35csr2bsr_block_dim_equals_one_kernelILj256EiiiEEvT2_S1_S1_S1_21rocsparse_index_base_PKT0_PKT1_PKS1_S2_PS3_PS6_PS1_: ; @_ZN9rocsparseL35csr2bsr_block_dim_equals_one_kernelILj256EiiiEEvT2_S1_S1_S1_21rocsparse_index_base_PKT0_PKT1_PKS1_S2_PS3_PS6_PS1_
; %bb.0:
	s_load_dword s8, s[0:1], 0x0
	s_load_dwordx4 s[4:7], s[0:1], 0x18
	v_lshl_or_b32 v0, s2, 8, v0
	s_waitcnt lgkmcnt(0)
	s_ashr_i32 s9, s8, 31
	s_lshl_b64 s[8:9], s[8:9], 2
	s_add_u32 s8, s6, s8
	s_addc_u32 s9, s7, s9
	s_load_dword s3, s[8:9], 0x0
	s_load_dword s10, s[6:7], 0x0
	s_waitcnt lgkmcnt(0)
	s_sub_i32 s10, s3, s10
	v_cmp_gt_i32_e32 vcc, s10, v0
	s_and_saveexec_b64 s[2:3], vcc
	s_cbranch_execz .LBB0_3
; %bb.1:
	s_load_dword s11, s[0:1], 0x30
	s_load_dwordx2 s[2:3], s[0:1], 0x38
	s_load_dword s12, s[0:1], 0x10
	s_load_dword s13, s[0:1], 0x50
	s_load_dwordx2 s[6:7], s[0:1], 0x28
	s_load_dwordx2 s[8:9], s[0:1], 0x48
	s_mov_b64 s[0:1], 0
	s_waitcnt lgkmcnt(0)
	s_sub_i32 s11, s11, s12
	s_lshl_b32 s12, s13, 8
.LBB0_2:                                ; =>This Inner Loop Header: Depth=1
	v_ashrrev_i32_e32 v1, 31, v0
	v_lshlrev_b64 v[2:3], 2, v[0:1]
	v_lshl_add_u64 v[4:5], s[6:7], 0, v[2:3]
	global_load_dword v1, v[4:5], off
	v_lshl_add_u64 v[4:5], s[8:9], 0, v[2:3]
	v_add_u32_e32 v0, s12, v0
	v_cmp_le_i32_e32 vcc, s10, v0
	s_or_b64 s[0:1], vcc, s[0:1]
	s_waitcnt vmcnt(0)
	v_add_u32_e32 v1, s11, v1
	global_store_dword v[4:5], v1, off
	v_lshl_add_u64 v[4:5], s[4:5], 0, v[2:3]
	global_load_dword v1, v[4:5], off
	v_lshl_add_u64 v[2:3], s[2:3], 0, v[2:3]
	s_waitcnt vmcnt(0)
	global_store_dword v[2:3], v1, off
	s_andn2_b64 exec, exec, s[0:1]
	s_cbranch_execnz .LBB0_2
.LBB0_3:
	s_endpgm
	.section	.rodata,"a",@progbits
	.p2align	6, 0x0
	.amdhsa_kernel _ZN9rocsparseL35csr2bsr_block_dim_equals_one_kernelILj256EiiiEEvT2_S1_S1_S1_21rocsparse_index_base_PKT0_PKT1_PKS1_S2_PS3_PS6_PS1_
		.amdhsa_group_segment_fixed_size 0
		.amdhsa_private_segment_fixed_size 0
		.amdhsa_kernarg_size 336
		.amdhsa_user_sgpr_count 2
		.amdhsa_user_sgpr_dispatch_ptr 0
		.amdhsa_user_sgpr_queue_ptr 0
		.amdhsa_user_sgpr_kernarg_segment_ptr 1
		.amdhsa_user_sgpr_dispatch_id 0
		.amdhsa_user_sgpr_kernarg_preload_length 0
		.amdhsa_user_sgpr_kernarg_preload_offset 0
		.amdhsa_user_sgpr_private_segment_size 0
		.amdhsa_uses_dynamic_stack 0
		.amdhsa_enable_private_segment 0
		.amdhsa_system_sgpr_workgroup_id_x 1
		.amdhsa_system_sgpr_workgroup_id_y 0
		.amdhsa_system_sgpr_workgroup_id_z 0
		.amdhsa_system_sgpr_workgroup_info 0
		.amdhsa_system_vgpr_workitem_id 0
		.amdhsa_next_free_vgpr 6
		.amdhsa_next_free_sgpr 14
		.amdhsa_accum_offset 8
		.amdhsa_reserve_vcc 1
		.amdhsa_float_round_mode_32 0
		.amdhsa_float_round_mode_16_64 0
		.amdhsa_float_denorm_mode_32 3
		.amdhsa_float_denorm_mode_16_64 3
		.amdhsa_dx10_clamp 1
		.amdhsa_ieee_mode 1
		.amdhsa_fp16_overflow 0
		.amdhsa_tg_split 0
		.amdhsa_exception_fp_ieee_invalid_op 0
		.amdhsa_exception_fp_denorm_src 0
		.amdhsa_exception_fp_ieee_div_zero 0
		.amdhsa_exception_fp_ieee_overflow 0
		.amdhsa_exception_fp_ieee_underflow 0
		.amdhsa_exception_fp_ieee_inexact 0
		.amdhsa_exception_int_div_zero 0
	.end_amdhsa_kernel
	.section	.text._ZN9rocsparseL35csr2bsr_block_dim_equals_one_kernelILj256EiiiEEvT2_S1_S1_S1_21rocsparse_index_base_PKT0_PKT1_PKS1_S2_PS3_PS6_PS1_,"axG",@progbits,_ZN9rocsparseL35csr2bsr_block_dim_equals_one_kernelILj256EiiiEEvT2_S1_S1_S1_21rocsparse_index_base_PKT0_PKT1_PKS1_S2_PS3_PS6_PS1_,comdat
.Lfunc_end0:
	.size	_ZN9rocsparseL35csr2bsr_block_dim_equals_one_kernelILj256EiiiEEvT2_S1_S1_S1_21rocsparse_index_base_PKT0_PKT1_PKS1_S2_PS3_PS6_PS1_, .Lfunc_end0-_ZN9rocsparseL35csr2bsr_block_dim_equals_one_kernelILj256EiiiEEvT2_S1_S1_S1_21rocsparse_index_base_PKT0_PKT1_PKS1_S2_PS3_PS6_PS1_
                                        ; -- End function
	.section	.AMDGPU.csdata,"",@progbits
; Kernel info:
; codeLenInByte = 256
; NumSgprs: 20
; NumVgprs: 6
; NumAgprs: 0
; TotalNumVgprs: 6
; ScratchSize: 0
; MemoryBound: 0
; FloatMode: 240
; IeeeMode: 1
; LDSByteSize: 0 bytes/workgroup (compile time only)
; SGPRBlocks: 2
; VGPRBlocks: 0
; NumSGPRsForWavesPerEU: 20
; NumVGPRsForWavesPerEU: 6
; AccumOffset: 8
; Occupancy: 8
; WaveLimiterHint : 0
; COMPUTE_PGM_RSRC2:SCRATCH_EN: 0
; COMPUTE_PGM_RSRC2:USER_SGPR: 2
; COMPUTE_PGM_RSRC2:TRAP_HANDLER: 0
; COMPUTE_PGM_RSRC2:TGID_X_EN: 1
; COMPUTE_PGM_RSRC2:TGID_Y_EN: 0
; COMPUTE_PGM_RSRC2:TGID_Z_EN: 0
; COMPUTE_PGM_RSRC2:TIDIG_COMP_CNT: 0
; COMPUTE_PGM_RSRC3_GFX90A:ACCUM_OFFSET: 1
; COMPUTE_PGM_RSRC3_GFX90A:TG_SPLIT: 0
	.section	.text._ZN9rocsparseL42csr2bsr_wavefront_per_row_multipass_kernelILj256ELj16ELj4EiiiEEv20rocsparse_direction_T4_S2_S2_S2_S2_21rocsparse_index_base_PKT2_PKT3_PKS2_S3_PS4_PS7_PS2_,"axG",@progbits,_ZN9rocsparseL42csr2bsr_wavefront_per_row_multipass_kernelILj256ELj16ELj4EiiiEEv20rocsparse_direction_T4_S2_S2_S2_S2_21rocsparse_index_base_PKT2_PKT3_PKS2_S3_PS4_PS7_PS2_,comdat
	.globl	_ZN9rocsparseL42csr2bsr_wavefront_per_row_multipass_kernelILj256ELj16ELj4EiiiEEv20rocsparse_direction_T4_S2_S2_S2_S2_21rocsparse_index_base_PKT2_PKT3_PKS2_S3_PS4_PS7_PS2_ ; -- Begin function _ZN9rocsparseL42csr2bsr_wavefront_per_row_multipass_kernelILj256ELj16ELj4EiiiEEv20rocsparse_direction_T4_S2_S2_S2_S2_21rocsparse_index_base_PKT2_PKT3_PKS2_S3_PS4_PS7_PS2_
	.p2align	8
	.type	_ZN9rocsparseL42csr2bsr_wavefront_per_row_multipass_kernelILj256ELj16ELj4EiiiEEv20rocsparse_direction_T4_S2_S2_S2_S2_21rocsparse_index_base_PKT2_PKT3_PKS2_S3_PS4_PS7_PS2_,@function
_ZN9rocsparseL42csr2bsr_wavefront_per_row_multipass_kernelILj256ELj16ELj4EiiiEEv20rocsparse_direction_T4_S2_S2_S2_S2_21rocsparse_index_base_PKT2_PKT3_PKS2_S3_PS4_PS7_PS2_: ; @_ZN9rocsparseL42csr2bsr_wavefront_per_row_multipass_kernelILj256ELj16ELj4EiiiEEv20rocsparse_direction_T4_S2_S2_S2_S2_21rocsparse_index_base_PKT2_PKT3_PKS2_S3_PS4_PS7_PS2_
; %bb.0:
	s_load_dwordx2 s[14:15], s[0:1], 0x0
	s_load_dwordx4 s[4:7], s[0:1], 0xc
	s_load_dwordx2 s[8:9], s[0:1], 0x28
	v_lshrrev_b32_e32 v8, 4, v0
	v_bfe_u32 v4, v0, 2, 2
	v_lshl_or_b32 v6, s2, 4, v8
	s_waitcnt lgkmcnt(0)
	v_mad_u64_u32 v[2:3], s[2:3], v6, s6, v[4:5]
	v_cmp_gt_i32_e64 s[2:3], s15, v2
	v_cmp_gt_i32_e32 vcc, s6, v4
	s_and_b64 s[2:3], vcc, s[2:3]
	v_mov_b32_e32 v9, 0
	v_mov_b32_e32 v17, 0
	s_and_saveexec_b64 s[10:11], s[2:3]
	s_cbranch_execz .LBB1_2
; %bb.1:
	v_ashrrev_i32_e32 v3, 31, v2
	v_lshl_add_u64 v[10:11], v[2:3], 2, s[8:9]
	global_load_dword v1, v[10:11], off
	s_waitcnt vmcnt(0)
	v_subrev_u32_e32 v17, s7, v1
.LBB1_2:
	s_or_b64 exec, exec, s[10:11]
	s_and_saveexec_b64 s[10:11], s[2:3]
	s_cbranch_execz .LBB1_4
; %bb.3:
	v_ashrrev_i32_e32 v3, 31, v2
	v_lshl_add_u64 v[2:3], v[2:3], 2, s[8:9]
	global_load_dword v1, v[2:3], off offset:4
	s_waitcnt vmcnt(0)
	v_subrev_u32_e32 v9, s7, v1
.LBB1_4:
	s_or_b64 exec, exec, s[10:11]
	s_load_dword s20, s[0:1], 0x38
	v_cmp_gt_i32_e64 s[2:3], s4, v6
	v_mov_b32_e32 v2, 0
	s_and_saveexec_b64 s[8:9], s[2:3]
	s_cbranch_execz .LBB1_6
; %bb.5:
	s_load_dwordx2 s[2:3], s[0:1], 0x48
	v_ashrrev_i32_e32 v7, 31, v6
	s_waitcnt lgkmcnt(0)
	v_lshl_add_u64 v[2:3], v[6:7], 2, s[2:3]
	global_load_dword v1, v[2:3], off
	s_waitcnt vmcnt(0)
	v_subrev_u32_e32 v2, s20, v1
.LBB1_6:
	s_or_b64 exec, exec, s[8:9]
	s_cmp_lt_i32 s5, 1
	s_cbranch_scc1 .LBB1_21
; %bb.7:
	s_load_dwordx2 s[2:3], s[0:1], 0x20
	s_load_dwordx2 s[8:9], s[0:1], 0x50
	;; [unrolled: 1-line block ×4, first 2 shown]
	v_lshlrev_b32_e32 v6, 2, v4
	s_movk_i32 s0, 0xf0
	v_and_b32_e32 v10, 3, v0
	v_and_or_b32 v11, v0, s0, v6
	v_or_b32_e32 v0, v11, v10
	v_cmp_gt_u32_e64 s[0:1], s6, v10
	v_lshlrev_b32_e32 v12, 2, v0
	v_mbcnt_lo_u32_b32 v0, -1, 0
	s_and_b64 s[12:13], vcc, s[0:1]
	v_mbcnt_hi_u32_b32 v3, -1, v0
	s_cmp_eq_u32 s14, 0
	v_mul_lo_u32 v0, v10, s6
	v_mov_b32_e32 v1, 0
	s_waitcnt lgkmcnt(0)
	v_lshl_add_u64 v[14:15], v[0:1], 2, s[16:17]
	v_mov_b32_e32 v7, v1
	s_cselect_b64 vcc, -1, 0
	s_abs_i32 s4, s6
	v_lshl_add_u64 v[6:7], v[14:15], 0, v[6:7]
	v_cvt_f32_u32_e32 v14, s4
	v_mul_lo_u32 v0, v4, s6
	v_lshl_add_u64 v[4:5], v[0:1], 2, s[16:17]
	v_lshlrev_b32_e32 v0, 2, v10
	v_rcp_iflag_f32_e32 v15, v14
	v_lshlrev_b32_e32 v3, 2, v3
	v_lshl_add_u64 v[4:5], v[4:5], 0, v[0:1]
	v_or_b32_e32 v0, 12, v3
	v_or_b32_e32 v14, 60, v3
	v_mul_f32_e32 v3, 0x4f7ffffe, v15
	v_cvt_u32_f32_e32 v3, v3
	s_sub_i32 s0, 0, s4
	v_cndmask_b32_e32 v4, v6, v4, vcc
	v_mov_b32_e32 v13, 0
	v_mul_lo_u32 v6, s0, v3
	v_mul_hi_u32 v6, v3, v6
	s_mul_hi_u32 s21, s6, s6
	s_mul_i32 s22, s6, s6
	v_cndmask_b32_e32 v5, v7, v5, vcc
	s_ashr_i32 s23, s6, 31
	v_add_u32_e32 v15, v3, v6
	s_mov_b64 s[14:15], 0
	v_mov_b32_e32 v16, 1
	v_mov_b32_e32 v3, 0
	s_branch .LBB1_10
.LBB1_8:                                ;   in Loop: Header=BB1_10 Depth=1
	s_or_b64 exec, exec, s[16:17]
	v_mov_b32_e32 v6, 1
.LBB1_9:                                ;   in Loop: Header=BB1_10 Depth=1
	s_or_b64 exec, exec, s[0:1]
	v_mov_b32_dpp v3, v18 row_shr:1 row_mask:0xf bank_mask:0xf
	v_min_i32_e32 v3, v3, v18
	v_add_u32_e32 v2, v6, v2
	s_waitcnt lgkmcnt(0)
	v_mov_b32_dpp v7, v3 row_shr:2 row_mask:0xf bank_mask:0xf
	v_min_i32_e32 v3, v7, v3
	s_nop 1
	v_mov_b32_dpp v7, v3 row_shr:4 row_mask:0xf bank_mask:0xe
	v_min_i32_e32 v3, v7, v3
	s_nop 1
	v_mov_b32_dpp v7, v3 row_shr:8 row_mask:0xf bank_mask:0xc
	v_min_i32_e32 v3, v7, v3
	ds_bpermute_b32 v3, v14, v3
	s_waitcnt lgkmcnt(0)
	v_cmp_le_i32_e32 vcc, s5, v3
	s_or_b64 s[14:15], vcc, s[14:15]
	s_andn2_b64 exec, exec, s[14:15]
	s_cbranch_execz .LBB1_21
.LBB1_10:                               ; =>This Loop Header: Depth=1
                                        ;     Child Loop BB1_13 Depth 2
	v_add_u32_e32 v6, v17, v10
	v_cmp_lt_i32_e32 vcc, v6, v9
	v_mov_b32_e32 v18, s5
	v_mov_b32_e32 v19, v9
	ds_write_b8 v8, v13 offset:1024
	ds_write_b32 v12, v1
	s_waitcnt lgkmcnt(0)
	s_and_saveexec_b64 s[16:17], vcc
	s_cbranch_execz .LBB1_18
; %bb.11:                               ;   in Loop: Header=BB1_10 Depth=1
	v_mul_lo_u32 v17, v3, s6
	s_mov_b64 s[18:19], 0
	v_mov_b32_e32 v18, s5
	v_mov_b32_e32 v19, v9
	s_branch .LBB1_13
.LBB1_12:                               ;   in Loop: Header=BB1_13 Depth=2
	s_or_b64 exec, exec, s[0:1]
	v_add_u32_e32 v6, 4, v6
	v_cmp_ge_i32_e64 s[0:1], v6, v9
	s_xor_b64 s[24:25], vcc, -1
	s_or_b64 s[0:1], s[24:25], s[0:1]
	s_and_b64 s[0:1], exec, s[0:1]
	s_or_b64 s[18:19], s[0:1], s[18:19]
	s_andn2_b64 exec, exec, s[18:19]
	s_cbranch_execz .LBB1_17
.LBB1_13:                               ;   Parent Loop BB1_10 Depth=1
                                        ; =>  This Inner Loop Header: Depth=2
	v_ashrrev_i32_e32 v7, 31, v6
	v_lshl_add_u64 v[20:21], v[6:7], 2, s[10:11]
	global_load_dword v20, v[20:21], off
	s_waitcnt vmcnt(0)
	v_subrev_u32_e32 v20, s7, v20
	v_sub_u32_e32 v22, 0, v20
	v_max_i32_e32 v22, v20, v22
	v_mul_hi_u32 v23, v22, v15
	v_mul_lo_u32 v24, v23, s4
	v_sub_u32_e32 v22, v22, v24
	v_add_u32_e32 v25, 1, v23
	v_cmp_le_u32_e32 vcc, s4, v22
	v_subrev_u32_e32 v24, s4, v22
	v_ashrrev_i32_e32 v21, 31, v20
	v_cndmask_b32_e32 v23, v23, v25, vcc
	v_cndmask_b32_e32 v22, v22, v24, vcc
	v_add_u32_e32 v24, 1, v23
	v_cmp_le_u32_e32 vcc, s4, v22
	v_xor_b32_e32 v21, s23, v21
	s_nop 0
	v_cndmask_b32_e32 v22, v23, v24, vcc
	v_xor_b32_e32 v22, v22, v21
	v_sub_u32_e32 v22, v22, v21
	v_cmp_eq_u32_e32 vcc, v22, v3
	v_cmp_ne_u32_e64 s[0:1], v22, v3
	v_mov_b32_e32 v21, v19
	s_and_saveexec_b64 s[24:25], s[0:1]
	s_xor_b64 s[0:1], exec, s[24:25]
; %bb.14:                               ;   in Loop: Header=BB1_13 Depth=2
	v_min_i32_e32 v18, v22, v18
                                        ; implicit-def: $vgpr20
                                        ; implicit-def: $vgpr21
; %bb.15:                               ;   in Loop: Header=BB1_13 Depth=2
	s_or_saveexec_b64 s[0:1], s[0:1]
	v_mov_b32_e32 v19, v6
	s_xor_b64 exec, exec, s[0:1]
	s_cbranch_execz .LBB1_12
; %bb.16:                               ;   in Loop: Header=BB1_13 Depth=2
	v_lshl_add_u64 v[22:23], v[6:7], 2, s[2:3]
	global_load_dword v7, v[22:23], off
	v_sub_u32_e32 v19, v20, v17
	v_add_lshl_u32 v19, v19, v11, 2
	ds_write_b8 v8, v16 offset:1024
	s_waitcnt vmcnt(0)
	ds_write_b32 v19, v7
	v_mov_b32_e32 v19, v21
	s_branch .LBB1_12
.LBB1_17:                               ;   in Loop: Header=BB1_10 Depth=1
	s_or_b64 exec, exec, s[18:19]
.LBB1_18:                               ;   in Loop: Header=BB1_10 Depth=1
	s_or_b64 exec, exec, s[16:17]
	v_mov_b32_dpp v6, v19 row_shr:1 row_mask:0xf bank_mask:0xf
	v_min_i32_e32 v6, v6, v19
	s_waitcnt lgkmcnt(0)
	ds_read_u8 v7, v8 offset:1024
	v_mov_b32_dpp v17, v6 row_shr:2 row_mask:0xf bank_mask:0xf
	v_min_i32_e32 v6, v17, v6
	ds_bpermute_b32 v17, v0, v6
	s_waitcnt lgkmcnt(1)
	v_and_b32_e32 v6, 1, v7
	v_cmp_eq_u32_e32 vcc, 1, v6
	v_mov_b32_e32 v6, 0
	s_and_saveexec_b64 s[0:1], vcc
	s_cbranch_execz .LBB1_9
; %bb.19:                               ;   in Loop: Header=BB1_10 Depth=1
	v_add_u32_e32 v19, s20, v3
	v_ashrrev_i32_e32 v3, 31, v2
	v_lshl_add_u64 v[6:7], v[2:3], 2, s[8:9]
	global_store_dword v[6:7], v19, off
	s_and_saveexec_b64 s[16:17], s[12:13]
	s_cbranch_execz .LBB1_8
; %bb.20:                               ;   in Loop: Header=BB1_10 Depth=1
	ds_read_b32 v19, v12
	v_mul_lo_u32 v20, s21, v2
	v_mul_lo_u32 v3, s22, v3
	v_mad_u64_u32 v[6:7], s[18:19], s22, v2, 0
	v_add3_u32 v7, v7, v3, v20
	v_lshl_add_u64 v[6:7], v[6:7], 2, v[4:5]
	s_waitcnt lgkmcnt(0)
	global_store_dword v[6:7], v19, off
	s_branch .LBB1_8
.LBB1_21:
	s_endpgm
	.section	.rodata,"a",@progbits
	.p2align	6, 0x0
	.amdhsa_kernel _ZN9rocsparseL42csr2bsr_wavefront_per_row_multipass_kernelILj256ELj16ELj4EiiiEEv20rocsparse_direction_T4_S2_S2_S2_S2_21rocsparse_index_base_PKT2_PKT3_PKS2_S3_PS4_PS7_PS2_
		.amdhsa_group_segment_fixed_size 1040
		.amdhsa_private_segment_fixed_size 0
		.amdhsa_kernarg_size 88
		.amdhsa_user_sgpr_count 2
		.amdhsa_user_sgpr_dispatch_ptr 0
		.amdhsa_user_sgpr_queue_ptr 0
		.amdhsa_user_sgpr_kernarg_segment_ptr 1
		.amdhsa_user_sgpr_dispatch_id 0
		.amdhsa_user_sgpr_kernarg_preload_length 0
		.amdhsa_user_sgpr_kernarg_preload_offset 0
		.amdhsa_user_sgpr_private_segment_size 0
		.amdhsa_uses_dynamic_stack 0
		.amdhsa_enable_private_segment 0
		.amdhsa_system_sgpr_workgroup_id_x 1
		.amdhsa_system_sgpr_workgroup_id_y 0
		.amdhsa_system_sgpr_workgroup_id_z 0
		.amdhsa_system_sgpr_workgroup_info 0
		.amdhsa_system_vgpr_workitem_id 0
		.amdhsa_next_free_vgpr 26
		.amdhsa_next_free_sgpr 26
		.amdhsa_accum_offset 28
		.amdhsa_reserve_vcc 1
		.amdhsa_float_round_mode_32 0
		.amdhsa_float_round_mode_16_64 0
		.amdhsa_float_denorm_mode_32 3
		.amdhsa_float_denorm_mode_16_64 3
		.amdhsa_dx10_clamp 1
		.amdhsa_ieee_mode 1
		.amdhsa_fp16_overflow 0
		.amdhsa_tg_split 0
		.amdhsa_exception_fp_ieee_invalid_op 0
		.amdhsa_exception_fp_denorm_src 0
		.amdhsa_exception_fp_ieee_div_zero 0
		.amdhsa_exception_fp_ieee_overflow 0
		.amdhsa_exception_fp_ieee_underflow 0
		.amdhsa_exception_fp_ieee_inexact 0
		.amdhsa_exception_int_div_zero 0
	.end_amdhsa_kernel
	.section	.text._ZN9rocsparseL42csr2bsr_wavefront_per_row_multipass_kernelILj256ELj16ELj4EiiiEEv20rocsparse_direction_T4_S2_S2_S2_S2_21rocsparse_index_base_PKT2_PKT3_PKS2_S3_PS4_PS7_PS2_,"axG",@progbits,_ZN9rocsparseL42csr2bsr_wavefront_per_row_multipass_kernelILj256ELj16ELj4EiiiEEv20rocsparse_direction_T4_S2_S2_S2_S2_21rocsparse_index_base_PKT2_PKT3_PKS2_S3_PS4_PS7_PS2_,comdat
.Lfunc_end1:
	.size	_ZN9rocsparseL42csr2bsr_wavefront_per_row_multipass_kernelILj256ELj16ELj4EiiiEEv20rocsparse_direction_T4_S2_S2_S2_S2_21rocsparse_index_base_PKT2_PKT3_PKS2_S3_PS4_PS7_PS2_, .Lfunc_end1-_ZN9rocsparseL42csr2bsr_wavefront_per_row_multipass_kernelILj256ELj16ELj4EiiiEEv20rocsparse_direction_T4_S2_S2_S2_S2_21rocsparse_index_base_PKT2_PKT3_PKS2_S3_PS4_PS7_PS2_
                                        ; -- End function
	.section	.AMDGPU.csdata,"",@progbits
; Kernel info:
; codeLenInByte = 1096
; NumSgprs: 32
; NumVgprs: 26
; NumAgprs: 0
; TotalNumVgprs: 26
; ScratchSize: 0
; MemoryBound: 0
; FloatMode: 240
; IeeeMode: 1
; LDSByteSize: 1040 bytes/workgroup (compile time only)
; SGPRBlocks: 3
; VGPRBlocks: 3
; NumSGPRsForWavesPerEU: 32
; NumVGPRsForWavesPerEU: 26
; AccumOffset: 28
; Occupancy: 8
; WaveLimiterHint : 0
; COMPUTE_PGM_RSRC2:SCRATCH_EN: 0
; COMPUTE_PGM_RSRC2:USER_SGPR: 2
; COMPUTE_PGM_RSRC2:TRAP_HANDLER: 0
; COMPUTE_PGM_RSRC2:TGID_X_EN: 1
; COMPUTE_PGM_RSRC2:TGID_Y_EN: 0
; COMPUTE_PGM_RSRC2:TGID_Z_EN: 0
; COMPUTE_PGM_RSRC2:TIDIG_COMP_CNT: 0
; COMPUTE_PGM_RSRC3_GFX90A:ACCUM_OFFSET: 6
; COMPUTE_PGM_RSRC3_GFX90A:TG_SPLIT: 0
	.section	.text._ZN9rocsparseL42csr2bsr_wavefront_per_row_multipass_kernelILj256ELj64ELj8EiiiEEv20rocsparse_direction_T4_S2_S2_S2_S2_21rocsparse_index_base_PKT2_PKT3_PKS2_S3_PS4_PS7_PS2_,"axG",@progbits,_ZN9rocsparseL42csr2bsr_wavefront_per_row_multipass_kernelILj256ELj64ELj8EiiiEEv20rocsparse_direction_T4_S2_S2_S2_S2_21rocsparse_index_base_PKT2_PKT3_PKS2_S3_PS4_PS7_PS2_,comdat
	.globl	_ZN9rocsparseL42csr2bsr_wavefront_per_row_multipass_kernelILj256ELj64ELj8EiiiEEv20rocsparse_direction_T4_S2_S2_S2_S2_21rocsparse_index_base_PKT2_PKT3_PKS2_S3_PS4_PS7_PS2_ ; -- Begin function _ZN9rocsparseL42csr2bsr_wavefront_per_row_multipass_kernelILj256ELj64ELj8EiiiEEv20rocsparse_direction_T4_S2_S2_S2_S2_21rocsparse_index_base_PKT2_PKT3_PKS2_S3_PS4_PS7_PS2_
	.p2align	8
	.type	_ZN9rocsparseL42csr2bsr_wavefront_per_row_multipass_kernelILj256ELj64ELj8EiiiEEv20rocsparse_direction_T4_S2_S2_S2_S2_21rocsparse_index_base_PKT2_PKT3_PKS2_S3_PS4_PS7_PS2_,@function
_ZN9rocsparseL42csr2bsr_wavefront_per_row_multipass_kernelILj256ELj64ELj8EiiiEEv20rocsparse_direction_T4_S2_S2_S2_S2_21rocsparse_index_base_PKT2_PKT3_PKS2_S3_PS4_PS7_PS2_: ; @_ZN9rocsparseL42csr2bsr_wavefront_per_row_multipass_kernelILj256ELj64ELj8EiiiEEv20rocsparse_direction_T4_S2_S2_S2_S2_21rocsparse_index_base_PKT2_PKT3_PKS2_S3_PS4_PS7_PS2_
; %bb.0:
	s_load_dwordx2 s[14:15], s[0:1], 0x0
	s_load_dwordx4 s[4:7], s[0:1], 0xc
	s_load_dwordx2 s[8:9], s[0:1], 0x28
	v_lshrrev_b32_e32 v8, 6, v0
	v_bfe_u32 v4, v0, 3, 3
	v_lshl_or_b32 v6, s2, 2, v8
	s_waitcnt lgkmcnt(0)
	v_mad_u64_u32 v[2:3], s[2:3], v6, s6, v[4:5]
	v_cmp_gt_i32_e64 s[2:3], s15, v2
	v_cmp_gt_i32_e32 vcc, s6, v4
	s_and_b64 s[2:3], vcc, s[2:3]
	v_mov_b32_e32 v9, 0
	v_mov_b32_e32 v17, 0
	s_and_saveexec_b64 s[10:11], s[2:3]
	s_cbranch_execz .LBB2_2
; %bb.1:
	v_ashrrev_i32_e32 v3, 31, v2
	v_lshl_add_u64 v[10:11], v[2:3], 2, s[8:9]
	global_load_dword v1, v[10:11], off
	s_waitcnt vmcnt(0)
	v_subrev_u32_e32 v17, s7, v1
.LBB2_2:
	s_or_b64 exec, exec, s[10:11]
	s_and_saveexec_b64 s[10:11], s[2:3]
	s_cbranch_execz .LBB2_4
; %bb.3:
	v_ashrrev_i32_e32 v3, 31, v2
	v_lshl_add_u64 v[2:3], v[2:3], 2, s[8:9]
	global_load_dword v1, v[2:3], off offset:4
	s_waitcnt vmcnt(0)
	v_subrev_u32_e32 v9, s7, v1
.LBB2_4:
	s_or_b64 exec, exec, s[10:11]
	s_load_dword s20, s[0:1], 0x38
	v_cmp_gt_i32_e64 s[2:3], s4, v6
	v_mov_b32_e32 v2, 0
	s_and_saveexec_b64 s[8:9], s[2:3]
	s_cbranch_execz .LBB2_6
; %bb.5:
	s_load_dwordx2 s[2:3], s[0:1], 0x48
	v_ashrrev_i32_e32 v7, 31, v6
	s_waitcnt lgkmcnt(0)
	v_lshl_add_u64 v[2:3], v[6:7], 2, s[2:3]
	global_load_dword v1, v[2:3], off
	s_waitcnt vmcnt(0)
	v_subrev_u32_e32 v2, s20, v1
.LBB2_6:
	s_or_b64 exec, exec, s[8:9]
	s_cmp_lt_i32 s5, 1
	s_cbranch_scc1 .LBB2_21
; %bb.7:
	v_and_b32_e32 v10, 7, v0
	s_load_dwordx2 s[2:3], s[0:1], 0x20
	s_load_dwordx2 s[8:9], s[0:1], 0x50
	;; [unrolled: 1-line block ×4, first 2 shown]
	v_cmp_gt_u32_e64 s[0:1], s6, v10
	s_and_b64 s[12:13], vcc, s[0:1]
	s_cmp_eq_u32 s14, 0
	s_cselect_b64 vcc, -1, 0
	s_abs_i32 s4, s6
	v_and_b32_e32 v0, 0xc0, v0
	v_cvt_f32_u32_e32 v14, s4
	v_lshl_or_b32 v11, v4, 3, v0
	v_or_b32_e32 v0, v11, v10
	v_lshlrev_b32_e32 v12, 2, v0
	v_mbcnt_lo_u32_b32 v0, -1, 0
	v_mbcnt_hi_u32_b32 v3, -1, v0
	v_mul_lo_u32 v0, v10, s6
	v_mov_b32_e32 v1, 0
	v_rcp_iflag_f32_e32 v15, v14
	s_waitcnt lgkmcnt(0)
	v_lshl_add_u64 v[6:7], v[0:1], 2, s[16:17]
	v_lshlrev_b32_e32 v0, 2, v4
	v_lshl_add_u64 v[6:7], v[6:7], 0, v[0:1]
	v_mul_lo_u32 v0, v4, s6
	v_lshl_add_u64 v[4:5], v[0:1], 2, s[16:17]
	v_lshlrev_b32_e32 v0, 2, v10
	v_lshlrev_b32_e32 v3, 2, v3
	v_lshl_add_u64 v[4:5], v[4:5], 0, v[0:1]
	v_or_b32_e32 v0, 28, v3
	v_or_b32_e32 v14, 0xfc, v3
	v_mul_f32_e32 v3, 0x4f7ffffe, v15
	v_cvt_u32_f32_e32 v3, v3
	s_sub_i32 s0, 0, s4
	v_cndmask_b32_e32 v4, v6, v4, vcc
	v_mov_b32_e32 v13, 0
	v_mul_lo_u32 v6, s0, v3
	v_mul_hi_u32 v6, v3, v6
	s_mul_hi_u32 s21, s6, s6
	s_mul_i32 s22, s6, s6
	v_cndmask_b32_e32 v5, v7, v5, vcc
	s_ashr_i32 s23, s6, 31
	v_add_u32_e32 v15, v3, v6
	s_mov_b64 s[14:15], 0
	v_mov_b32_e32 v16, 1
	v_mov_b32_e32 v3, 0
	s_branch .LBB2_10
.LBB2_8:                                ;   in Loop: Header=BB2_10 Depth=1
	s_or_b64 exec, exec, s[16:17]
	v_mov_b32_e32 v6, 1
.LBB2_9:                                ;   in Loop: Header=BB2_10 Depth=1
	s_or_b64 exec, exec, s[0:1]
	v_mov_b32_dpp v3, v18 row_shr:1 row_mask:0xf bank_mask:0xf
	v_min_i32_e32 v3, v3, v18
	v_add_u32_e32 v2, v6, v2
	s_waitcnt lgkmcnt(0)
	v_mov_b32_dpp v7, v3 row_shr:2 row_mask:0xf bank_mask:0xf
	v_min_i32_e32 v3, v7, v3
	s_nop 1
	v_mov_b32_dpp v7, v3 row_shr:4 row_mask:0xf bank_mask:0xe
	v_min_i32_e32 v3, v7, v3
	s_nop 1
	v_mov_b32_dpp v7, v3 row_shr:8 row_mask:0xf bank_mask:0xc
	v_min_i32_e32 v3, v7, v3
	s_nop 1
	v_mov_b32_dpp v7, v3 row_bcast:15 row_mask:0xa bank_mask:0xf
	v_min_i32_e32 v3, v7, v3
	s_nop 1
	v_mov_b32_dpp v7, v3 row_bcast:31 row_mask:0xc bank_mask:0xf
	v_min_i32_e32 v3, v7, v3
	ds_bpermute_b32 v3, v14, v3
	s_waitcnt lgkmcnt(0)
	v_cmp_le_i32_e32 vcc, s5, v3
	s_or_b64 s[14:15], vcc, s[14:15]
	s_andn2_b64 exec, exec, s[14:15]
	s_cbranch_execz .LBB2_21
.LBB2_10:                               ; =>This Loop Header: Depth=1
                                        ;     Child Loop BB2_13 Depth 2
	v_add_u32_e32 v6, v17, v10
	v_cmp_lt_i32_e32 vcc, v6, v9
	v_mov_b32_e32 v18, s5
	v_mov_b32_e32 v19, v9
	ds_write_b8 v8, v13 offset:1024
	ds_write_b32 v12, v1
	s_waitcnt lgkmcnt(0)
	s_and_saveexec_b64 s[16:17], vcc
	s_cbranch_execz .LBB2_18
; %bb.11:                               ;   in Loop: Header=BB2_10 Depth=1
	v_mul_lo_u32 v17, v3, s6
	s_mov_b64 s[18:19], 0
	v_mov_b32_e32 v18, s5
	v_mov_b32_e32 v19, v9
	s_branch .LBB2_13
.LBB2_12:                               ;   in Loop: Header=BB2_13 Depth=2
	s_or_b64 exec, exec, s[0:1]
	v_add_u32_e32 v6, 8, v6
	v_cmp_ge_i32_e64 s[0:1], v6, v9
	s_xor_b64 s[24:25], vcc, -1
	s_or_b64 s[0:1], s[24:25], s[0:1]
	s_and_b64 s[0:1], exec, s[0:1]
	s_or_b64 s[18:19], s[0:1], s[18:19]
	s_andn2_b64 exec, exec, s[18:19]
	s_cbranch_execz .LBB2_17
.LBB2_13:                               ;   Parent Loop BB2_10 Depth=1
                                        ; =>  This Inner Loop Header: Depth=2
	v_ashrrev_i32_e32 v7, 31, v6
	v_lshl_add_u64 v[20:21], v[6:7], 2, s[10:11]
	global_load_dword v20, v[20:21], off
	s_waitcnt vmcnt(0)
	v_subrev_u32_e32 v20, s7, v20
	v_sub_u32_e32 v22, 0, v20
	v_max_i32_e32 v22, v20, v22
	v_mul_hi_u32 v23, v22, v15
	v_mul_lo_u32 v24, v23, s4
	v_sub_u32_e32 v22, v22, v24
	v_add_u32_e32 v25, 1, v23
	v_cmp_le_u32_e32 vcc, s4, v22
	v_subrev_u32_e32 v24, s4, v22
	v_ashrrev_i32_e32 v21, 31, v20
	v_cndmask_b32_e32 v23, v23, v25, vcc
	v_cndmask_b32_e32 v22, v22, v24, vcc
	v_add_u32_e32 v24, 1, v23
	v_cmp_le_u32_e32 vcc, s4, v22
	v_xor_b32_e32 v21, s23, v21
	s_nop 0
	v_cndmask_b32_e32 v22, v23, v24, vcc
	v_xor_b32_e32 v22, v22, v21
	v_sub_u32_e32 v22, v22, v21
	v_cmp_eq_u32_e32 vcc, v22, v3
	v_cmp_ne_u32_e64 s[0:1], v22, v3
	v_mov_b32_e32 v21, v19
	s_and_saveexec_b64 s[24:25], s[0:1]
	s_xor_b64 s[0:1], exec, s[24:25]
; %bb.14:                               ;   in Loop: Header=BB2_13 Depth=2
	v_min_i32_e32 v18, v22, v18
                                        ; implicit-def: $vgpr20
                                        ; implicit-def: $vgpr21
; %bb.15:                               ;   in Loop: Header=BB2_13 Depth=2
	s_or_saveexec_b64 s[0:1], s[0:1]
	v_mov_b32_e32 v19, v6
	s_xor_b64 exec, exec, s[0:1]
	s_cbranch_execz .LBB2_12
; %bb.16:                               ;   in Loop: Header=BB2_13 Depth=2
	v_lshl_add_u64 v[22:23], v[6:7], 2, s[2:3]
	global_load_dword v7, v[22:23], off
	v_sub_u32_e32 v19, v20, v17
	v_add_lshl_u32 v19, v19, v11, 2
	ds_write_b8 v8, v16 offset:1024
	s_waitcnt vmcnt(0)
	ds_write_b32 v19, v7
	v_mov_b32_e32 v19, v21
	s_branch .LBB2_12
.LBB2_17:                               ;   in Loop: Header=BB2_10 Depth=1
	s_or_b64 exec, exec, s[18:19]
.LBB2_18:                               ;   in Loop: Header=BB2_10 Depth=1
	s_or_b64 exec, exec, s[16:17]
	v_mov_b32_dpp v6, v19 row_shr:1 row_mask:0xf bank_mask:0xf
	v_min_i32_e32 v6, v6, v19
	s_waitcnt lgkmcnt(0)
	s_nop 0
	v_mov_b32_dpp v7, v6 row_shr:2 row_mask:0xf bank_mask:0xf
	v_min_i32_e32 v6, v7, v6
	ds_read_u8 v7, v8 offset:1024
	s_nop 0
	v_mov_b32_dpp v17, v6 row_shr:4 row_mask:0xf bank_mask:0xe
	v_min_i32_e32 v6, v17, v6
	ds_bpermute_b32 v17, v0, v6
	s_waitcnt lgkmcnt(1)
	v_and_b32_e32 v6, 1, v7
	v_cmp_eq_u32_e32 vcc, 1, v6
	v_mov_b32_e32 v6, 0
	s_and_saveexec_b64 s[0:1], vcc
	s_cbranch_execz .LBB2_9
; %bb.19:                               ;   in Loop: Header=BB2_10 Depth=1
	v_add_u32_e32 v19, s20, v3
	v_ashrrev_i32_e32 v3, 31, v2
	v_lshl_add_u64 v[6:7], v[2:3], 2, s[8:9]
	global_store_dword v[6:7], v19, off
	s_and_saveexec_b64 s[16:17], s[12:13]
	s_cbranch_execz .LBB2_8
; %bb.20:                               ;   in Loop: Header=BB2_10 Depth=1
	ds_read_b32 v19, v12
	v_mul_lo_u32 v20, s21, v2
	v_mul_lo_u32 v3, s22, v3
	v_mad_u64_u32 v[6:7], s[18:19], s22, v2, 0
	v_add3_u32 v7, v7, v3, v20
	v_lshl_add_u64 v[6:7], v[6:7], 2, v[4:5]
	s_waitcnt lgkmcnt(0)
	global_store_dword v[6:7], v19, off
	s_branch .LBB2_8
.LBB2_21:
	s_endpgm
	.section	.rodata,"a",@progbits
	.p2align	6, 0x0
	.amdhsa_kernel _ZN9rocsparseL42csr2bsr_wavefront_per_row_multipass_kernelILj256ELj64ELj8EiiiEEv20rocsparse_direction_T4_S2_S2_S2_S2_21rocsparse_index_base_PKT2_PKT3_PKS2_S3_PS4_PS7_PS2_
		.amdhsa_group_segment_fixed_size 1028
		.amdhsa_private_segment_fixed_size 0
		.amdhsa_kernarg_size 88
		.amdhsa_user_sgpr_count 2
		.amdhsa_user_sgpr_dispatch_ptr 0
		.amdhsa_user_sgpr_queue_ptr 0
		.amdhsa_user_sgpr_kernarg_segment_ptr 1
		.amdhsa_user_sgpr_dispatch_id 0
		.amdhsa_user_sgpr_kernarg_preload_length 0
		.amdhsa_user_sgpr_kernarg_preload_offset 0
		.amdhsa_user_sgpr_private_segment_size 0
		.amdhsa_uses_dynamic_stack 0
		.amdhsa_enable_private_segment 0
		.amdhsa_system_sgpr_workgroup_id_x 1
		.amdhsa_system_sgpr_workgroup_id_y 0
		.amdhsa_system_sgpr_workgroup_id_z 0
		.amdhsa_system_sgpr_workgroup_info 0
		.amdhsa_system_vgpr_workitem_id 0
		.amdhsa_next_free_vgpr 26
		.amdhsa_next_free_sgpr 26
		.amdhsa_accum_offset 28
		.amdhsa_reserve_vcc 1
		.amdhsa_float_round_mode_32 0
		.amdhsa_float_round_mode_16_64 0
		.amdhsa_float_denorm_mode_32 3
		.amdhsa_float_denorm_mode_16_64 3
		.amdhsa_dx10_clamp 1
		.amdhsa_ieee_mode 1
		.amdhsa_fp16_overflow 0
		.amdhsa_tg_split 0
		.amdhsa_exception_fp_ieee_invalid_op 0
		.amdhsa_exception_fp_denorm_src 0
		.amdhsa_exception_fp_ieee_div_zero 0
		.amdhsa_exception_fp_ieee_overflow 0
		.amdhsa_exception_fp_ieee_underflow 0
		.amdhsa_exception_fp_ieee_inexact 0
		.amdhsa_exception_int_div_zero 0
	.end_amdhsa_kernel
	.section	.text._ZN9rocsparseL42csr2bsr_wavefront_per_row_multipass_kernelILj256ELj64ELj8EiiiEEv20rocsparse_direction_T4_S2_S2_S2_S2_21rocsparse_index_base_PKT2_PKT3_PKS2_S3_PS4_PS7_PS2_,"axG",@progbits,_ZN9rocsparseL42csr2bsr_wavefront_per_row_multipass_kernelILj256ELj64ELj8EiiiEEv20rocsparse_direction_T4_S2_S2_S2_S2_21rocsparse_index_base_PKT2_PKT3_PKS2_S3_PS4_PS7_PS2_,comdat
.Lfunc_end2:
	.size	_ZN9rocsparseL42csr2bsr_wavefront_per_row_multipass_kernelILj256ELj64ELj8EiiiEEv20rocsparse_direction_T4_S2_S2_S2_S2_21rocsparse_index_base_PKT2_PKT3_PKS2_S3_PS4_PS7_PS2_, .Lfunc_end2-_ZN9rocsparseL42csr2bsr_wavefront_per_row_multipass_kernelILj256ELj64ELj8EiiiEEv20rocsparse_direction_T4_S2_S2_S2_S2_21rocsparse_index_base_PKT2_PKT3_PKS2_S3_PS4_PS7_PS2_
                                        ; -- End function
	.section	.AMDGPU.csdata,"",@progbits
; Kernel info:
; codeLenInByte = 1152
; NumSgprs: 32
; NumVgprs: 26
; NumAgprs: 0
; TotalNumVgprs: 26
; ScratchSize: 0
; MemoryBound: 0
; FloatMode: 240
; IeeeMode: 1
; LDSByteSize: 1028 bytes/workgroup (compile time only)
; SGPRBlocks: 3
; VGPRBlocks: 3
; NumSGPRsForWavesPerEU: 32
; NumVGPRsForWavesPerEU: 26
; AccumOffset: 28
; Occupancy: 8
; WaveLimiterHint : 0
; COMPUTE_PGM_RSRC2:SCRATCH_EN: 0
; COMPUTE_PGM_RSRC2:USER_SGPR: 2
; COMPUTE_PGM_RSRC2:TRAP_HANDLER: 0
; COMPUTE_PGM_RSRC2:TGID_X_EN: 1
; COMPUTE_PGM_RSRC2:TGID_Y_EN: 0
; COMPUTE_PGM_RSRC2:TGID_Z_EN: 0
; COMPUTE_PGM_RSRC2:TIDIG_COMP_CNT: 0
; COMPUTE_PGM_RSRC3_GFX90A:ACCUM_OFFSET: 6
; COMPUTE_PGM_RSRC3_GFX90A:TG_SPLIT: 0
	.section	.text._ZN9rocsparseL42csr2bsr_wavefront_per_row_multipass_kernelILj256ELj32ELj8EiiiEEv20rocsparse_direction_T4_S2_S2_S2_S2_21rocsparse_index_base_PKT2_PKT3_PKS2_S3_PS4_PS7_PS2_,"axG",@progbits,_ZN9rocsparseL42csr2bsr_wavefront_per_row_multipass_kernelILj256ELj32ELj8EiiiEEv20rocsparse_direction_T4_S2_S2_S2_S2_21rocsparse_index_base_PKT2_PKT3_PKS2_S3_PS4_PS7_PS2_,comdat
	.globl	_ZN9rocsparseL42csr2bsr_wavefront_per_row_multipass_kernelILj256ELj32ELj8EiiiEEv20rocsparse_direction_T4_S2_S2_S2_S2_21rocsparse_index_base_PKT2_PKT3_PKS2_S3_PS4_PS7_PS2_ ; -- Begin function _ZN9rocsparseL42csr2bsr_wavefront_per_row_multipass_kernelILj256ELj32ELj8EiiiEEv20rocsparse_direction_T4_S2_S2_S2_S2_21rocsparse_index_base_PKT2_PKT3_PKS2_S3_PS4_PS7_PS2_
	.p2align	8
	.type	_ZN9rocsparseL42csr2bsr_wavefront_per_row_multipass_kernelILj256ELj32ELj8EiiiEEv20rocsparse_direction_T4_S2_S2_S2_S2_21rocsparse_index_base_PKT2_PKT3_PKS2_S3_PS4_PS7_PS2_,@function
_ZN9rocsparseL42csr2bsr_wavefront_per_row_multipass_kernelILj256ELj32ELj8EiiiEEv20rocsparse_direction_T4_S2_S2_S2_S2_21rocsparse_index_base_PKT2_PKT3_PKS2_S3_PS4_PS7_PS2_: ; @_ZN9rocsparseL42csr2bsr_wavefront_per_row_multipass_kernelILj256ELj32ELj8EiiiEEv20rocsparse_direction_T4_S2_S2_S2_S2_21rocsparse_index_base_PKT2_PKT3_PKS2_S3_PS4_PS7_PS2_
; %bb.0:
	s_load_dwordx2 s[14:15], s[0:1], 0x0
	s_load_dwordx4 s[4:7], s[0:1], 0xc
	s_load_dwordx2 s[8:9], s[0:1], 0x28
	v_lshrrev_b32_e32 v1, 5, v0
	v_bfe_u32 v8, v0, 2, 3
	v_lshl_or_b32 v4, s2, 3, v1
	s_waitcnt lgkmcnt(0)
	v_mad_u64_u32 v[2:3], s[2:3], v4, s6, v[8:9]
	v_cmp_gt_i32_e64 s[2:3], s15, v2
	v_cmp_gt_i32_e32 vcc, s6, v8
	s_and_b64 s[2:3], vcc, s[2:3]
	v_mov_b32_e32 v18, 0
	v_mov_b32_e32 v26, 0
	s_and_saveexec_b64 s[10:11], s[2:3]
	s_cbranch_execz .LBB3_2
; %bb.1:
	v_ashrrev_i32_e32 v3, 31, v2
	v_lshl_add_u64 v[6:7], v[2:3], 2, s[8:9]
	global_load_dword v3, v[6:7], off
	s_waitcnt vmcnt(0)
	v_subrev_u32_e32 v26, s7, v3
.LBB3_2:
	s_or_b64 exec, exec, s[10:11]
	s_and_saveexec_b64 s[10:11], s[2:3]
	s_cbranch_execz .LBB3_4
; %bb.3:
	v_ashrrev_i32_e32 v3, 31, v2
	v_lshl_add_u64 v[2:3], v[2:3], 2, s[8:9]
	global_load_dword v2, v[2:3], off offset:4
	s_waitcnt vmcnt(0)
	v_subrev_u32_e32 v18, s7, v2
.LBB3_4:
	s_or_b64 exec, exec, s[10:11]
	s_load_dword s26, s[0:1], 0x38
	v_cmp_gt_i32_e64 s[2:3], s4, v4
	v_mov_b32_e32 v2, 0
	s_and_saveexec_b64 s[8:9], s[2:3]
	s_cbranch_execz .LBB3_6
; %bb.5:
	s_load_dwordx2 s[2:3], s[0:1], 0x48
	v_ashrrev_i32_e32 v5, 31, v4
	s_waitcnt lgkmcnt(0)
	v_lshl_add_u64 v[2:3], v[4:5], 2, s[2:3]
	global_load_dword v2, v[2:3], off
	s_waitcnt vmcnt(0)
	v_subrev_u32_e32 v2, s26, v2
.LBB3_6:
	s_or_b64 exec, exec, s[8:9]
	s_cmp_lt_i32 s5, 1
	s_cbranch_scc1 .LBB3_30
; %bb.7:
	v_lshlrev_b32_e32 v3, 6, v1
	v_lshl_or_b32 v19, v8, 3, v3
	v_mbcnt_lo_u32_b32 v3, -1, 0
	v_mbcnt_hi_u32_b32 v3, -1, v3
	v_and_b32_e32 v0, 3, v0
	v_lshlrev_b32_e32 v3, 2, v3
	s_cmp_lg_u32 s14, 0
	v_or_b32_e32 v21, 12, v3
	v_or_b32_e32 v22, 0x7c, v3
	;; [unrolled: 1-line block ×3, first 2 shown]
	s_cselect_b64 s[14:15], -1, 0
	s_abs_i32 s28, s6
	v_lshlrev_b32_e32 v23, 2, v3
	v_cvt_f32_u32_e32 v3, s28
	s_load_dwordx2 s[8:9], s[0:1], 0x20
	s_load_dwordx2 s[10:11], s[0:1], 0x50
	;; [unrolled: 1-line block ×4, first 2 shown]
	v_lshlrev_b32_e32 v4, 2, v8
	v_mov_b32_e32 v5, 0
	v_rcp_iflag_f32_e32 v3, v3
	s_waitcnt lgkmcnt(0)
	v_lshl_add_u64 v[6:7], s[2:3], 0, v[4:5]
	v_mul_lo_u32 v4, v8, s6
	v_cmp_gt_u32_e64 s[0:1], s6, v0
	v_mul_f32_e32 v3, 0x4f7ffffe, v3
	v_cvt_u32_f32_e32 v3, v3
	v_lshl_add_u64 v[8:9], v[4:5], 2, s[2:3]
	v_or_b32_e32 v4, 4, v0
	s_and_b64 s[16:17], s[0:1], vcc
	s_sub_i32 s0, 0, s28
	v_cmp_gt_u32_e64 s[2:3], s6, v4
	v_mul_lo_u32 v4, s0, v3
	v_mul_hi_u32 v4, v3, v4
	v_mul_lo_u32 v10, v0, s6
	v_add_u32_e32 v24, v3, v4
	v_cndmask_b32_e64 v3, 0, 1, s[14:15]
	v_mov_b32_e32 v20, 0
	s_mul_hi_u32 s4, s6, s6
	s_mul_i32 s27, s6, s6
	v_mov_b32_e32 v11, v5
	v_lshl_add_u32 v12, s6, 2, v10
	v_mov_b32_e32 v13, v5
	s_and_b64 s[18:19], vcc, s[2:3]
	s_ashr_i32 s29, s6, 31
	s_mov_b64 s[20:21], 0
	v_mov_b32_e32 v25, 1
	v_lshlrev_b32_e32 v4, 2, v0
	v_cmp_ne_u32_e64 s[0:1], 1, v3
	v_mov_b32_e32 v3, 0
	s_branch .LBB3_11
.LBB3_8:                                ;   in Loop: Header=BB3_11 Depth=1
	v_mov_b32_e32 v28, s30
.LBB3_9:                                ;   in Loop: Header=BB3_11 Depth=1
	s_or_b64 exec, exec, s[22:23]
.LBB3_10:                               ;   in Loop: Header=BB3_11 Depth=1
	s_or_b64 exec, exec, s[2:3]
	v_mov_b32_dpp v3, v27 row_shr:1 row_mask:0xf bank_mask:0xf
	v_min_i32_e32 v3, v3, v27
	v_add_u32_e32 v2, v28, v2
	s_waitcnt lgkmcnt(0)
	v_mov_b32_dpp v14, v3 row_shr:2 row_mask:0xf bank_mask:0xf
	v_min_i32_e32 v3, v14, v3
	s_nop 1
	v_mov_b32_dpp v14, v3 row_shr:4 row_mask:0xf bank_mask:0xe
	v_min_i32_e32 v3, v14, v3
	s_nop 1
	v_mov_b32_dpp v14, v3 row_shr:8 row_mask:0xf bank_mask:0xc
	v_min_i32_e32 v3, v14, v3
	s_nop 1
	v_mov_b32_dpp v14, v3 row_bcast:15 row_mask:0xa bank_mask:0xf
	v_min_i32_e32 v3, v14, v3
	ds_bpermute_b32 v3, v22, v3
	s_waitcnt lgkmcnt(0)
	v_cmp_le_i32_e32 vcc, s5, v3
	s_or_b64 s[20:21], vcc, s[20:21]
	s_andn2_b64 exec, exec, s[20:21]
	s_cbranch_execz .LBB3_30
.LBB3_11:                               ; =>This Loop Header: Depth=1
                                        ;     Child Loop BB3_14 Depth 2
	v_add_u32_e32 v14, v26, v0
	v_cmp_lt_i32_e32 vcc, v14, v18
	v_mov_b32_e32 v27, s5
	v_mov_b32_e32 v17, v18
	ds_write_b8 v1, v20 offset:2048
	ds_write2_b32 v23, v5, v5 offset1:4
	s_waitcnt lgkmcnt(0)
	s_and_saveexec_b64 s[22:23], vcc
	s_cbranch_execz .LBB3_19
; %bb.12:                               ;   in Loop: Header=BB3_11 Depth=1
	v_mul_lo_u32 v16, v3, s6
	s_mov_b64 s[24:25], 0
	v_mov_b32_e32 v27, s5
	v_mov_b32_e32 v17, v18
	s_branch .LBB3_14
.LBB3_13:                               ;   in Loop: Header=BB3_14 Depth=2
	s_or_b64 exec, exec, s[2:3]
	v_add_u32_e32 v14, 4, v14
	v_cmp_ge_i32_e64 s[2:3], v14, v18
	s_xor_b64 s[30:31], vcc, -1
	s_or_b64 s[2:3], s[30:31], s[2:3]
	s_and_b64 s[2:3], exec, s[2:3]
	s_or_b64 s[24:25], s[2:3], s[24:25]
	s_andn2_b64 exec, exec, s[24:25]
	s_cbranch_execz .LBB3_18
.LBB3_14:                               ;   Parent Loop BB3_11 Depth=1
                                        ; =>  This Inner Loop Header: Depth=2
	v_ashrrev_i32_e32 v15, 31, v14
	v_lshl_add_u64 v[28:29], v[14:15], 2, s[12:13]
	global_load_dword v26, v[28:29], off
	s_waitcnt vmcnt(0)
	v_subrev_u32_e32 v26, s7, v26
	v_sub_u32_e32 v29, 0, v26
	v_max_i32_e32 v29, v26, v29
	v_mul_hi_u32 v30, v29, v24
	v_mul_lo_u32 v31, v30, s28
	v_sub_u32_e32 v29, v29, v31
	v_add_u32_e32 v32, 1, v30
	v_cmp_le_u32_e32 vcc, s28, v29
	v_subrev_u32_e32 v31, s28, v29
	v_ashrrev_i32_e32 v28, 31, v26
	v_cndmask_b32_e32 v30, v30, v32, vcc
	v_cndmask_b32_e32 v29, v29, v31, vcc
	v_add_u32_e32 v31, 1, v30
	v_cmp_le_u32_e32 vcc, s28, v29
	v_xor_b32_e32 v28, s29, v28
	s_nop 0
	v_cndmask_b32_e32 v29, v30, v31, vcc
	v_xor_b32_e32 v29, v29, v28
	v_sub_u32_e32 v29, v29, v28
	v_cmp_eq_u32_e32 vcc, v29, v3
	v_cmp_ne_u32_e64 s[2:3], v29, v3
	v_mov_b32_e32 v28, v17
	s_and_saveexec_b64 s[30:31], s[2:3]
	s_xor_b64 s[2:3], exec, s[30:31]
; %bb.15:                               ;   in Loop: Header=BB3_14 Depth=2
	v_min_i32_e32 v27, v29, v27
                                        ; implicit-def: $vgpr26
                                        ; implicit-def: $vgpr28
; %bb.16:                               ;   in Loop: Header=BB3_14 Depth=2
	s_or_saveexec_b64 s[2:3], s[2:3]
	v_mov_b32_e32 v17, v14
	s_xor_b64 exec, exec, s[2:3]
	s_cbranch_execz .LBB3_13
; %bb.17:                               ;   in Loop: Header=BB3_14 Depth=2
	v_lshl_add_u64 v[30:31], v[14:15], 2, s[8:9]
	global_load_dword v15, v[30:31], off
	v_sub_u32_e32 v17, v26, v16
	v_add_lshl_u32 v17, v19, v17, 2
	ds_write_b8 v1, v25 offset:2048
	s_waitcnt vmcnt(0)
	ds_write_b32 v17, v15
	v_mov_b32_e32 v17, v28
	s_branch .LBB3_13
.LBB3_18:                               ;   in Loop: Header=BB3_11 Depth=1
	s_or_b64 exec, exec, s[24:25]
.LBB3_19:                               ;   in Loop: Header=BB3_11 Depth=1
	s_or_b64 exec, exec, s[22:23]
	v_mov_b32_dpp v14, v17 row_shr:1 row_mask:0xf bank_mask:0xf
	v_min_i32_e32 v14, v14, v17
	s_waitcnt lgkmcnt(0)
	ds_read_u8 v15, v1 offset:2048
	v_mov_b32_dpp v16, v14 row_shr:2 row_mask:0xf bank_mask:0xf
	v_min_i32_e32 v14, v16, v14
	ds_bpermute_b32 v26, v21, v14
	v_mov_b32_e32 v28, 0
	s_waitcnt lgkmcnt(1)
	v_and_b32_e32 v14, 1, v15
	v_cmp_eq_u32_e32 vcc, 1, v14
	s_and_saveexec_b64 s[2:3], vcc
	s_cbranch_execz .LBB3_10
; %bb.20:                               ;   in Loop: Header=BB3_11 Depth=1
	v_add_u32_e32 v16, s26, v3
	v_ashrrev_i32_e32 v3, 31, v2
	v_lshl_add_u64 v[14:15], v[2:3], 2, s[10:11]
	global_store_dword v[14:15], v16, off
	v_mul_lo_u32 v16, s4, v2
	v_mul_lo_u32 v3, s27, v3
	v_mad_u64_u32 v[14:15], s[22:23], s27, v2, 0
	v_add3_u32 v15, v15, v3, v16
	v_lshlrev_b64 v[14:15], 2, v[14:15]
	v_lshl_add_u64 v[16:17], v[6:7], 0, v[14:15]
	v_lshl_add_u64 v[14:15], v[8:9], 0, v[14:15]
	s_and_saveexec_b64 s[22:23], s[16:17]
	s_cbranch_execz .LBB3_24
; %bb.21:                               ;   in Loop: Header=BB3_11 Depth=1
	s_and_b64 vcc, exec, s[14:15]
	s_cbranch_vccz .LBB3_27
; %bb.22:                               ;   in Loop: Header=BB3_11 Depth=1
	ds_read_b32 v3, v23
	v_lshl_add_u64 v[28:29], v[10:11], 2, v[16:17]
	s_waitcnt lgkmcnt(0)
	global_store_dword v[28:29], v3, off
	s_cbranch_execnz .LBB3_24
.LBB3_23:                               ;   in Loop: Header=BB3_11 Depth=1
	ds_read_b32 v3, v23
	v_lshl_add_u64 v[28:29], v[14:15], 0, v[4:5]
	s_waitcnt lgkmcnt(0)
	global_store_dword v[28:29], v3, off
.LBB3_24:                               ;   in Loop: Header=BB3_11 Depth=1
	s_or_b64 exec, exec, s[22:23]
	v_mov_b32_e32 v28, 1
	s_and_saveexec_b64 s[22:23], s[18:19]
	s_cbranch_execz .LBB3_9
; %bb.25:                               ;   in Loop: Header=BB3_11 Depth=1
	s_and_b64 vcc, exec, s[0:1]
	s_cbranch_vccnz .LBB3_28
; %bb.26:                               ;   in Loop: Header=BB3_11 Depth=1
	ds_read_b32 v3, v23 offset:16
	v_lshl_add_u64 v[16:17], v[12:13], 2, v[16:17]
	s_mov_b32 s30, 1
	s_waitcnt lgkmcnt(0)
	global_store_dword v[16:17], v3, off
	s_cbranch_execnz .LBB3_8
	s_branch .LBB3_29
.LBB3_27:                               ;   in Loop: Header=BB3_11 Depth=1
	s_branch .LBB3_23
.LBB3_28:                               ;   in Loop: Header=BB3_11 Depth=1
                                        ; implicit-def: $sgpr30
.LBB3_29:                               ;   in Loop: Header=BB3_11 Depth=1
	ds_read_b32 v3, v23 offset:16
	v_lshl_add_u64 v[14:15], v[14:15], 0, v[4:5]
	s_mov_b32 s30, 1
	s_waitcnt lgkmcnt(0)
	global_store_dword v[14:15], v3, off offset:16
	s_branch .LBB3_8
.LBB3_30:
	s_endpgm
	.section	.rodata,"a",@progbits
	.p2align	6, 0x0
	.amdhsa_kernel _ZN9rocsparseL42csr2bsr_wavefront_per_row_multipass_kernelILj256ELj32ELj8EiiiEEv20rocsparse_direction_T4_S2_S2_S2_S2_21rocsparse_index_base_PKT2_PKT3_PKS2_S3_PS4_PS7_PS2_
		.amdhsa_group_segment_fixed_size 2056
		.amdhsa_private_segment_fixed_size 0
		.amdhsa_kernarg_size 88
		.amdhsa_user_sgpr_count 2
		.amdhsa_user_sgpr_dispatch_ptr 0
		.amdhsa_user_sgpr_queue_ptr 0
		.amdhsa_user_sgpr_kernarg_segment_ptr 1
		.amdhsa_user_sgpr_dispatch_id 0
		.amdhsa_user_sgpr_kernarg_preload_length 0
		.amdhsa_user_sgpr_kernarg_preload_offset 0
		.amdhsa_user_sgpr_private_segment_size 0
		.amdhsa_uses_dynamic_stack 0
		.amdhsa_enable_private_segment 0
		.amdhsa_system_sgpr_workgroup_id_x 1
		.amdhsa_system_sgpr_workgroup_id_y 0
		.amdhsa_system_sgpr_workgroup_id_z 0
		.amdhsa_system_sgpr_workgroup_info 0
		.amdhsa_system_vgpr_workitem_id 0
		.amdhsa_next_free_vgpr 33
		.amdhsa_next_free_sgpr 32
		.amdhsa_accum_offset 36
		.amdhsa_reserve_vcc 1
		.amdhsa_float_round_mode_32 0
		.amdhsa_float_round_mode_16_64 0
		.amdhsa_float_denorm_mode_32 3
		.amdhsa_float_denorm_mode_16_64 3
		.amdhsa_dx10_clamp 1
		.amdhsa_ieee_mode 1
		.amdhsa_fp16_overflow 0
		.amdhsa_tg_split 0
		.amdhsa_exception_fp_ieee_invalid_op 0
		.amdhsa_exception_fp_denorm_src 0
		.amdhsa_exception_fp_ieee_div_zero 0
		.amdhsa_exception_fp_ieee_overflow 0
		.amdhsa_exception_fp_ieee_underflow 0
		.amdhsa_exception_fp_ieee_inexact 0
		.amdhsa_exception_int_div_zero 0
	.end_amdhsa_kernel
	.section	.text._ZN9rocsparseL42csr2bsr_wavefront_per_row_multipass_kernelILj256ELj32ELj8EiiiEEv20rocsparse_direction_T4_S2_S2_S2_S2_21rocsparse_index_base_PKT2_PKT3_PKS2_S3_PS4_PS7_PS2_,"axG",@progbits,_ZN9rocsparseL42csr2bsr_wavefront_per_row_multipass_kernelILj256ELj32ELj8EiiiEEv20rocsparse_direction_T4_S2_S2_S2_S2_21rocsparse_index_base_PKT2_PKT3_PKS2_S3_PS4_PS7_PS2_,comdat
.Lfunc_end3:
	.size	_ZN9rocsparseL42csr2bsr_wavefront_per_row_multipass_kernelILj256ELj32ELj8EiiiEEv20rocsparse_direction_T4_S2_S2_S2_S2_21rocsparse_index_base_PKT2_PKT3_PKS2_S3_PS4_PS7_PS2_, .Lfunc_end3-_ZN9rocsparseL42csr2bsr_wavefront_per_row_multipass_kernelILj256ELj32ELj8EiiiEEv20rocsparse_direction_T4_S2_S2_S2_S2_21rocsparse_index_base_PKT2_PKT3_PKS2_S3_PS4_PS7_PS2_
                                        ; -- End function
	.section	.AMDGPU.csdata,"",@progbits
; Kernel info:
; codeLenInByte = 1300
; NumSgprs: 38
; NumVgprs: 33
; NumAgprs: 0
; TotalNumVgprs: 33
; ScratchSize: 0
; MemoryBound: 0
; FloatMode: 240
; IeeeMode: 1
; LDSByteSize: 2056 bytes/workgroup (compile time only)
; SGPRBlocks: 4
; VGPRBlocks: 4
; NumSGPRsForWavesPerEU: 38
; NumVGPRsForWavesPerEU: 33
; AccumOffset: 36
; Occupancy: 8
; WaveLimiterHint : 0
; COMPUTE_PGM_RSRC2:SCRATCH_EN: 0
; COMPUTE_PGM_RSRC2:USER_SGPR: 2
; COMPUTE_PGM_RSRC2:TRAP_HANDLER: 0
; COMPUTE_PGM_RSRC2:TGID_X_EN: 1
; COMPUTE_PGM_RSRC2:TGID_Y_EN: 0
; COMPUTE_PGM_RSRC2:TGID_Z_EN: 0
; COMPUTE_PGM_RSRC2:TIDIG_COMP_CNT: 0
; COMPUTE_PGM_RSRC3_GFX90A:ACCUM_OFFSET: 8
; COMPUTE_PGM_RSRC3_GFX90A:TG_SPLIT: 0
	.section	.text._ZN9rocsparseL42csr2bsr_wavefront_per_row_multipass_kernelILj256ELj64ELj16EiiiEEv20rocsparse_direction_T4_S2_S2_S2_S2_21rocsparse_index_base_PKT2_PKT3_PKS2_S3_PS4_PS7_PS2_,"axG",@progbits,_ZN9rocsparseL42csr2bsr_wavefront_per_row_multipass_kernelILj256ELj64ELj16EiiiEEv20rocsparse_direction_T4_S2_S2_S2_S2_21rocsparse_index_base_PKT2_PKT3_PKS2_S3_PS4_PS7_PS2_,comdat
	.globl	_ZN9rocsparseL42csr2bsr_wavefront_per_row_multipass_kernelILj256ELj64ELj16EiiiEEv20rocsparse_direction_T4_S2_S2_S2_S2_21rocsparse_index_base_PKT2_PKT3_PKS2_S3_PS4_PS7_PS2_ ; -- Begin function _ZN9rocsparseL42csr2bsr_wavefront_per_row_multipass_kernelILj256ELj64ELj16EiiiEEv20rocsparse_direction_T4_S2_S2_S2_S2_21rocsparse_index_base_PKT2_PKT3_PKS2_S3_PS4_PS7_PS2_
	.p2align	8
	.type	_ZN9rocsparseL42csr2bsr_wavefront_per_row_multipass_kernelILj256ELj64ELj16EiiiEEv20rocsparse_direction_T4_S2_S2_S2_S2_21rocsparse_index_base_PKT2_PKT3_PKS2_S3_PS4_PS7_PS2_,@function
_ZN9rocsparseL42csr2bsr_wavefront_per_row_multipass_kernelILj256ELj64ELj16EiiiEEv20rocsparse_direction_T4_S2_S2_S2_S2_21rocsparse_index_base_PKT2_PKT3_PKS2_S3_PS4_PS7_PS2_: ; @_ZN9rocsparseL42csr2bsr_wavefront_per_row_multipass_kernelILj256ELj64ELj16EiiiEEv20rocsparse_direction_T4_S2_S2_S2_S2_21rocsparse_index_base_PKT2_PKT3_PKS2_S3_PS4_PS7_PS2_
; %bb.0:
	s_load_dwordx2 s[4:5], s[0:1], 0x0
	s_load_dwordx4 s[8:11], s[0:1], 0xc
	s_load_dwordx2 s[6:7], s[0:1], 0x28
	v_lshrrev_b32_e32 v1, 6, v0
	v_bfe_u32 v8, v0, 2, 4
	v_lshl_or_b32 v4, s2, 2, v1
	s_waitcnt lgkmcnt(0)
	v_mad_u64_u32 v[2:3], s[2:3], v4, s10, v[8:9]
	v_cmp_gt_i32_e64 s[2:3], s5, v2
	v_cmp_gt_i32_e32 vcc, s10, v8
	s_and_b64 s[2:3], vcc, s[2:3]
	v_mov_b32_e32 v22, 0
	v_mov_b32_e32 v30, 0
	s_and_saveexec_b64 s[12:13], s[2:3]
	s_cbranch_execz .LBB4_2
; %bb.1:
	v_ashrrev_i32_e32 v3, 31, v2
	v_lshl_add_u64 v[6:7], v[2:3], 2, s[6:7]
	global_load_dword v3, v[6:7], off
	s_waitcnt vmcnt(0)
	v_subrev_u32_e32 v30, s11, v3
.LBB4_2:
	s_or_b64 exec, exec, s[12:13]
	s_and_saveexec_b64 s[12:13], s[2:3]
	s_cbranch_execz .LBB4_4
; %bb.3:
	v_ashrrev_i32_e32 v3, 31, v2
	v_lshl_add_u64 v[2:3], v[2:3], 2, s[6:7]
	global_load_dword v2, v[2:3], off offset:4
	s_waitcnt vmcnt(0)
	v_subrev_u32_e32 v22, s11, v2
.LBB4_4:
	s_or_b64 exec, exec, s[12:13]
	s_load_dword s30, s[0:1], 0x38
	v_cmp_gt_i32_e64 s[2:3], s8, v4
	v_mov_b32_e32 v2, 0
	s_and_saveexec_b64 s[6:7], s[2:3]
	s_cbranch_execz .LBB4_6
; %bb.5:
	s_load_dwordx2 s[2:3], s[0:1], 0x48
	v_ashrrev_i32_e32 v5, 31, v4
	s_waitcnt lgkmcnt(0)
	v_lshl_add_u64 v[2:3], v[4:5], 2, s[2:3]
	global_load_dword v2, v[2:3], off
	s_waitcnt vmcnt(0)
	v_subrev_u32_e32 v2, s30, v2
.LBB4_6:
	s_or_b64 exec, exec, s[6:7]
	s_cmp_lt_i32 s9, 1
	s_cbranch_scc1 .LBB4_40
; %bb.7:
	s_load_dwordx2 s[12:13], s[0:1], 0x20
	s_load_dwordx2 s[14:15], s[0:1], 0x50
	s_load_dwordx2 s[2:3], s[0:1], 0x40
	s_load_dwordx2 s[16:17], s[0:1], 0x30
	v_lshlrev_b32_e32 v3, 8, v1
	v_lshl_or_b32 v23, v8, 4, v3
	v_mbcnt_lo_u32_b32 v3, -1, 0
	v_mbcnt_hi_u32_b32 v3, -1, v3
	s_cmp_lg_u32 s4, 0
	v_lshlrev_b32_e32 v4, 2, v8
	v_mov_b32_e32 v5, 0
	v_and_b32_e32 v0, 3, v0
	v_lshlrev_b32_e32 v3, 2, v3
	s_cselect_b64 s[18:19], -1, 0
	s_waitcnt lgkmcnt(0)
	v_lshl_add_u64 v[6:7], s[2:3], 0, v[4:5]
	v_mul_lo_u32 v4, v8, s10
	s_abs_i32 s33, s10
	v_or_b32_e32 v25, 12, v3
	v_lshl_add_u64 v[8:9], v[4:5], 2, s[2:3]
	v_or_b32_e32 v26, 0xfc, v3
	v_or_b32_e32 v3, v23, v0
	v_cvt_f32_u32_e32 v4, s33
	v_lshlrev_b32_e32 v27, 2, v3
	v_or_b32_e32 v3, 4, v0
	v_cmp_gt_u32_e64 s[2:3], s10, v3
	v_or_b32_e32 v3, 8, v0
	v_cmp_gt_u32_e64 s[4:5], s10, v3
	;; [unrolled: 2-line block ×3, first 2 shown]
	v_rcp_iflag_f32_e32 v3, v4
	v_mul_lo_u32 v10, v0, s10
	s_lshl_b32 s20, s10, 2
	v_add_u32_e32 v12, s20, v10
	v_mul_f32_e32 v3, 0x4f7ffffe, v3
	v_cvt_u32_f32_e32 v3, v3
	v_cmp_gt_u32_e64 s[0:1], s10, v0
	v_add_u32_e32 v14, s20, v12
	v_add_u32_e32 v16, s20, v14
	s_and_b64 s[20:21], s[0:1], vcc
	s_sub_i32 s0, 0, s33
	v_mul_lo_u32 v4, s0, v3
	v_mul_hi_u32 v4, v3, v4
	v_mov_b32_e32 v24, 0
	s_mul_hi_u32 s8, s10, s10
	s_mul_i32 s31, s10, s10
	v_mov_b32_e32 v11, v5
	v_mov_b32_e32 v13, v5
	;; [unrolled: 1-line block ×4, first 2 shown]
	s_and_b64 s[2:3], vcc, s[2:3]
	s_and_b64 s[4:5], vcc, s[4:5]
	;; [unrolled: 1-line block ×3, first 2 shown]
	s_ashr_i32 s34, s10, 31
	v_add_u32_e32 v28, v3, v4
	s_mov_b64 s[22:23], 0
	v_mov_b32_e32 v29, 1
	v_mov_b32_e32 v3, 0
	s_branch .LBB4_11
.LBB4_8:                                ;   in Loop: Header=BB4_11 Depth=1
	v_mov_b32_e32 v4, s28
.LBB4_9:                                ;   in Loop: Header=BB4_11 Depth=1
	s_or_b64 exec, exec, s[26:27]
.LBB4_10:                               ;   in Loop: Header=BB4_11 Depth=1
	s_or_b64 exec, exec, s[24:25]
	v_mov_b32_dpp v3, v31 row_shr:1 row_mask:0xf bank_mask:0xf
	v_min_i32_e32 v3, v3, v31
	v_add_u32_e32 v2, v4, v2
	s_waitcnt lgkmcnt(0)
	v_mov_b32_dpp v18, v3 row_shr:2 row_mask:0xf bank_mask:0xf
	v_min_i32_e32 v3, v18, v3
	s_nop 1
	v_mov_b32_dpp v18, v3 row_shr:4 row_mask:0xf bank_mask:0xe
	v_min_i32_e32 v3, v18, v3
	s_nop 1
	;; [unrolled: 3-line block ×3, first 2 shown]
	v_mov_b32_dpp v18, v3 row_bcast:15 row_mask:0xa bank_mask:0xf
	v_min_i32_e32 v3, v18, v3
	s_nop 1
	v_mov_b32_dpp v18, v3 row_bcast:31 row_mask:0xc bank_mask:0xf
	v_min_i32_e32 v3, v18, v3
	ds_bpermute_b32 v3, v26, v3
	s_waitcnt lgkmcnt(0)
	v_cmp_le_i32_e32 vcc, s9, v3
	s_or_b64 s[22:23], vcc, s[22:23]
	s_andn2_b64 exec, exec, s[22:23]
	s_cbranch_execz .LBB4_40
.LBB4_11:                               ; =>This Loop Header: Depth=1
                                        ;     Child Loop BB4_14 Depth 2
	v_add_u32_e32 v18, v30, v0
	v_cmp_lt_i32_e32 vcc, v18, v22
	v_mov_b32_e32 v31, s9
	v_mov_b32_e32 v20, v22
	ds_write_b8 v1, v24 offset:4096
	ds_write2_b32 v27, v5, v5 offset1:4
	ds_write2_b32 v27, v5, v5 offset0:8 offset1:12
	s_waitcnt lgkmcnt(0)
	s_and_saveexec_b64 s[24:25], vcc
	s_cbranch_execz .LBB4_19
; %bb.12:                               ;   in Loop: Header=BB4_11 Depth=1
	v_mul_lo_u32 v4, v3, s10
	s_mov_b64 s[26:27], 0
	v_mov_b32_e32 v31, s9
	v_mov_b32_e32 v20, v22
	s_branch .LBB4_14
.LBB4_13:                               ;   in Loop: Header=BB4_14 Depth=2
	s_or_b64 exec, exec, s[0:1]
	v_add_u32_e32 v18, 4, v18
	v_cmp_ge_i32_e64 s[0:1], v18, v22
	s_xor_b64 s[28:29], vcc, -1
	s_or_b64 s[0:1], s[28:29], s[0:1]
	s_and_b64 s[0:1], exec, s[0:1]
	s_or_b64 s[26:27], s[0:1], s[26:27]
	s_andn2_b64 exec, exec, s[26:27]
	s_cbranch_execz .LBB4_18
.LBB4_14:                               ;   Parent Loop BB4_11 Depth=1
                                        ; =>  This Inner Loop Header: Depth=2
	v_ashrrev_i32_e32 v19, 31, v18
	v_lshl_add_u64 v[32:33], v[18:19], 2, s[16:17]
	global_load_dword v21, v[32:33], off
	s_waitcnt vmcnt(0)
	v_subrev_u32_e32 v21, s11, v21
	v_sub_u32_e32 v32, 0, v21
	v_max_i32_e32 v32, v21, v32
	v_mul_hi_u32 v33, v32, v28
	v_mul_lo_u32 v34, v33, s33
	v_sub_u32_e32 v32, v32, v34
	v_add_u32_e32 v35, 1, v33
	v_cmp_le_u32_e32 vcc, s33, v32
	v_subrev_u32_e32 v34, s33, v32
	v_ashrrev_i32_e32 v30, 31, v21
	v_cndmask_b32_e32 v33, v33, v35, vcc
	v_cndmask_b32_e32 v32, v32, v34, vcc
	v_add_u32_e32 v34, 1, v33
	v_cmp_le_u32_e32 vcc, s33, v32
	v_xor_b32_e32 v30, s34, v30
	s_nop 0
	v_cndmask_b32_e32 v32, v33, v34, vcc
	v_xor_b32_e32 v32, v32, v30
	v_sub_u32_e32 v32, v32, v30
	v_cmp_eq_u32_e32 vcc, v32, v3
	v_cmp_ne_u32_e64 s[0:1], v32, v3
	v_mov_b32_e32 v30, v20
	s_and_saveexec_b64 s[28:29], s[0:1]
	s_xor_b64 s[0:1], exec, s[28:29]
; %bb.15:                               ;   in Loop: Header=BB4_14 Depth=2
	v_min_i32_e32 v31, v32, v31
                                        ; implicit-def: $vgpr21
                                        ; implicit-def: $vgpr30
; %bb.16:                               ;   in Loop: Header=BB4_14 Depth=2
	s_or_saveexec_b64 s[0:1], s[0:1]
	v_mov_b32_e32 v20, v18
	s_xor_b64 exec, exec, s[0:1]
	s_cbranch_execz .LBB4_13
; %bb.17:                               ;   in Loop: Header=BB4_14 Depth=2
	v_lshl_add_u64 v[32:33], v[18:19], 2, s[12:13]
	global_load_dword v19, v[32:33], off
	v_sub_u32_e32 v20, v21, v4
	v_add_lshl_u32 v20, v23, v20, 2
	ds_write_b8 v1, v29 offset:4096
	s_waitcnt vmcnt(0)
	ds_write_b32 v20, v19
	v_mov_b32_e32 v20, v30
	s_branch .LBB4_13
.LBB4_18:                               ;   in Loop: Header=BB4_11 Depth=1
	s_or_b64 exec, exec, s[26:27]
.LBB4_19:                               ;   in Loop: Header=BB4_11 Depth=1
	s_or_b64 exec, exec, s[24:25]
	v_mov_b32_dpp v4, v20 row_shr:1 row_mask:0xf bank_mask:0xf
	v_min_i32_e32 v4, v4, v20
	s_waitcnt lgkmcnt(0)
	ds_read_u8 v18, v1 offset:4096
	v_mov_b32_dpp v19, v4 row_shr:2 row_mask:0xf bank_mask:0xf
	v_min_i32_e32 v4, v19, v4
	ds_bpermute_b32 v30, v25, v4
	s_waitcnt lgkmcnt(1)
	v_and_b32_e32 v4, 1, v18
	v_cmp_eq_u32_e32 vcc, 1, v4
	v_mov_b32_e32 v4, 0
	s_and_saveexec_b64 s[24:25], vcc
	s_cbranch_execz .LBB4_10
; %bb.20:                               ;   in Loop: Header=BB4_11 Depth=1
	v_add_u32_e32 v4, s30, v3
	v_ashrrev_i32_e32 v3, 31, v2
	v_lshl_add_u64 v[18:19], v[2:3], 2, s[14:15]
	global_store_dword v[18:19], v4, off
	v_mul_lo_u32 v4, s8, v2
	v_mul_lo_u32 v3, s31, v3
	v_mad_u64_u32 v[18:19], s[0:1], s31, v2, 0
	v_add3_u32 v19, v19, v3, v4
	v_lshlrev_b64 v[18:19], 2, v[18:19]
	v_lshl_add_u64 v[20:21], v[6:7], 0, v[18:19]
	v_lshl_add_u64 v[18:19], v[8:9], 0, v[18:19]
	s_and_saveexec_b64 s[0:1], s[20:21]
	s_cbranch_execz .LBB4_24
; %bb.21:                               ;   in Loop: Header=BB4_11 Depth=1
	s_and_b64 vcc, exec, s[18:19]
	s_cbranch_vccz .LBB4_35
; %bb.22:                               ;   in Loop: Header=BB4_11 Depth=1
	ds_read_b32 v3, v27
	v_lshl_add_u64 v[32:33], v[10:11], 2, v[20:21]
	s_waitcnt lgkmcnt(0)
	global_store_dword v[32:33], v3, off
	s_cbranch_execnz .LBB4_24
.LBB4_23:                               ;   in Loop: Header=BB4_11 Depth=1
	ds_read_b32 v3, v27
	v_lshlrev_b32_e32 v4, 2, v0
	v_lshl_add_u64 v[32:33], v[18:19], 0, v[4:5]
	s_waitcnt lgkmcnt(0)
	global_store_dword v[32:33], v3, off
.LBB4_24:                               ;   in Loop: Header=BB4_11 Depth=1
	s_or_b64 exec, exec, s[0:1]
	v_cndmask_b32_e64 v3, 0, 1, s[18:19]
	v_cmp_ne_u32_e64 s[0:1], 1, v3
	s_and_saveexec_b64 s[26:27], s[2:3]
	s_cbranch_execz .LBB4_28
; %bb.25:                               ;   in Loop: Header=BB4_11 Depth=1
	s_and_b64 vcc, exec, s[0:1]
	s_cbranch_vccnz .LBB4_36
; %bb.26:                               ;   in Loop: Header=BB4_11 Depth=1
	ds_read_b32 v3, v27 offset:16
	v_lshl_add_u64 v[32:33], v[12:13], 2, v[20:21]
	s_waitcnt lgkmcnt(0)
	global_store_dword v[32:33], v3, off
	s_cbranch_execnz .LBB4_28
.LBB4_27:                               ;   in Loop: Header=BB4_11 Depth=1
	ds_read_b32 v3, v27 offset:16
	v_lshlrev_b32_e32 v4, 2, v0
	v_lshl_add_u64 v[32:33], v[18:19], 0, v[4:5]
	s_waitcnt lgkmcnt(0)
	global_store_dword v[32:33], v3, off offset:16
.LBB4_28:                               ;   in Loop: Header=BB4_11 Depth=1
	s_or_b64 exec, exec, s[26:27]
	s_and_saveexec_b64 s[26:27], s[4:5]
	s_cbranch_execz .LBB4_32
; %bb.29:                               ;   in Loop: Header=BB4_11 Depth=1
	s_and_b64 vcc, exec, s[0:1]
	s_cbranch_vccnz .LBB4_37
; %bb.30:                               ;   in Loop: Header=BB4_11 Depth=1
	ds_read_b32 v3, v27 offset:32
	v_lshl_add_u64 v[32:33], v[14:15], 2, v[20:21]
	s_waitcnt lgkmcnt(0)
	global_store_dword v[32:33], v3, off
	s_cbranch_execnz .LBB4_32
.LBB4_31:                               ;   in Loop: Header=BB4_11 Depth=1
	ds_read_b32 v3, v27 offset:32
	v_lshlrev_b32_e32 v4, 2, v0
	v_lshl_add_u64 v[32:33], v[18:19], 0, v[4:5]
	s_waitcnt lgkmcnt(0)
	global_store_dword v[32:33], v3, off offset:32
.LBB4_32:                               ;   in Loop: Header=BB4_11 Depth=1
	s_or_b64 exec, exec, s[26:27]
	v_mov_b32_e32 v4, 1
	s_and_saveexec_b64 s[26:27], s[6:7]
	s_cbranch_execz .LBB4_9
; %bb.33:                               ;   in Loop: Header=BB4_11 Depth=1
	s_and_b64 vcc, exec, s[0:1]
	s_cbranch_vccnz .LBB4_38
; %bb.34:                               ;   in Loop: Header=BB4_11 Depth=1
	ds_read_b32 v3, v27 offset:48
	v_lshl_add_u64 v[20:21], v[16:17], 2, v[20:21]
	s_mov_b32 s28, 1
	s_waitcnt lgkmcnt(0)
	global_store_dword v[20:21], v3, off
	s_cbranch_execnz .LBB4_8
	s_branch .LBB4_39
.LBB4_35:                               ;   in Loop: Header=BB4_11 Depth=1
	s_branch .LBB4_23
.LBB4_36:                               ;   in Loop: Header=BB4_11 Depth=1
	s_branch .LBB4_27
.LBB4_37:                               ;   in Loop: Header=BB4_11 Depth=1
	s_branch .LBB4_31
.LBB4_38:                               ;   in Loop: Header=BB4_11 Depth=1
                                        ; implicit-def: $sgpr28
.LBB4_39:                               ;   in Loop: Header=BB4_11 Depth=1
	ds_read_b32 v3, v27 offset:48
	v_lshlrev_b32_e32 v4, 2, v0
	v_lshl_add_u64 v[18:19], v[18:19], 0, v[4:5]
	s_mov_b32 s28, 1
	s_waitcnt lgkmcnt(0)
	global_store_dword v[18:19], v3, off offset:48
	s_branch .LBB4_8
.LBB4_40:
	s_endpgm
	.section	.rodata,"a",@progbits
	.p2align	6, 0x0
	.amdhsa_kernel _ZN9rocsparseL42csr2bsr_wavefront_per_row_multipass_kernelILj256ELj64ELj16EiiiEEv20rocsparse_direction_T4_S2_S2_S2_S2_21rocsparse_index_base_PKT2_PKT3_PKS2_S3_PS4_PS7_PS2_
		.amdhsa_group_segment_fixed_size 4100
		.amdhsa_private_segment_fixed_size 0
		.amdhsa_kernarg_size 88
		.amdhsa_user_sgpr_count 2
		.amdhsa_user_sgpr_dispatch_ptr 0
		.amdhsa_user_sgpr_queue_ptr 0
		.amdhsa_user_sgpr_kernarg_segment_ptr 1
		.amdhsa_user_sgpr_dispatch_id 0
		.amdhsa_user_sgpr_kernarg_preload_length 0
		.amdhsa_user_sgpr_kernarg_preload_offset 0
		.amdhsa_user_sgpr_private_segment_size 0
		.amdhsa_uses_dynamic_stack 0
		.amdhsa_enable_private_segment 0
		.amdhsa_system_sgpr_workgroup_id_x 1
		.amdhsa_system_sgpr_workgroup_id_y 0
		.amdhsa_system_sgpr_workgroup_id_z 0
		.amdhsa_system_sgpr_workgroup_info 0
		.amdhsa_system_vgpr_workitem_id 0
		.amdhsa_next_free_vgpr 36
		.amdhsa_next_free_sgpr 35
		.amdhsa_accum_offset 36
		.amdhsa_reserve_vcc 1
		.amdhsa_float_round_mode_32 0
		.amdhsa_float_round_mode_16_64 0
		.amdhsa_float_denorm_mode_32 3
		.amdhsa_float_denorm_mode_16_64 3
		.amdhsa_dx10_clamp 1
		.amdhsa_ieee_mode 1
		.amdhsa_fp16_overflow 0
		.amdhsa_tg_split 0
		.amdhsa_exception_fp_ieee_invalid_op 0
		.amdhsa_exception_fp_denorm_src 0
		.amdhsa_exception_fp_ieee_div_zero 0
		.amdhsa_exception_fp_ieee_overflow 0
		.amdhsa_exception_fp_ieee_underflow 0
		.amdhsa_exception_fp_ieee_inexact 0
		.amdhsa_exception_int_div_zero 0
	.end_amdhsa_kernel
	.section	.text._ZN9rocsparseL42csr2bsr_wavefront_per_row_multipass_kernelILj256ELj64ELj16EiiiEEv20rocsparse_direction_T4_S2_S2_S2_S2_21rocsparse_index_base_PKT2_PKT3_PKS2_S3_PS4_PS7_PS2_,"axG",@progbits,_ZN9rocsparseL42csr2bsr_wavefront_per_row_multipass_kernelILj256ELj64ELj16EiiiEEv20rocsparse_direction_T4_S2_S2_S2_S2_21rocsparse_index_base_PKT2_PKT3_PKS2_S3_PS4_PS7_PS2_,comdat
.Lfunc_end4:
	.size	_ZN9rocsparseL42csr2bsr_wavefront_per_row_multipass_kernelILj256ELj64ELj16EiiiEEv20rocsparse_direction_T4_S2_S2_S2_S2_21rocsparse_index_base_PKT2_PKT3_PKS2_S3_PS4_PS7_PS2_, .Lfunc_end4-_ZN9rocsparseL42csr2bsr_wavefront_per_row_multipass_kernelILj256ELj64ELj16EiiiEEv20rocsparse_direction_T4_S2_S2_S2_S2_21rocsparse_index_base_PKT2_PKT3_PKS2_S3_PS4_PS7_PS2_
                                        ; -- End function
	.section	.AMDGPU.csdata,"",@progbits
; Kernel info:
; codeLenInByte = 1552
; NumSgprs: 41
; NumVgprs: 36
; NumAgprs: 0
; TotalNumVgprs: 36
; ScratchSize: 0
; MemoryBound: 0
; FloatMode: 240
; IeeeMode: 1
; LDSByteSize: 4100 bytes/workgroup (compile time only)
; SGPRBlocks: 5
; VGPRBlocks: 4
; NumSGPRsForWavesPerEU: 41
; NumVGPRsForWavesPerEU: 36
; AccumOffset: 36
; Occupancy: 8
; WaveLimiterHint : 0
; COMPUTE_PGM_RSRC2:SCRATCH_EN: 0
; COMPUTE_PGM_RSRC2:USER_SGPR: 2
; COMPUTE_PGM_RSRC2:TRAP_HANDLER: 0
; COMPUTE_PGM_RSRC2:TGID_X_EN: 1
; COMPUTE_PGM_RSRC2:TGID_Y_EN: 0
; COMPUTE_PGM_RSRC2:TGID_Z_EN: 0
; COMPUTE_PGM_RSRC2:TIDIG_COMP_CNT: 0
; COMPUTE_PGM_RSRC3_GFX90A:ACCUM_OFFSET: 8
; COMPUTE_PGM_RSRC3_GFX90A:TG_SPLIT: 0
	.section	.text._ZN9rocsparseL42csr2bsr_wavefront_per_row_multipass_kernelILj256ELj32ELj16EiiiEEv20rocsparse_direction_T4_S2_S2_S2_S2_21rocsparse_index_base_PKT2_PKT3_PKS2_S3_PS4_PS7_PS2_,"axG",@progbits,_ZN9rocsparseL42csr2bsr_wavefront_per_row_multipass_kernelILj256ELj32ELj16EiiiEEv20rocsparse_direction_T4_S2_S2_S2_S2_21rocsparse_index_base_PKT2_PKT3_PKS2_S3_PS4_PS7_PS2_,comdat
	.globl	_ZN9rocsparseL42csr2bsr_wavefront_per_row_multipass_kernelILj256ELj32ELj16EiiiEEv20rocsparse_direction_T4_S2_S2_S2_S2_21rocsparse_index_base_PKT2_PKT3_PKS2_S3_PS4_PS7_PS2_ ; -- Begin function _ZN9rocsparseL42csr2bsr_wavefront_per_row_multipass_kernelILj256ELj32ELj16EiiiEEv20rocsparse_direction_T4_S2_S2_S2_S2_21rocsparse_index_base_PKT2_PKT3_PKS2_S3_PS4_PS7_PS2_
	.p2align	8
	.type	_ZN9rocsparseL42csr2bsr_wavefront_per_row_multipass_kernelILj256ELj32ELj16EiiiEEv20rocsparse_direction_T4_S2_S2_S2_S2_21rocsparse_index_base_PKT2_PKT3_PKS2_S3_PS4_PS7_PS2_,@function
_ZN9rocsparseL42csr2bsr_wavefront_per_row_multipass_kernelILj256ELj32ELj16EiiiEEv20rocsparse_direction_T4_S2_S2_S2_S2_21rocsparse_index_base_PKT2_PKT3_PKS2_S3_PS4_PS7_PS2_: ; @_ZN9rocsparseL42csr2bsr_wavefront_per_row_multipass_kernelILj256ELj32ELj16EiiiEEv20rocsparse_direction_T4_S2_S2_S2_S2_21rocsparse_index_base_PKT2_PKT3_PKS2_S3_PS4_PS7_PS2_
; %bb.0:
	s_load_dwordx2 s[4:5], s[0:1], 0x0
	s_load_dwordx4 s[16:19], s[0:1], 0xc
	s_load_dwordx2 s[6:7], s[0:1], 0x28
	v_lshrrev_b32_e32 v1, 5, v0
	v_bfe_u32 v8, v0, 1, 4
	v_lshl_or_b32 v4, s2, 3, v1
	s_waitcnt lgkmcnt(0)
	v_mad_u64_u32 v[2:3], s[2:3], v4, s18, v[8:9]
	v_cmp_gt_i32_e64 s[2:3], s5, v2
	v_cmp_gt_i32_e32 vcc, s18, v8
	s_and_b64 s[2:3], vcc, s[2:3]
	v_mov_b32_e32 v30, 0
	v_mov_b32_e32 v36, 0
	s_and_saveexec_b64 s[8:9], s[2:3]
	s_cbranch_execz .LBB5_2
; %bb.1:
	v_ashrrev_i32_e32 v3, 31, v2
	v_lshl_add_u64 v[6:7], v[2:3], 2, s[6:7]
	global_load_dword v3, v[6:7], off
	s_waitcnt vmcnt(0)
	v_subrev_u32_e32 v36, s19, v3
.LBB5_2:
	s_or_b64 exec, exec, s[8:9]
	s_and_saveexec_b64 s[8:9], s[2:3]
	s_cbranch_execz .LBB5_4
; %bb.3:
	v_ashrrev_i32_e32 v3, 31, v2
	v_lshl_add_u64 v[2:3], v[2:3], 2, s[6:7]
	global_load_dword v2, v[2:3], off offset:4
	s_waitcnt vmcnt(0)
	v_subrev_u32_e32 v30, s19, v2
.LBB5_4:
	s_or_b64 exec, exec, s[8:9]
	s_load_dword s33, s[0:1], 0x38
	v_cmp_gt_i32_e64 s[2:3], s16, v4
	v_mov_b32_e32 v2, 0
	s_and_saveexec_b64 s[6:7], s[2:3]
	s_cbranch_execz .LBB5_6
; %bb.5:
	s_load_dwordx2 s[2:3], s[0:1], 0x48
	v_ashrrev_i32_e32 v5, 31, v4
	s_waitcnt lgkmcnt(0)
	v_lshl_add_u64 v[2:3], v[4:5], 2, s[2:3]
	global_load_dword v2, v[2:3], off
	s_waitcnt vmcnt(0)
	v_subrev_u32_e32 v2, s33, v2
.LBB5_6:
	s_or_b64 exec, exec, s[6:7]
	s_cmp_lt_i32 s17, 1
	s_cbranch_scc1 .LBB5_60
; %bb.7:
	v_lshlrev_b32_e32 v3, 8, v1
	s_load_dwordx2 s[20:21], s[0:1], 0x20
	s_load_dwordx2 s[22:23], s[0:1], 0x50
	;; [unrolled: 1-line block ×4, first 2 shown]
	v_lshl_or_b32 v31, v8, 4, v3
	v_mbcnt_lo_u32_b32 v3, -1, 0
	v_mbcnt_hi_u32_b32 v3, -1, v3
	v_and_b32_e32 v0, 1, v0
	v_lshlrev_b32_e32 v3, 2, v3
	v_or_b32_e32 v33, 4, v3
	v_lshlrev_b32_e32 v4, 2, v8
	v_mov_b32_e32 v5, 0
	v_or_b32_e32 v34, 0x7c, v3
	v_or_b32_e32 v3, v31, v0
	s_waitcnt lgkmcnt(0)
	v_lshl_add_u64 v[6:7], s[2:3], 0, v[4:5]
	v_mul_lo_u32 v4, v8, s18
	v_lshlrev_b32_e32 v35, 2, v3
	v_or_b32_e32 v3, 2, v0
	v_lshl_add_u64 v[8:9], v[4:5], 2, s[2:3]
	v_cmp_gt_u32_e64 s[2:3], s18, v3
	v_or_b32_e32 v3, 4, v0
	s_cmp_lg_u32 s4, 0
	v_cmp_gt_u32_e64 s[4:5], s18, v3
	v_or_b32_e32 v3, 6, v0
	v_cmp_gt_u32_e64 s[6:7], s18, v3
	v_or_b32_e32 v3, 8, v0
	;; [unrolled: 2-line block ×4, first 2 shown]
	s_cselect_b64 s[26:27], -1, 0
	v_cmp_gt_u32_e64 s[12:13], s18, v3
	v_or_b32_e32 v3, 14, v0
	s_abs_i32 s41, s18
	v_cmp_gt_u32_e64 s[14:15], s18, v3
	v_cvt_f32_u32_e32 v3, s41
	v_mul_lo_u32 v10, v0, s18
	s_lshl_b32 s28, s18, 1
	v_add_u32_e32 v12, s28, v10
	v_rcp_iflag_f32_e32 v3, v3
	v_add_u32_e32 v14, s28, v12
	v_add_u32_e32 v16, s28, v14
	;; [unrolled: 1-line block ×3, first 2 shown]
	v_mul_f32_e32 v3, 0x4f7ffffe, v3
	v_cvt_u32_f32_e32 v3, v3
	v_add_u32_e32 v20, s28, v18
	v_cmp_gt_u32_e64 s[0:1], s18, v0
	v_add_u32_e32 v22, s28, v20
	v_add_u32_e32 v24, s28, v22
	s_and_b64 s[28:29], s[0:1], vcc
	s_sub_i32 s0, 0, s41
	v_mul_lo_u32 v4, s0, v3
	v_mul_hi_u32 v4, v3, v4
	v_mov_b32_e32 v32, 0
	s_mul_hi_u32 s16, s18, s18
	s_mul_i32 s40, s18, s18
	v_mov_b32_e32 v11, v5
	v_mov_b32_e32 v13, v5
	;; [unrolled: 1-line block ×8, first 2 shown]
	s_and_b64 s[2:3], vcc, s[2:3]
	s_and_b64 s[4:5], vcc, s[4:5]
	;; [unrolled: 1-line block ×7, first 2 shown]
	s_ashr_i32 s42, s18, 31
	v_add_u32_e32 v37, v3, v4
	s_mov_b64 s[30:31], 0
	v_mov_b32_e32 v38, 1
	v_mov_b32_e32 v3, 0
	s_branch .LBB5_11
.LBB5_8:                                ;   in Loop: Header=BB5_11 Depth=1
	v_mov_b32_e32 v4, s38
.LBB5_9:                                ;   in Loop: Header=BB5_11 Depth=1
	s_or_b64 exec, exec, s[36:37]
.LBB5_10:                               ;   in Loop: Header=BB5_11 Depth=1
	s_or_b64 exec, exec, s[34:35]
	v_mov_b32_dpp v3, v39 row_shr:1 row_mask:0xf bank_mask:0xf
	v_min_i32_e32 v3, v3, v39
	v_add_u32_e32 v2, v4, v2
	s_waitcnt lgkmcnt(0)
	v_mov_b32_dpp v26, v3 row_shr:2 row_mask:0xf bank_mask:0xf
	v_min_i32_e32 v3, v26, v3
	s_nop 1
	v_mov_b32_dpp v26, v3 row_shr:4 row_mask:0xf bank_mask:0xe
	v_min_i32_e32 v3, v26, v3
	s_nop 1
	;; [unrolled: 3-line block ×3, first 2 shown]
	v_mov_b32_dpp v26, v3 row_bcast:15 row_mask:0xa bank_mask:0xf
	v_min_i32_e32 v3, v26, v3
	ds_bpermute_b32 v3, v34, v3
	s_waitcnt lgkmcnt(0)
	v_cmp_le_i32_e32 vcc, s17, v3
	s_or_b64 s[30:31], vcc, s[30:31]
	s_andn2_b64 exec, exec, s[30:31]
	s_cbranch_execz .LBB5_60
.LBB5_11:                               ; =>This Loop Header: Depth=1
                                        ;     Child Loop BB5_14 Depth 2
	v_add_u32_e32 v26, v36, v0
	v_cmp_lt_i32_e32 vcc, v26, v30
	v_mov_b32_e32 v39, s17
	v_mov_b32_e32 v28, v30
	ds_write_b8 v1, v32 offset:8192
	ds_write2_b32 v35, v5, v5 offset1:2
	ds_write2_b32 v35, v5, v5 offset0:4 offset1:6
	ds_write2_b32 v35, v5, v5 offset0:8 offset1:10
	;; [unrolled: 1-line block ×3, first 2 shown]
	s_waitcnt lgkmcnt(0)
	s_and_saveexec_b64 s[34:35], vcc
	s_cbranch_execz .LBB5_19
; %bb.12:                               ;   in Loop: Header=BB5_11 Depth=1
	v_mul_lo_u32 v4, v3, s18
	s_mov_b64 s[36:37], 0
	v_mov_b32_e32 v39, s17
	v_mov_b32_e32 v28, v30
	s_branch .LBB5_14
.LBB5_13:                               ;   in Loop: Header=BB5_14 Depth=2
	s_or_b64 exec, exec, s[0:1]
	v_add_u32_e32 v26, 2, v26
	v_cmp_ge_i32_e64 s[0:1], v26, v30
	s_xor_b64 s[38:39], vcc, -1
	s_or_b64 s[0:1], s[38:39], s[0:1]
	s_and_b64 s[0:1], exec, s[0:1]
	s_or_b64 s[36:37], s[0:1], s[36:37]
	s_andn2_b64 exec, exec, s[36:37]
	s_cbranch_execz .LBB5_18
.LBB5_14:                               ;   Parent Loop BB5_11 Depth=1
                                        ; =>  This Inner Loop Header: Depth=2
	v_ashrrev_i32_e32 v27, 31, v26
	v_lshl_add_u64 v[40:41], v[26:27], 2, s[24:25]
	global_load_dword v29, v[40:41], off
	s_waitcnt vmcnt(0)
	v_subrev_u32_e32 v29, s19, v29
	v_sub_u32_e32 v40, 0, v29
	v_max_i32_e32 v40, v29, v40
	v_mul_hi_u32 v41, v40, v37
	v_mul_lo_u32 v42, v41, s41
	v_sub_u32_e32 v40, v40, v42
	v_add_u32_e32 v43, 1, v41
	v_cmp_le_u32_e32 vcc, s41, v40
	v_subrev_u32_e32 v42, s41, v40
	v_ashrrev_i32_e32 v36, 31, v29
	v_cndmask_b32_e32 v41, v41, v43, vcc
	v_cndmask_b32_e32 v40, v40, v42, vcc
	v_add_u32_e32 v42, 1, v41
	v_cmp_le_u32_e32 vcc, s41, v40
	v_xor_b32_e32 v36, s42, v36
	s_nop 0
	v_cndmask_b32_e32 v40, v41, v42, vcc
	v_xor_b32_e32 v40, v40, v36
	v_sub_u32_e32 v40, v40, v36
	v_cmp_eq_u32_e32 vcc, v40, v3
	v_cmp_ne_u32_e64 s[0:1], v40, v3
	v_mov_b32_e32 v36, v28
	s_and_saveexec_b64 s[38:39], s[0:1]
	s_xor_b64 s[0:1], exec, s[38:39]
; %bb.15:                               ;   in Loop: Header=BB5_14 Depth=2
	v_min_i32_e32 v39, v40, v39
                                        ; implicit-def: $vgpr29
                                        ; implicit-def: $vgpr36
; %bb.16:                               ;   in Loop: Header=BB5_14 Depth=2
	s_or_saveexec_b64 s[0:1], s[0:1]
	v_mov_b32_e32 v28, v26
	s_xor_b64 exec, exec, s[0:1]
	s_cbranch_execz .LBB5_13
; %bb.17:                               ;   in Loop: Header=BB5_14 Depth=2
	v_lshl_add_u64 v[40:41], v[26:27], 2, s[20:21]
	global_load_dword v27, v[40:41], off
	v_sub_u32_e32 v28, v29, v4
	v_add_lshl_u32 v28, v31, v28, 2
	ds_write_b8 v1, v38 offset:8192
	s_waitcnt vmcnt(0)
	ds_write_b32 v28, v27
	v_mov_b32_e32 v28, v36
	s_branch .LBB5_13
.LBB5_18:                               ;   in Loop: Header=BB5_11 Depth=1
	s_or_b64 exec, exec, s[36:37]
.LBB5_19:                               ;   in Loop: Header=BB5_11 Depth=1
	s_or_b64 exec, exec, s[34:35]
	s_waitcnt lgkmcnt(0)
	ds_read_u8 v4, v1 offset:8192
	v_mov_b32_dpp v26, v28 row_shr:1 row_mask:0xf bank_mask:0xf
	v_min_i32_e32 v26, v26, v28
	ds_bpermute_b32 v36, v33, v26
	s_waitcnt lgkmcnt(1)
	v_and_b32_e32 v4, 1, v4
	v_cmp_eq_u32_e32 vcc, 1, v4
	v_mov_b32_e32 v4, 0
	s_and_saveexec_b64 s[34:35], vcc
	s_cbranch_execz .LBB5_10
; %bb.20:                               ;   in Loop: Header=BB5_11 Depth=1
	v_add_u32_e32 v4, s33, v3
	v_ashrrev_i32_e32 v3, 31, v2
	v_lshl_add_u64 v[26:27], v[2:3], 2, s[22:23]
	global_store_dword v[26:27], v4, off
	v_mul_lo_u32 v4, s16, v2
	v_mul_lo_u32 v3, s40, v3
	v_mad_u64_u32 v[26:27], s[0:1], s40, v2, 0
	v_add3_u32 v27, v27, v3, v4
	v_lshlrev_b64 v[26:27], 2, v[26:27]
	v_lshl_add_u64 v[28:29], v[6:7], 0, v[26:27]
	v_lshl_add_u64 v[26:27], v[8:9], 0, v[26:27]
	s_and_saveexec_b64 s[0:1], s[28:29]
	s_cbranch_execz .LBB5_24
; %bb.21:                               ;   in Loop: Header=BB5_11 Depth=1
	s_and_b64 vcc, exec, s[26:27]
	s_cbranch_vccz .LBB5_51
; %bb.22:                               ;   in Loop: Header=BB5_11 Depth=1
	ds_read_b32 v3, v35
	v_lshl_add_u64 v[40:41], v[10:11], 2, v[28:29]
	s_waitcnt lgkmcnt(0)
	global_store_dword v[40:41], v3, off
	s_cbranch_execnz .LBB5_24
.LBB5_23:                               ;   in Loop: Header=BB5_11 Depth=1
	ds_read_b32 v3, v35
	v_lshlrev_b32_e32 v4, 2, v0
	v_lshl_add_u64 v[40:41], v[26:27], 0, v[4:5]
	s_waitcnt lgkmcnt(0)
	global_store_dword v[40:41], v3, off
.LBB5_24:                               ;   in Loop: Header=BB5_11 Depth=1
	s_or_b64 exec, exec, s[0:1]
	v_cndmask_b32_e64 v3, 0, 1, s[26:27]
	v_cmp_ne_u32_e64 s[0:1], 1, v3
	s_and_saveexec_b64 s[36:37], s[2:3]
	s_cbranch_execz .LBB5_28
; %bb.25:                               ;   in Loop: Header=BB5_11 Depth=1
	s_and_b64 vcc, exec, s[0:1]
	s_cbranch_vccnz .LBB5_52
; %bb.26:                               ;   in Loop: Header=BB5_11 Depth=1
	ds_read_b32 v3, v35 offset:8
	v_lshl_add_u64 v[40:41], v[12:13], 2, v[28:29]
	s_waitcnt lgkmcnt(0)
	global_store_dword v[40:41], v3, off
	s_cbranch_execnz .LBB5_28
.LBB5_27:                               ;   in Loop: Header=BB5_11 Depth=1
	ds_read_b32 v3, v35 offset:8
	v_lshlrev_b32_e32 v4, 2, v0
	v_lshl_add_u64 v[40:41], v[26:27], 0, v[4:5]
	s_waitcnt lgkmcnt(0)
	global_store_dword v[40:41], v3, off offset:8
.LBB5_28:                               ;   in Loop: Header=BB5_11 Depth=1
	s_or_b64 exec, exec, s[36:37]
	s_and_saveexec_b64 s[36:37], s[4:5]
	s_cbranch_execz .LBB5_32
; %bb.29:                               ;   in Loop: Header=BB5_11 Depth=1
	s_and_b64 vcc, exec, s[0:1]
	s_cbranch_vccnz .LBB5_53
; %bb.30:                               ;   in Loop: Header=BB5_11 Depth=1
	ds_read_b32 v3, v35 offset:16
	v_lshl_add_u64 v[40:41], v[14:15], 2, v[28:29]
	s_waitcnt lgkmcnt(0)
	global_store_dword v[40:41], v3, off
	s_cbranch_execnz .LBB5_32
.LBB5_31:                               ;   in Loop: Header=BB5_11 Depth=1
	ds_read_b32 v3, v35 offset:16
	v_lshlrev_b32_e32 v4, 2, v0
	v_lshl_add_u64 v[40:41], v[26:27], 0, v[4:5]
	s_waitcnt lgkmcnt(0)
	global_store_dword v[40:41], v3, off offset:16
.LBB5_32:                               ;   in Loop: Header=BB5_11 Depth=1
	s_or_b64 exec, exec, s[36:37]
	s_and_saveexec_b64 s[36:37], s[6:7]
	s_cbranch_execz .LBB5_36
; %bb.33:                               ;   in Loop: Header=BB5_11 Depth=1
	s_and_b64 vcc, exec, s[0:1]
	s_cbranch_vccnz .LBB5_54
; %bb.34:                               ;   in Loop: Header=BB5_11 Depth=1
	ds_read_b32 v3, v35 offset:24
	v_lshl_add_u64 v[40:41], v[16:17], 2, v[28:29]
	s_waitcnt lgkmcnt(0)
	global_store_dword v[40:41], v3, off
	s_cbranch_execnz .LBB5_36
.LBB5_35:                               ;   in Loop: Header=BB5_11 Depth=1
	ds_read_b32 v3, v35 offset:24
	v_lshlrev_b32_e32 v4, 2, v0
	v_lshl_add_u64 v[40:41], v[26:27], 0, v[4:5]
	s_waitcnt lgkmcnt(0)
	global_store_dword v[40:41], v3, off offset:24
.LBB5_36:                               ;   in Loop: Header=BB5_11 Depth=1
	s_or_b64 exec, exec, s[36:37]
	s_and_saveexec_b64 s[36:37], s[8:9]
	s_cbranch_execz .LBB5_40
; %bb.37:                               ;   in Loop: Header=BB5_11 Depth=1
	s_and_b64 vcc, exec, s[0:1]
	s_cbranch_vccnz .LBB5_55
; %bb.38:                               ;   in Loop: Header=BB5_11 Depth=1
	ds_read_b32 v3, v35 offset:32
	v_lshl_add_u64 v[40:41], v[18:19], 2, v[28:29]
	s_waitcnt lgkmcnt(0)
	global_store_dword v[40:41], v3, off
	s_cbranch_execnz .LBB5_40
.LBB5_39:                               ;   in Loop: Header=BB5_11 Depth=1
	ds_read_b32 v3, v35 offset:32
	v_lshlrev_b32_e32 v4, 2, v0
	v_lshl_add_u64 v[40:41], v[26:27], 0, v[4:5]
	s_waitcnt lgkmcnt(0)
	global_store_dword v[40:41], v3, off offset:32
.LBB5_40:                               ;   in Loop: Header=BB5_11 Depth=1
	s_or_b64 exec, exec, s[36:37]
	s_and_saveexec_b64 s[36:37], s[10:11]
	s_cbranch_execz .LBB5_44
; %bb.41:                               ;   in Loop: Header=BB5_11 Depth=1
	s_and_b64 vcc, exec, s[0:1]
	s_cbranch_vccnz .LBB5_56
; %bb.42:                               ;   in Loop: Header=BB5_11 Depth=1
	ds_read_b32 v3, v35 offset:40
	v_lshl_add_u64 v[40:41], v[20:21], 2, v[28:29]
	s_waitcnt lgkmcnt(0)
	global_store_dword v[40:41], v3, off
	s_cbranch_execnz .LBB5_44
.LBB5_43:                               ;   in Loop: Header=BB5_11 Depth=1
	ds_read_b32 v3, v35 offset:40
	v_lshlrev_b32_e32 v4, 2, v0
	v_lshl_add_u64 v[40:41], v[26:27], 0, v[4:5]
	s_waitcnt lgkmcnt(0)
	global_store_dword v[40:41], v3, off offset:40
.LBB5_44:                               ;   in Loop: Header=BB5_11 Depth=1
	s_or_b64 exec, exec, s[36:37]
	s_and_saveexec_b64 s[36:37], s[12:13]
	s_cbranch_execz .LBB5_48
; %bb.45:                               ;   in Loop: Header=BB5_11 Depth=1
	s_and_b64 vcc, exec, s[0:1]
	s_cbranch_vccnz .LBB5_57
; %bb.46:                               ;   in Loop: Header=BB5_11 Depth=1
	ds_read_b32 v3, v35 offset:48
	v_lshl_add_u64 v[40:41], v[22:23], 2, v[28:29]
	s_waitcnt lgkmcnt(0)
	global_store_dword v[40:41], v3, off
	s_cbranch_execnz .LBB5_48
.LBB5_47:                               ;   in Loop: Header=BB5_11 Depth=1
	ds_read_b32 v3, v35 offset:48
	v_lshlrev_b32_e32 v4, 2, v0
	v_lshl_add_u64 v[40:41], v[26:27], 0, v[4:5]
	s_waitcnt lgkmcnt(0)
	global_store_dword v[40:41], v3, off offset:48
.LBB5_48:                               ;   in Loop: Header=BB5_11 Depth=1
	s_or_b64 exec, exec, s[36:37]
	v_mov_b32_e32 v4, 1
	s_and_saveexec_b64 s[36:37], s[14:15]
	s_cbranch_execz .LBB5_9
; %bb.49:                               ;   in Loop: Header=BB5_11 Depth=1
	s_and_b64 vcc, exec, s[0:1]
	s_cbranch_vccnz .LBB5_58
; %bb.50:                               ;   in Loop: Header=BB5_11 Depth=1
	ds_read_b32 v3, v35 offset:56
	v_lshl_add_u64 v[28:29], v[24:25], 2, v[28:29]
	s_mov_b32 s38, 1
	s_waitcnt lgkmcnt(0)
	global_store_dword v[28:29], v3, off
	s_cbranch_execnz .LBB5_8
	s_branch .LBB5_59
.LBB5_51:                               ;   in Loop: Header=BB5_11 Depth=1
	s_branch .LBB5_23
.LBB5_52:                               ;   in Loop: Header=BB5_11 Depth=1
	s_branch .LBB5_27
.LBB5_53:                               ;   in Loop: Header=BB5_11 Depth=1
	s_branch .LBB5_31
.LBB5_54:                               ;   in Loop: Header=BB5_11 Depth=1
	s_branch .LBB5_35
.LBB5_55:                               ;   in Loop: Header=BB5_11 Depth=1
	s_branch .LBB5_39
.LBB5_56:                               ;   in Loop: Header=BB5_11 Depth=1
	s_branch .LBB5_43
.LBB5_57:                               ;   in Loop: Header=BB5_11 Depth=1
	s_branch .LBB5_47
.LBB5_58:                               ;   in Loop: Header=BB5_11 Depth=1
                                        ; implicit-def: $sgpr38
.LBB5_59:                               ;   in Loop: Header=BB5_11 Depth=1
	ds_read_b32 v3, v35 offset:56
	v_lshlrev_b32_e32 v4, 2, v0
	v_lshl_add_u64 v[26:27], v[26:27], 0, v[4:5]
	s_mov_b32 s38, 1
	s_waitcnt lgkmcnt(0)
	global_store_dword v[26:27], v3, off offset:56
	s_branch .LBB5_8
.LBB5_60:
	s_endpgm
	.section	.rodata,"a",@progbits
	.p2align	6, 0x0
	.amdhsa_kernel _ZN9rocsparseL42csr2bsr_wavefront_per_row_multipass_kernelILj256ELj32ELj16EiiiEEv20rocsparse_direction_T4_S2_S2_S2_S2_21rocsparse_index_base_PKT2_PKT3_PKS2_S3_PS4_PS7_PS2_
		.amdhsa_group_segment_fixed_size 8200
		.amdhsa_private_segment_fixed_size 0
		.amdhsa_kernarg_size 88
		.amdhsa_user_sgpr_count 2
		.amdhsa_user_sgpr_dispatch_ptr 0
		.amdhsa_user_sgpr_queue_ptr 0
		.amdhsa_user_sgpr_kernarg_segment_ptr 1
		.amdhsa_user_sgpr_dispatch_id 0
		.amdhsa_user_sgpr_kernarg_preload_length 0
		.amdhsa_user_sgpr_kernarg_preload_offset 0
		.amdhsa_user_sgpr_private_segment_size 0
		.amdhsa_uses_dynamic_stack 0
		.amdhsa_enable_private_segment 0
		.amdhsa_system_sgpr_workgroup_id_x 1
		.amdhsa_system_sgpr_workgroup_id_y 0
		.amdhsa_system_sgpr_workgroup_id_z 0
		.amdhsa_system_sgpr_workgroup_info 0
		.amdhsa_system_vgpr_workitem_id 0
		.amdhsa_next_free_vgpr 44
		.amdhsa_next_free_sgpr 43
		.amdhsa_accum_offset 44
		.amdhsa_reserve_vcc 1
		.amdhsa_float_round_mode_32 0
		.amdhsa_float_round_mode_16_64 0
		.amdhsa_float_denorm_mode_32 3
		.amdhsa_float_denorm_mode_16_64 3
		.amdhsa_dx10_clamp 1
		.amdhsa_ieee_mode 1
		.amdhsa_fp16_overflow 0
		.amdhsa_tg_split 0
		.amdhsa_exception_fp_ieee_invalid_op 0
		.amdhsa_exception_fp_denorm_src 0
		.amdhsa_exception_fp_ieee_div_zero 0
		.amdhsa_exception_fp_ieee_overflow 0
		.amdhsa_exception_fp_ieee_underflow 0
		.amdhsa_exception_fp_ieee_inexact 0
		.amdhsa_exception_int_div_zero 0
	.end_amdhsa_kernel
	.section	.text._ZN9rocsparseL42csr2bsr_wavefront_per_row_multipass_kernelILj256ELj32ELj16EiiiEEv20rocsparse_direction_T4_S2_S2_S2_S2_21rocsparse_index_base_PKT2_PKT3_PKS2_S3_PS4_PS7_PS2_,"axG",@progbits,_ZN9rocsparseL42csr2bsr_wavefront_per_row_multipass_kernelILj256ELj32ELj16EiiiEEv20rocsparse_direction_T4_S2_S2_S2_S2_21rocsparse_index_base_PKT2_PKT3_PKS2_S3_PS4_PS7_PS2_,comdat
.Lfunc_end5:
	.size	_ZN9rocsparseL42csr2bsr_wavefront_per_row_multipass_kernelILj256ELj32ELj16EiiiEEv20rocsparse_direction_T4_S2_S2_S2_S2_21rocsparse_index_base_PKT2_PKT3_PKS2_S3_PS4_PS7_PS2_, .Lfunc_end5-_ZN9rocsparseL42csr2bsr_wavefront_per_row_multipass_kernelILj256ELj32ELj16EiiiEEv20rocsparse_direction_T4_S2_S2_S2_S2_21rocsparse_index_base_PKT2_PKT3_PKS2_S3_PS4_PS7_PS2_
                                        ; -- End function
	.section	.AMDGPU.csdata,"",@progbits
; Kernel info:
; codeLenInByte = 1988
; NumSgprs: 49
; NumVgprs: 44
; NumAgprs: 0
; TotalNumVgprs: 44
; ScratchSize: 0
; MemoryBound: 0
; FloatMode: 240
; IeeeMode: 1
; LDSByteSize: 8200 bytes/workgroup (compile time only)
; SGPRBlocks: 6
; VGPRBlocks: 5
; NumSGPRsForWavesPerEU: 49
; NumVGPRsForWavesPerEU: 44
; AccumOffset: 44
; Occupancy: 7
; WaveLimiterHint : 0
; COMPUTE_PGM_RSRC2:SCRATCH_EN: 0
; COMPUTE_PGM_RSRC2:USER_SGPR: 2
; COMPUTE_PGM_RSRC2:TRAP_HANDLER: 0
; COMPUTE_PGM_RSRC2:TGID_X_EN: 1
; COMPUTE_PGM_RSRC2:TGID_Y_EN: 0
; COMPUTE_PGM_RSRC2:TGID_Z_EN: 0
; COMPUTE_PGM_RSRC2:TIDIG_COMP_CNT: 0
; COMPUTE_PGM_RSRC3_GFX90A:ACCUM_OFFSET: 10
; COMPUTE_PGM_RSRC3_GFX90A:TG_SPLIT: 0
	.section	.text._ZN9rocsparseL38csr2bsr_block_per_row_multipass_kernelILj256ELj32EiiiEEv20rocsparse_direction_T3_S2_S2_S2_S2_21rocsparse_index_base_PKT1_PKT2_PKS2_S3_PS4_PS7_PS2_,"axG",@progbits,_ZN9rocsparseL38csr2bsr_block_per_row_multipass_kernelILj256ELj32EiiiEEv20rocsparse_direction_T3_S2_S2_S2_S2_21rocsparse_index_base_PKT1_PKT2_PKS2_S3_PS4_PS7_PS2_,comdat
	.globl	_ZN9rocsparseL38csr2bsr_block_per_row_multipass_kernelILj256ELj32EiiiEEv20rocsparse_direction_T3_S2_S2_S2_S2_21rocsparse_index_base_PKT1_PKT2_PKS2_S3_PS4_PS7_PS2_ ; -- Begin function _ZN9rocsparseL38csr2bsr_block_per_row_multipass_kernelILj256ELj32EiiiEEv20rocsparse_direction_T3_S2_S2_S2_S2_21rocsparse_index_base_PKT1_PKT2_PKS2_S3_PS4_PS7_PS2_
	.p2align	8
	.type	_ZN9rocsparseL38csr2bsr_block_per_row_multipass_kernelILj256ELj32EiiiEEv20rocsparse_direction_T3_S2_S2_S2_S2_21rocsparse_index_base_PKT1_PKT2_PKS2_S3_PS4_PS7_PS2_,@function
_ZN9rocsparseL38csr2bsr_block_per_row_multipass_kernelILj256ELj32EiiiEEv20rocsparse_direction_T3_S2_S2_S2_S2_21rocsparse_index_base_PKT1_PKT2_PKS2_S3_PS4_PS7_PS2_: ; @_ZN9rocsparseL38csr2bsr_block_per_row_multipass_kernelILj256ELj32EiiiEEv20rocsparse_direction_T3_S2_S2_S2_S2_21rocsparse_index_base_PKT1_PKT2_PKS2_S3_PS4_PS7_PS2_
; %bb.0:
	s_load_dwordx4 s[20:23], s[0:1], 0x10
	s_load_dwordx2 s[6:7], s[0:1], 0x0
	s_load_dwordx2 s[8:9], s[0:1], 0x28
	v_lshrrev_b32_e32 v1, 3, v0
	v_mov_b32_e32 v16, 0
	s_waitcnt lgkmcnt(0)
	s_mul_i32 s3, s2, s21
	v_add_u32_e32 v2, s3, v1
	v_cmp_gt_i32_e64 s[4:5], s7, v2
	v_cmp_gt_i32_e32 vcc, s21, v1
	s_and_b64 s[4:5], vcc, s[4:5]
	v_mov_b32_e32 v25, 0
	s_and_saveexec_b64 s[10:11], s[4:5]
	s_cbranch_execnz .LBB6_3
; %bb.1:
	s_or_b64 exec, exec, s[10:11]
	s_and_saveexec_b64 s[10:11], s[4:5]
	s_cbranch_execnz .LBB6_4
.LBB6_2:
	s_or_b64 exec, exec, s[10:11]
	s_cmp_lt_i32 s20, 1
	s_cbranch_scc0 .LBB6_5
	s_branch .LBB6_41
.LBB6_3:
	v_ashrrev_i32_e32 v3, 31, v2
	v_lshl_add_u64 v[4:5], v[2:3], 2, s[8:9]
	global_load_dword v3, v[4:5], off
	s_waitcnt vmcnt(0)
	v_subrev_u32_e32 v25, s22, v3
	s_or_b64 exec, exec, s[10:11]
	s_and_saveexec_b64 s[10:11], s[4:5]
	s_cbranch_execz .LBB6_2
.LBB6_4:
	v_ashrrev_i32_e32 v3, 31, v2
	v_lshl_add_u64 v[2:3], v[2:3], 2, s[8:9]
	global_load_dword v2, v[2:3], off offset:4
	s_waitcnt vmcnt(0)
	v_subrev_u32_e32 v16, s22, v2
	s_or_b64 exec, exec, s[10:11]
	s_cmp_lt_i32 s20, 1
	s_cbranch_scc1 .LBB6_41
.LBB6_5:
	s_load_dwordx4 s[8:11], s[0:1], 0x40
	s_load_dwordx2 s[24:25], s[0:1], 0x50
	s_load_dword s23, s[0:1], 0x38
	s_ashr_i32 s3, s2, 31
	s_lshl_b64 s[2:3], s[2:3], 2
	s_waitcnt lgkmcnt(0)
	s_add_u32 s2, s10, s2
	s_addc_u32 s3, s11, s3
	s_load_dword s4, s[2:3], 0x0
	s_load_dwordx2 s[26:27], s[0:1], 0x20
	s_load_dwordx2 s[28:29], s[0:1], 0x30
	v_mbcnt_lo_u32_b32 v2, -1, 0
	v_mbcnt_hi_u32_b32 v2, -1, v2
	s_waitcnt lgkmcnt(0)
	s_sub_i32 s30, s4, s23
	s_cmp_eq_u32 s6, 0
	s_cselect_b64 s[0:1], -1, 0
	s_abs_i32 s49, s21
	v_cvt_f32_u32_e32 v10, s49
	v_lshl_or_b32 v20, v2, 2, 28
	v_lshlrev_b32_e32 v2, 2, v1
	v_mov_b32_e32 v3, 0
	v_and_b32_e32 v17, 7, v0
	v_lshlrev_b32_e32 v18, 5, v1
	v_lshl_add_u64 v[4:5], s[8:9], 0, v[2:3]
	v_mul_lo_u32 v2, v1, s21
	s_movk_i32 s2, 0x80
	v_lshl_add_u64 v[6:7], v[2:3], 2, s[8:9]
	v_lshlrev_b32_e32 v21, 2, v0
	v_cmp_gt_u32_e64 s[2:3], s2, v0
	v_cmp_gt_u32_e64 s[4:5], 64, v0
	;; [unrolled: 1-line block ×7, first 2 shown]
	v_cmp_eq_u32_e64 s[16:17], 0, v0
	v_or_b32_e32 v0, v18, v17
	v_rcp_iflag_f32_e32 v12, v10
	v_lshlrev_b32_e32 v22, 2, v0
	v_cmp_gt_u32_e64 s[18:19], s21, v17
	v_or_b32_e32 v0, 8, v17
	s_and_b64 s[34:35], vcc, s[18:19]
	v_cmp_gt_u32_e64 s[18:19], s21, v0
	v_or_b32_e32 v8, 16, v17
	s_and_b64 s[36:37], vcc, s[18:19]
	v_cmp_gt_u32_e64 s[18:19], s21, v8
	v_or_b32_e32 v11, 24, v17
	s_and_b64 s[38:39], vcc, s[18:19]
	v_cmp_gt_u32_e64 s[18:19], s21, v11
	v_mul_f32_e32 v11, 0x4f7ffffe, v12
	v_cvt_u32_f32_e32 v12, v11
	v_lshlrev_b32_e32 v2, 2, v17
	v_lshl_add_u64 v[6:7], v[6:7], 0, v[2:3]
	v_mul_lo_u32 v2, v17, s21
	s_lshl_b32 s31, s21, 3
	s_and_b64 s[40:41], vcc, s[18:19]
	s_sub_i32 s18, 0, s49
	v_add_u32_e32 v0, s31, v2
	v_mul_lo_u32 v13, s18, v12
	v_add_u32_e32 v8, s31, v0
	v_mul_hi_u32 v13, v12, v13
	v_mov_b32_e32 v19, 0
	s_mul_hi_u32 s33, s21, s21
	s_mul_i32 s48, s21, s21
	v_mov_b32_e32 v1, v3
	v_mov_b32_e32 v9, v3
	v_add_u32_e32 v10, s31, v8
	v_mov_b32_e32 v11, v3
	s_ashr_i32 s50, s21, 31
	v_add_u32_e32 v23, v12, v13
	s_mov_b64 s[42:43], 0x60
	v_mov_b32_e32 v24, 1
	v_mov_b32_e32 v14, 0
	s_branch .LBB6_7
.LBB6_6:                                ;   in Loop: Header=BB6_7 Depth=1
	s_or_b64 exec, exec, s[18:19]
	s_waitcnt lgkmcnt(0)
	s_barrier
	ds_read_b32 v14, v3
	s_add_i32 s30, s31, s30
	s_waitcnt lgkmcnt(0)
	s_barrier
	v_cmp_gt_i32_e32 vcc, s20, v14
	s_cbranch_vccz .LBB6_41
.LBB6_7:                                ; =>This Loop Header: Depth=1
                                        ;     Child Loop BB6_10 Depth 2
	v_add_u32_e32 v12, v25, v17
	v_cmp_lt_i32_e32 vcc, v12, v16
	v_mov_b32_e32 v26, s20
	v_mov_b32_e32 v25, v16
	ds_write_b8 v3, v19 offset:4096
	ds_write2_b32 v22, v3, v3 offset1:8
	ds_write2_b32 v22, v3, v3 offset0:16 offset1:24
	s_waitcnt lgkmcnt(0)
	s_barrier
	s_and_saveexec_b64 s[44:45], vcc
	s_cbranch_execz .LBB6_15
; %bb.8:                                ;   in Loop: Header=BB6_7 Depth=1
	v_mul_lo_u32 v15, v14, s21
	s_mov_b64 s[46:47], 0
	v_mov_b32_e32 v26, s20
	v_mov_b32_e32 v25, v16
	s_branch .LBB6_10
.LBB6_9:                                ;   in Loop: Header=BB6_10 Depth=2
	s_or_b64 exec, exec, s[18:19]
	v_add_u32_e32 v12, 8, v12
	v_cmp_ge_i32_e64 s[18:19], v12, v16
	s_xor_b64 s[52:53], vcc, -1
	s_or_b64 s[18:19], s[52:53], s[18:19]
	s_and_b64 s[18:19], exec, s[18:19]
	s_or_b64 s[46:47], s[18:19], s[46:47]
	s_andn2_b64 exec, exec, s[46:47]
	s_cbranch_execz .LBB6_14
.LBB6_10:                               ;   Parent Loop BB6_7 Depth=1
                                        ; =>  This Inner Loop Header: Depth=2
	v_ashrrev_i32_e32 v13, 31, v12
	v_lshl_add_u64 v[28:29], v[12:13], 2, s[28:29]
	global_load_dword v27, v[28:29], off
	s_waitcnt vmcnt(0)
	v_subrev_u32_e32 v27, s22, v27
	v_sub_u32_e32 v29, 0, v27
	v_max_i32_e32 v29, v27, v29
	v_mul_hi_u32 v30, v29, v23
	v_mul_lo_u32 v31, v30, s49
	v_sub_u32_e32 v29, v29, v31
	v_add_u32_e32 v32, 1, v30
	v_cmp_le_u32_e32 vcc, s49, v29
	v_subrev_u32_e32 v31, s49, v29
	v_ashrrev_i32_e32 v28, 31, v27
	v_cndmask_b32_e32 v30, v30, v32, vcc
	v_cndmask_b32_e32 v29, v29, v31, vcc
	v_add_u32_e32 v31, 1, v30
	v_cmp_le_u32_e32 vcc, s49, v29
	v_xor_b32_e32 v28, s50, v28
	s_nop 0
	v_cndmask_b32_e32 v29, v30, v31, vcc
	v_xor_b32_e32 v29, v29, v28
	v_sub_u32_e32 v29, v29, v28
	v_cmp_eq_u32_e32 vcc, v29, v14
	v_cmp_ne_u32_e64 s[18:19], v29, v14
	v_mov_b32_e32 v28, v25
	s_and_saveexec_b64 s[52:53], s[18:19]
	s_xor_b64 s[18:19], exec, s[52:53]
; %bb.11:                               ;   in Loop: Header=BB6_10 Depth=2
	v_min_i32_e32 v26, v29, v26
                                        ; implicit-def: $vgpr27
                                        ; implicit-def: $vgpr28
; %bb.12:                               ;   in Loop: Header=BB6_10 Depth=2
	s_or_saveexec_b64 s[18:19], s[18:19]
	v_mov_b32_e32 v25, v12
	s_xor_b64 exec, exec, s[18:19]
	s_cbranch_execz .LBB6_9
; %bb.13:                               ;   in Loop: Header=BB6_10 Depth=2
	v_lshl_add_u64 v[30:31], v[12:13], 2, s[26:27]
	global_load_dword v13, v[30:31], off
	v_sub_u32_e32 v25, v27, v15
	v_add_lshl_u32 v25, v25, v18, 2
	ds_write_b8 v3, v24 offset:4096
	s_waitcnt vmcnt(0)
	ds_write_b32 v25, v13
	v_mov_b32_e32 v25, v28
	s_branch .LBB6_9
.LBB6_14:                               ;   in Loop: Header=BB6_7 Depth=1
	s_or_b64 exec, exec, s[46:47]
.LBB6_15:                               ;   in Loop: Header=BB6_7 Depth=1
	s_or_b64 exec, exec, s[44:45]
	v_mov_b32_dpp v12, v25 row_shr:1 row_mask:0xf bank_mask:0xf
	v_min_i32_e32 v12, v12, v25
	s_waitcnt lgkmcnt(0)
	s_barrier
	v_mov_b32_dpp v13, v12 row_shr:2 row_mask:0xf bank_mask:0xf
	v_min_i32_e32 v12, v13, v12
	ds_read_u8 v13, v3 offset:4096
	s_nop 0
	v_mov_b32_dpp v15, v12 row_shr:4 row_mask:0xf bank_mask:0xe
	v_min_i32_e32 v12, v15, v12
	ds_bpermute_b32 v25, v20, v12
	s_mov_b32 s31, 0
	s_waitcnt lgkmcnt(1)
	v_cmp_eq_u32_e32 vcc, 0, v13
	s_cbranch_vccnz .LBB6_22
; %bb.16:                               ;   in Loop: Header=BB6_7 Depth=1
	s_ashr_i32 s31, s30, 31
	s_lshl_b64 s[18:19], s[30:31], 2
	s_add_u32 s18, s24, s18
	v_add_u32_e32 v12, s23, v14
	s_addc_u32 s19, s25, s19
	global_store_dword v3, v12, s[18:19]
	s_mul_hi_u32 s18, s48, s30
	s_mul_i32 s19, s48, s31
	s_add_i32 s18, s18, s19
	s_mul_i32 s19, s33, s30
	s_add_i32 s19, s18, s19
	s_mul_i32 s18, s48, s30
	s_lshl_b64 s[18:19], s[18:19], 2
	v_lshl_add_u64 v[12:13], v[4:5], 0, s[18:19]
	v_lshl_add_u64 v[14:15], v[6:7], 0, s[18:19]
	s_and_saveexec_b64 s[18:19], s[34:35]
	s_cbranch_execnz .LBB6_38
; %bb.17:                               ;   in Loop: Header=BB6_7 Depth=1
	s_or_b64 exec, exec, s[18:19]
	s_and_saveexec_b64 s[18:19], s[36:37]
	s_cbranch_execnz .LBB6_39
.LBB6_18:                               ;   in Loop: Header=BB6_7 Depth=1
	s_or_b64 exec, exec, s[18:19]
	s_and_saveexec_b64 s[18:19], s[38:39]
	s_cbranch_execnz .LBB6_40
.LBB6_19:                               ;   in Loop: Header=BB6_7 Depth=1
	s_or_b64 exec, exec, s[18:19]
	s_and_saveexec_b64 s[18:19], s[40:41]
	s_cbranch_execz .LBB6_21
.LBB6_20:                               ;   in Loop: Header=BB6_7 Depth=1
	ds_read_b32 v27, v22 offset:96
	v_lshl_add_u64 v[14:15], v[14:15], 0, s[42:43]
	v_lshl_add_u64 v[12:13], v[10:11], 2, v[12:13]
	v_cndmask_b32_e64 v13, v13, v15, s[0:1]
	v_cndmask_b32_e64 v12, v12, v14, s[0:1]
	s_waitcnt lgkmcnt(0)
	global_store_dword v[12:13], v27, off
.LBB6_21:                               ;   in Loop: Header=BB6_7 Depth=1
	s_or_b64 exec, exec, s[18:19]
	s_mov_b32 s31, 1
.LBB6_22:                               ;   in Loop: Header=BB6_7 Depth=1
	s_waitcnt lgkmcnt(0)
	s_barrier
	ds_write_b32 v21, v26
	s_waitcnt lgkmcnt(0)
	s_barrier
	s_and_saveexec_b64 s[18:19], s[2:3]
	s_cbranch_execz .LBB6_24
; %bb.23:                               ;   in Loop: Header=BB6_7 Depth=1
	ds_read2st64_b32 v[12:13], v21 offset1:2
	s_waitcnt lgkmcnt(0)
	v_min_i32_e32 v12, v13, v12
	ds_write_b32 v21, v12
.LBB6_24:                               ;   in Loop: Header=BB6_7 Depth=1
	s_or_b64 exec, exec, s[18:19]
	s_waitcnt lgkmcnt(0)
	s_barrier
	s_and_saveexec_b64 s[18:19], s[4:5]
	s_cbranch_execz .LBB6_26
; %bb.25:                               ;   in Loop: Header=BB6_7 Depth=1
	ds_read2st64_b32 v[12:13], v21 offset1:1
	s_waitcnt lgkmcnt(0)
	v_min_i32_e32 v12, v13, v12
	ds_write_b32 v21, v12
.LBB6_26:                               ;   in Loop: Header=BB6_7 Depth=1
	s_or_b64 exec, exec, s[18:19]
	s_waitcnt lgkmcnt(0)
	s_barrier
	s_and_saveexec_b64 s[18:19], s[6:7]
	s_cbranch_execz .LBB6_28
; %bb.27:                               ;   in Loop: Header=BB6_7 Depth=1
	ds_read2_b32 v[12:13], v21 offset1:32
	s_waitcnt lgkmcnt(0)
	v_min_i32_e32 v12, v13, v12
	ds_write_b32 v21, v12
.LBB6_28:                               ;   in Loop: Header=BB6_7 Depth=1
	s_or_b64 exec, exec, s[18:19]
	s_waitcnt lgkmcnt(0)
	s_barrier
	s_and_saveexec_b64 s[18:19], s[8:9]
	s_cbranch_execz .LBB6_30
; %bb.29:                               ;   in Loop: Header=BB6_7 Depth=1
	ds_read2_b32 v[12:13], v21 offset1:16
	s_waitcnt lgkmcnt(0)
	v_min_i32_e32 v12, v13, v12
	ds_write_b32 v21, v12
.LBB6_30:                               ;   in Loop: Header=BB6_7 Depth=1
	;; [unrolled: 11-line block ×5, first 2 shown]
	s_or_b64 exec, exec, s[18:19]
	s_waitcnt lgkmcnt(0)
	s_barrier
	s_and_saveexec_b64 s[18:19], s[16:17]
	s_cbranch_execz .LBB6_6
; %bb.37:                               ;   in Loop: Header=BB6_7 Depth=1
	ds_read_b64 v[12:13], v3
	s_waitcnt lgkmcnt(0)
	v_min_i32_e32 v12, v13, v12
	ds_write_b32 v3, v12
	s_branch .LBB6_6
.LBB6_38:                               ;   in Loop: Header=BB6_7 Depth=1
	ds_read_b32 v27, v22
	v_lshl_add_u64 v[28:29], v[2:3], 2, v[12:13]
	v_cndmask_b32_e64 v29, v29, v15, s[0:1]
	v_cndmask_b32_e64 v28, v28, v14, s[0:1]
	s_waitcnt lgkmcnt(0)
	global_store_dword v[28:29], v27, off
	s_or_b64 exec, exec, s[18:19]
	s_and_saveexec_b64 s[18:19], s[36:37]
	s_cbranch_execz .LBB6_18
.LBB6_39:                               ;   in Loop: Header=BB6_7 Depth=1
	ds_read_b32 v27, v22 offset:32
	v_lshl_add_u64 v[28:29], v[14:15], 0, 32
	v_lshl_add_u64 v[30:31], v[0:1], 2, v[12:13]
	v_cndmask_b32_e64 v29, v31, v29, s[0:1]
	v_cndmask_b32_e64 v28, v30, v28, s[0:1]
	s_waitcnt lgkmcnt(0)
	global_store_dword v[28:29], v27, off
	s_or_b64 exec, exec, s[18:19]
	s_and_saveexec_b64 s[18:19], s[38:39]
	s_cbranch_execz .LBB6_19
.LBB6_40:                               ;   in Loop: Header=BB6_7 Depth=1
	ds_read_b32 v27, v22 offset:64
	v_lshl_add_u64 v[28:29], v[14:15], 0, 64
	v_lshl_add_u64 v[30:31], v[8:9], 2, v[12:13]
	v_cndmask_b32_e64 v29, v31, v29, s[0:1]
	v_cndmask_b32_e64 v28, v30, v28, s[0:1]
	s_waitcnt lgkmcnt(0)
	global_store_dword v[28:29], v27, off
	s_or_b64 exec, exec, s[18:19]
	s_and_saveexec_b64 s[18:19], s[40:41]
	s_cbranch_execnz .LBB6_20
	s_branch .LBB6_21
.LBB6_41:
	s_endpgm
	.section	.rodata,"a",@progbits
	.p2align	6, 0x0
	.amdhsa_kernel _ZN9rocsparseL38csr2bsr_block_per_row_multipass_kernelILj256ELj32EiiiEEv20rocsparse_direction_T3_S2_S2_S2_S2_21rocsparse_index_base_PKT1_PKT2_PKS2_S3_PS4_PS7_PS2_
		.amdhsa_group_segment_fixed_size 4100
		.amdhsa_private_segment_fixed_size 0
		.amdhsa_kernarg_size 88
		.amdhsa_user_sgpr_count 2
		.amdhsa_user_sgpr_dispatch_ptr 0
		.amdhsa_user_sgpr_queue_ptr 0
		.amdhsa_user_sgpr_kernarg_segment_ptr 1
		.amdhsa_user_sgpr_dispatch_id 0
		.amdhsa_user_sgpr_kernarg_preload_length 0
		.amdhsa_user_sgpr_kernarg_preload_offset 0
		.amdhsa_user_sgpr_private_segment_size 0
		.amdhsa_uses_dynamic_stack 0
		.amdhsa_enable_private_segment 0
		.amdhsa_system_sgpr_workgroup_id_x 1
		.amdhsa_system_sgpr_workgroup_id_y 0
		.amdhsa_system_sgpr_workgroup_id_z 0
		.amdhsa_system_sgpr_workgroup_info 0
		.amdhsa_system_vgpr_workitem_id 0
		.amdhsa_next_free_vgpr 33
		.amdhsa_next_free_sgpr 54
		.amdhsa_accum_offset 36
		.amdhsa_reserve_vcc 1
		.amdhsa_float_round_mode_32 0
		.amdhsa_float_round_mode_16_64 0
		.amdhsa_float_denorm_mode_32 3
		.amdhsa_float_denorm_mode_16_64 3
		.amdhsa_dx10_clamp 1
		.amdhsa_ieee_mode 1
		.amdhsa_fp16_overflow 0
		.amdhsa_tg_split 0
		.amdhsa_exception_fp_ieee_invalid_op 0
		.amdhsa_exception_fp_denorm_src 0
		.amdhsa_exception_fp_ieee_div_zero 0
		.amdhsa_exception_fp_ieee_overflow 0
		.amdhsa_exception_fp_ieee_underflow 0
		.amdhsa_exception_fp_ieee_inexact 0
		.amdhsa_exception_int_div_zero 0
	.end_amdhsa_kernel
	.section	.text._ZN9rocsparseL38csr2bsr_block_per_row_multipass_kernelILj256ELj32EiiiEEv20rocsparse_direction_T3_S2_S2_S2_S2_21rocsparse_index_base_PKT1_PKT2_PKS2_S3_PS4_PS7_PS2_,"axG",@progbits,_ZN9rocsparseL38csr2bsr_block_per_row_multipass_kernelILj256ELj32EiiiEEv20rocsparse_direction_T3_S2_S2_S2_S2_21rocsparse_index_base_PKT1_PKT2_PKS2_S3_PS4_PS7_PS2_,comdat
.Lfunc_end6:
	.size	_ZN9rocsparseL38csr2bsr_block_per_row_multipass_kernelILj256ELj32EiiiEEv20rocsparse_direction_T3_S2_S2_S2_S2_21rocsparse_index_base_PKT1_PKT2_PKS2_S3_PS4_PS7_PS2_, .Lfunc_end6-_ZN9rocsparseL38csr2bsr_block_per_row_multipass_kernelILj256ELj32EiiiEEv20rocsparse_direction_T3_S2_S2_S2_S2_21rocsparse_index_base_PKT1_PKT2_PKS2_S3_PS4_PS7_PS2_
                                        ; -- End function
	.section	.AMDGPU.csdata,"",@progbits
; Kernel info:
; codeLenInByte = 1792
; NumSgprs: 60
; NumVgprs: 33
; NumAgprs: 0
; TotalNumVgprs: 33
; ScratchSize: 0
; MemoryBound: 0
; FloatMode: 240
; IeeeMode: 1
; LDSByteSize: 4100 bytes/workgroup (compile time only)
; SGPRBlocks: 7
; VGPRBlocks: 4
; NumSGPRsForWavesPerEU: 60
; NumVGPRsForWavesPerEU: 33
; AccumOffset: 36
; Occupancy: 8
; WaveLimiterHint : 0
; COMPUTE_PGM_RSRC2:SCRATCH_EN: 0
; COMPUTE_PGM_RSRC2:USER_SGPR: 2
; COMPUTE_PGM_RSRC2:TRAP_HANDLER: 0
; COMPUTE_PGM_RSRC2:TGID_X_EN: 1
; COMPUTE_PGM_RSRC2:TGID_Y_EN: 0
; COMPUTE_PGM_RSRC2:TGID_Z_EN: 0
; COMPUTE_PGM_RSRC2:TIDIG_COMP_CNT: 0
; COMPUTE_PGM_RSRC3_GFX90A:ACCUM_OFFSET: 8
; COMPUTE_PGM_RSRC3_GFX90A:TG_SPLIT: 0
	.section	.text._ZN9rocsparseL38csr2bsr_block_per_row_multipass_kernelILj256ELj64EiiiEEv20rocsparse_direction_T3_S2_S2_S2_S2_21rocsparse_index_base_PKT1_PKT2_PKS2_S3_PS4_PS7_PS2_,"axG",@progbits,_ZN9rocsparseL38csr2bsr_block_per_row_multipass_kernelILj256ELj64EiiiEEv20rocsparse_direction_T3_S2_S2_S2_S2_21rocsparse_index_base_PKT1_PKT2_PKS2_S3_PS4_PS7_PS2_,comdat
	.globl	_ZN9rocsparseL38csr2bsr_block_per_row_multipass_kernelILj256ELj64EiiiEEv20rocsparse_direction_T3_S2_S2_S2_S2_21rocsparse_index_base_PKT1_PKT2_PKS2_S3_PS4_PS7_PS2_ ; -- Begin function _ZN9rocsparseL38csr2bsr_block_per_row_multipass_kernelILj256ELj64EiiiEEv20rocsparse_direction_T3_S2_S2_S2_S2_21rocsparse_index_base_PKT1_PKT2_PKS2_S3_PS4_PS7_PS2_
	.p2align	8
	.type	_ZN9rocsparseL38csr2bsr_block_per_row_multipass_kernelILj256ELj64EiiiEEv20rocsparse_direction_T3_S2_S2_S2_S2_21rocsparse_index_base_PKT1_PKT2_PKS2_S3_PS4_PS7_PS2_,@function
_ZN9rocsparseL38csr2bsr_block_per_row_multipass_kernelILj256ELj64EiiiEEv20rocsparse_direction_T3_S2_S2_S2_S2_21rocsparse_index_base_PKT1_PKT2_PKS2_S3_PS4_PS7_PS2_: ; @_ZN9rocsparseL38csr2bsr_block_per_row_multipass_kernelILj256ELj64EiiiEEv20rocsparse_direction_T3_S2_S2_S2_S2_21rocsparse_index_base_PKT1_PKT2_PKS2_S3_PS4_PS7_PS2_
; %bb.0:
	s_load_dwordx4 s[20:23], s[0:1], 0x10
	s_load_dwordx2 s[6:7], s[0:1], 0x0
	s_load_dwordx2 s[8:9], s[0:1], 0x28
	v_lshrrev_b32_e32 v1, 2, v0
	v_mov_b32_e32 v40, 0
	s_waitcnt lgkmcnt(0)
	s_mul_i32 s3, s2, s21
	v_add_u32_e32 v2, s3, v1
	v_cmp_gt_i32_e64 s[4:5], s7, v2
	v_cmp_gt_i32_e32 vcc, s21, v1
	s_and_b64 s[4:5], vcc, s[4:5]
	v_mov_b32_e32 v47, 0
	s_and_saveexec_b64 s[10:11], s[4:5]
	s_cbranch_execnz .LBB7_3
; %bb.1:
	s_or_b64 exec, exec, s[10:11]
	s_and_saveexec_b64 s[10:11], s[4:5]
	s_cbranch_execnz .LBB7_4
.LBB7_2:
	s_or_b64 exec, exec, s[10:11]
	s_cmp_lt_i32 s20, 1
	s_cbranch_scc0 .LBB7_5
	s_branch .LBB7_65
.LBB7_3:
	v_ashrrev_i32_e32 v3, 31, v2
	v_lshl_add_u64 v[4:5], v[2:3], 2, s[8:9]
	global_load_dword v3, v[4:5], off
	s_waitcnt vmcnt(0)
	v_subrev_u32_e32 v47, s22, v3
	s_or_b64 exec, exec, s[10:11]
	s_and_saveexec_b64 s[10:11], s[4:5]
	s_cbranch_execz .LBB7_2
.LBB7_4:
	v_ashrrev_i32_e32 v3, 31, v2
	v_lshl_add_u64 v[2:3], v[2:3], 2, s[8:9]
	global_load_dword v2, v[2:3], off offset:4
	s_waitcnt vmcnt(0)
	v_subrev_u32_e32 v40, s22, v2
	s_or_b64 exec, exec, s[10:11]
	s_cmp_lt_i32 s20, 1
	s_cbranch_scc1 .LBB7_65
.LBB7_5:
	s_load_dwordx4 s[8:11], s[0:1], 0x40
	s_load_dwordx2 s[24:25], s[0:1], 0x50
	s_load_dword s23, s[0:1], 0x38
	s_ashr_i32 s3, s2, 31
	s_lshl_b64 s[2:3], s[2:3], 2
	s_waitcnt lgkmcnt(0)
	s_add_u32 s2, s10, s2
	s_addc_u32 s3, s11, s3
	s_load_dword s4, s[2:3], 0x0
	s_load_dwordx2 s[26:27], s[0:1], 0x20
	s_load_dwordx2 s[28:29], s[0:1], 0x30
	v_mbcnt_lo_u32_b32 v2, -1, 0
	v_mbcnt_hi_u32_b32 v2, -1, v2
	v_lshl_or_b32 v44, v2, 2, 12
	v_lshlrev_b32_e32 v2, 2, v1
	v_mov_b32_e32 v3, 0
	v_and_b32_e32 v41, 3, v0
	v_lshlrev_b32_e32 v42, 6, v1
	s_waitcnt lgkmcnt(0)
	s_sub_i32 s30, s4, s23
	v_lshl_add_u64 v[4:5], s[8:9], 0, v[2:3]
	v_mul_lo_u32 v2, v1, s21
	s_movk_i32 s2, 0x80
	s_cmp_eq_u32 s6, 0
	v_lshl_add_u64 v[6:7], v[2:3], 2, s[8:9]
	v_lshlrev_b32_e32 v45, 2, v0
	v_cmp_gt_u32_e64 s[2:3], s2, v0
	v_cmp_gt_u32_e64 s[4:5], 64, v0
	v_cmp_gt_u32_e64 s[6:7], 32, v0
	v_cmp_gt_u32_e64 s[8:9], 16, v0
	v_cmp_gt_u32_e64 s[10:11], 8, v0
	v_cmp_gt_u32_e64 s[12:13], 4, v0
	v_cmp_gt_u32_e64 s[14:15], 2, v0
	v_cmp_eq_u32_e64 s[16:17], 0, v0
	v_or_b32_e32 v0, v42, v41
	v_lshlrev_b32_e32 v46, 2, v0
	v_cmp_gt_u32_e64 s[18:19], s21, v41
	v_or_b32_e32 v0, 4, v41
	s_cselect_b64 s[0:1], -1, 0
	s_and_b64 s[34:35], vcc, s[18:19]
	v_cmp_gt_u32_e64 s[18:19], s21, v0
	v_or_b32_e32 v8, 8, v41
	s_and_b64 s[36:37], vcc, s[18:19]
	v_cmp_gt_u32_e64 s[18:19], s21, v8
	v_or_b32_e32 v10, 12, v41
	;; [unrolled: 3-line block ×5, first 2 shown]
	v_lshlrev_b32_e32 v2, 2, v41
	s_and_b64 s[44:45], vcc, s[18:19]
	v_cmp_gt_u32_e64 s[18:19], s21, v16
	v_or_b32_e32 v18, 28, v41
	s_abs_i32 s93, s21
	v_lshl_add_u64 v[6:7], v[6:7], 0, v[2:3]
	v_mul_lo_u32 v2, v41, s21
	s_lshl_b32 s31, s21, 2
	s_and_b64 s[46:47], vcc, s[18:19]
	v_cmp_gt_u32_e64 s[18:19], s21, v18
	v_or_b32_e32 v20, 32, v41
	v_cvt_f32_u32_e32 v34, s93
	v_add_u32_e32 v0, s31, v2
	s_and_b64 s[48:49], vcc, s[18:19]
	v_cmp_gt_u32_e64 s[18:19], s21, v20
	v_or_b32_e32 v22, 36, v41
	v_add_u32_e32 v8, s31, v0
	s_and_b64 s[50:51], vcc, s[18:19]
	v_cmp_gt_u32_e64 s[18:19], s21, v22
	v_or_b32_e32 v24, 40, v41
	;; [unrolled: 4-line block ×4, first 2 shown]
	v_rcp_iflag_f32_e32 v36, v34
	v_add_u32_e32 v14, s31, v12
	s_and_b64 s[56:57], vcc, s[18:19]
	v_cmp_gt_u32_e64 s[18:19], s21, v28
	v_or_b32_e32 v30, 52, v41
	v_add_u32_e32 v16, s31, v14
	s_and_b64 s[58:59], vcc, s[18:19]
	v_cmp_gt_u32_e64 s[18:19], s21, v30
	v_or_b32_e32 v32, 56, v41
	;; [unrolled: 4-line block ×3, first 2 shown]
	v_add_u32_e32 v20, s31, v18
	s_and_b64 s[62:63], vcc, s[18:19]
	v_cmp_gt_u32_e64 s[18:19], s21, v35
	v_mul_f32_e32 v35, 0x4f7ffffe, v36
	v_add_u32_e32 v22, s31, v20
	v_cvt_u32_f32_e32 v36, v35
	v_add_u32_e32 v24, s31, v22
	v_add_u32_e32 v26, s31, v24
	;; [unrolled: 1-line block ×3, first 2 shown]
	s_and_b64 s[64:65], vcc, s[18:19]
	s_sub_i32 s18, 0, s93
	v_add_u32_e32 v30, s31, v28
	v_mul_lo_u32 v37, s18, v36
	v_add_u32_e32 v32, s31, v30
	v_mul_hi_u32 v37, v36, v37
	v_mov_b32_e32 v43, 0
	s_mul_hi_u32 s33, s21, s21
	s_mul_i32 s92, s21, s21
	v_mov_b32_e32 v1, v3
	v_mov_b32_e32 v9, v3
	;; [unrolled: 1-line block ×14, first 2 shown]
	v_add_u32_e32 v34, s31, v32
	v_mov_b32_e32 v35, v3
	s_ashr_i32 s94, s21, 31
	v_add_u32_e32 v48, v36, v37
	s_mov_b64 s[66:67], 0x50
	s_mov_b64 s[68:69], 0x60
	;; [unrolled: 1-line block ×11, first 2 shown]
	v_mov_b32_e32 v49, 1
	v_mov_b32_e32 v38, 0
	s_branch .LBB7_7
.LBB7_6:                                ;   in Loop: Header=BB7_7 Depth=1
	s_or_b64 exec, exec, s[18:19]
	s_waitcnt lgkmcnt(0)
	s_barrier
	ds_read_b32 v38, v3
	s_add_i32 s30, s31, s30
	s_waitcnt lgkmcnt(0)
	s_barrier
	v_cmp_gt_i32_e32 vcc, s20, v38
	s_cbranch_vccz .LBB7_65
.LBB7_7:                                ; =>This Loop Header: Depth=1
                                        ;     Child Loop BB7_10 Depth 2
	v_add_u32_e32 v36, v47, v41
	v_cmp_lt_i32_e32 vcc, v36, v40
	v_mov_b32_e32 v50, s20
	v_mov_b32_e32 v47, v40
	ds_write_b8 v3, v43 offset:16384
	ds_write2_b32 v46, v3, v3 offset1:4
	ds_write2_b32 v46, v3, v3 offset0:8 offset1:12
	ds_write2_b32 v46, v3, v3 offset0:16 offset1:20
	;; [unrolled: 1-line block ×7, first 2 shown]
	s_waitcnt lgkmcnt(0)
	s_barrier
	s_and_saveexec_b64 s[88:89], vcc
	s_cbranch_execz .LBB7_15
; %bb.8:                                ;   in Loop: Header=BB7_7 Depth=1
	v_mul_lo_u32 v39, v38, s21
	s_mov_b64 s[90:91], 0
	v_mov_b32_e32 v50, s20
	v_mov_b32_e32 v47, v40
	s_branch .LBB7_10
.LBB7_9:                                ;   in Loop: Header=BB7_10 Depth=2
	s_or_b64 exec, exec, s[18:19]
	v_add_u32_e32 v36, 4, v36
	v_cmp_ge_i32_e64 s[18:19], v36, v40
	s_xor_b64 s[96:97], vcc, -1
	s_or_b64 s[18:19], s[96:97], s[18:19]
	s_and_b64 s[18:19], exec, s[18:19]
	s_or_b64 s[90:91], s[18:19], s[90:91]
	s_andn2_b64 exec, exec, s[90:91]
	s_cbranch_execz .LBB7_14
.LBB7_10:                               ;   Parent Loop BB7_7 Depth=1
                                        ; =>  This Inner Loop Header: Depth=2
	v_ashrrev_i32_e32 v37, 31, v36
	v_lshl_add_u64 v[52:53], v[36:37], 2, s[28:29]
	global_load_dword v51, v[52:53], off
	s_waitcnt vmcnt(0)
	v_subrev_u32_e32 v51, s22, v51
	v_sub_u32_e32 v53, 0, v51
	v_max_i32_e32 v53, v51, v53
	v_mul_hi_u32 v54, v53, v48
	v_mul_lo_u32 v55, v54, s93
	v_sub_u32_e32 v53, v53, v55
	v_add_u32_e32 v56, 1, v54
	v_cmp_le_u32_e32 vcc, s93, v53
	v_subrev_u32_e32 v55, s93, v53
	v_ashrrev_i32_e32 v52, 31, v51
	v_cndmask_b32_e32 v54, v54, v56, vcc
	v_cndmask_b32_e32 v53, v53, v55, vcc
	v_add_u32_e32 v55, 1, v54
	v_cmp_le_u32_e32 vcc, s93, v53
	v_xor_b32_e32 v52, s94, v52
	s_nop 0
	v_cndmask_b32_e32 v53, v54, v55, vcc
	v_xor_b32_e32 v53, v53, v52
	v_sub_u32_e32 v53, v53, v52
	v_cmp_eq_u32_e32 vcc, v53, v38
	v_cmp_ne_u32_e64 s[18:19], v53, v38
	v_mov_b32_e32 v52, v47
	s_and_saveexec_b64 s[96:97], s[18:19]
	s_xor_b64 s[18:19], exec, s[96:97]
; %bb.11:                               ;   in Loop: Header=BB7_10 Depth=2
	v_min_i32_e32 v50, v53, v50
                                        ; implicit-def: $vgpr51
                                        ; implicit-def: $vgpr52
; %bb.12:                               ;   in Loop: Header=BB7_10 Depth=2
	s_or_saveexec_b64 s[18:19], s[18:19]
	v_mov_b32_e32 v47, v36
	s_xor_b64 exec, exec, s[18:19]
	s_cbranch_execz .LBB7_9
; %bb.13:                               ;   in Loop: Header=BB7_10 Depth=2
	v_lshl_add_u64 v[54:55], v[36:37], 2, s[26:27]
	global_load_dword v37, v[54:55], off
	v_sub_u32_e32 v47, v51, v39
	v_add_lshl_u32 v47, v47, v42, 2
	ds_write_b8 v3, v49 offset:16384
	s_waitcnt vmcnt(0)
	ds_write_b32 v47, v37
	v_mov_b32_e32 v47, v52
	s_branch .LBB7_9
.LBB7_14:                               ;   in Loop: Header=BB7_7 Depth=1
	s_or_b64 exec, exec, s[90:91]
.LBB7_15:                               ;   in Loop: Header=BB7_7 Depth=1
	s_or_b64 exec, exec, s[88:89]
	v_mov_b32_dpp v36, v47 row_shr:1 row_mask:0xf bank_mask:0xf
	v_min_i32_e32 v36, v36, v47
	s_waitcnt lgkmcnt(0)
	s_barrier
	ds_read_u8 v37, v3 offset:16384
	v_mov_b32_dpp v39, v36 row_shr:2 row_mask:0xf bank_mask:0xf
	v_min_i32_e32 v36, v39, v36
	ds_bpermute_b32 v47, v44, v36
	s_mov_b32 s31, 0
	s_waitcnt lgkmcnt(1)
	v_cmp_eq_u32_e32 vcc, 0, v37
	s_cbranch_vccnz .LBB7_34
; %bb.16:                               ;   in Loop: Header=BB7_7 Depth=1
	s_ashr_i32 s31, s30, 31
	s_lshl_b64 s[18:19], s[30:31], 2
	s_add_u32 s18, s24, s18
	v_add_u32_e32 v36, s23, v38
	s_addc_u32 s19, s25, s19
	global_store_dword v3, v36, s[18:19]
	s_mul_hi_u32 s18, s92, s30
	s_mul_i32 s19, s92, s31
	s_add_i32 s18, s18, s19
	s_mul_i32 s19, s33, s30
	s_add_i32 s19, s18, s19
	s_mul_i32 s18, s92, s30
	s_lshl_b64 s[18:19], s[18:19], 2
	v_lshl_add_u64 v[36:37], v[4:5], 0, s[18:19]
	v_lshl_add_u64 v[38:39], v[6:7], 0, s[18:19]
	s_and_saveexec_b64 s[18:19], s[34:35]
	s_cbranch_execnz .LBB7_50
; %bb.17:                               ;   in Loop: Header=BB7_7 Depth=1
	s_or_b64 exec, exec, s[18:19]
	s_and_saveexec_b64 s[18:19], s[36:37]
	s_cbranch_execnz .LBB7_51
.LBB7_18:                               ;   in Loop: Header=BB7_7 Depth=1
	s_or_b64 exec, exec, s[18:19]
	s_and_saveexec_b64 s[18:19], s[38:39]
	s_cbranch_execnz .LBB7_52
.LBB7_19:                               ;   in Loop: Header=BB7_7 Depth=1
	s_or_b64 exec, exec, s[18:19]
	s_and_saveexec_b64 s[18:19], s[40:41]
	s_cbranch_execnz .LBB7_53
.LBB7_20:                               ;   in Loop: Header=BB7_7 Depth=1
	s_or_b64 exec, exec, s[18:19]
	s_and_saveexec_b64 s[18:19], s[42:43]
	s_cbranch_execnz .LBB7_54
.LBB7_21:                               ;   in Loop: Header=BB7_7 Depth=1
	s_or_b64 exec, exec, s[18:19]
	s_and_saveexec_b64 s[18:19], s[44:45]
	s_cbranch_execnz .LBB7_55
.LBB7_22:                               ;   in Loop: Header=BB7_7 Depth=1
	s_or_b64 exec, exec, s[18:19]
	s_and_saveexec_b64 s[18:19], s[46:47]
	s_cbranch_execnz .LBB7_56
.LBB7_23:                               ;   in Loop: Header=BB7_7 Depth=1
	s_or_b64 exec, exec, s[18:19]
	s_and_saveexec_b64 s[18:19], s[48:49]
	s_cbranch_execnz .LBB7_57
.LBB7_24:                               ;   in Loop: Header=BB7_7 Depth=1
	s_or_b64 exec, exec, s[18:19]
	s_and_saveexec_b64 s[18:19], s[50:51]
	s_cbranch_execnz .LBB7_58
.LBB7_25:                               ;   in Loop: Header=BB7_7 Depth=1
	s_or_b64 exec, exec, s[18:19]
	s_and_saveexec_b64 s[18:19], s[52:53]
	s_cbranch_execnz .LBB7_59
.LBB7_26:                               ;   in Loop: Header=BB7_7 Depth=1
	s_or_b64 exec, exec, s[18:19]
	s_and_saveexec_b64 s[18:19], s[54:55]
	s_cbranch_execnz .LBB7_60
.LBB7_27:                               ;   in Loop: Header=BB7_7 Depth=1
	s_or_b64 exec, exec, s[18:19]
	s_and_saveexec_b64 s[18:19], s[56:57]
	s_cbranch_execnz .LBB7_61
.LBB7_28:                               ;   in Loop: Header=BB7_7 Depth=1
	s_or_b64 exec, exec, s[18:19]
	s_and_saveexec_b64 s[18:19], s[58:59]
	s_cbranch_execnz .LBB7_62
.LBB7_29:                               ;   in Loop: Header=BB7_7 Depth=1
	s_or_b64 exec, exec, s[18:19]
	s_and_saveexec_b64 s[18:19], s[60:61]
	s_cbranch_execnz .LBB7_63
.LBB7_30:                               ;   in Loop: Header=BB7_7 Depth=1
	s_or_b64 exec, exec, s[18:19]
	s_and_saveexec_b64 s[18:19], s[62:63]
	s_cbranch_execnz .LBB7_64
.LBB7_31:                               ;   in Loop: Header=BB7_7 Depth=1
	s_or_b64 exec, exec, s[18:19]
	s_and_saveexec_b64 s[18:19], s[64:65]
	s_cbranch_execz .LBB7_33
.LBB7_32:                               ;   in Loop: Header=BB7_7 Depth=1
	ds_read_b32 v51, v46 offset:240
	v_lshl_add_u64 v[38:39], v[38:39], 0, s[86:87]
	v_lshl_add_u64 v[36:37], v[34:35], 2, v[36:37]
	v_cndmask_b32_e64 v37, v37, v39, s[0:1]
	v_cndmask_b32_e64 v36, v36, v38, s[0:1]
	s_waitcnt lgkmcnt(0)
	global_store_dword v[36:37], v51, off
.LBB7_33:                               ;   in Loop: Header=BB7_7 Depth=1
	s_or_b64 exec, exec, s[18:19]
	s_mov_b32 s31, 1
.LBB7_34:                               ;   in Loop: Header=BB7_7 Depth=1
	s_waitcnt lgkmcnt(0)
	s_barrier
	ds_write_b32 v45, v50
	s_waitcnt lgkmcnt(0)
	s_barrier
	s_and_saveexec_b64 s[18:19], s[2:3]
	s_cbranch_execz .LBB7_36
; %bb.35:                               ;   in Loop: Header=BB7_7 Depth=1
	ds_read2st64_b32 v[36:37], v45 offset1:2
	s_waitcnt lgkmcnt(0)
	v_min_i32_e32 v36, v37, v36
	ds_write_b32 v45, v36
.LBB7_36:                               ;   in Loop: Header=BB7_7 Depth=1
	s_or_b64 exec, exec, s[18:19]
	s_waitcnt lgkmcnt(0)
	s_barrier
	s_and_saveexec_b64 s[18:19], s[4:5]
	s_cbranch_execz .LBB7_38
; %bb.37:                               ;   in Loop: Header=BB7_7 Depth=1
	ds_read2st64_b32 v[36:37], v45 offset1:1
	s_waitcnt lgkmcnt(0)
	v_min_i32_e32 v36, v37, v36
	ds_write_b32 v45, v36
.LBB7_38:                               ;   in Loop: Header=BB7_7 Depth=1
	s_or_b64 exec, exec, s[18:19]
	s_waitcnt lgkmcnt(0)
	s_barrier
	s_and_saveexec_b64 s[18:19], s[6:7]
	s_cbranch_execz .LBB7_40
; %bb.39:                               ;   in Loop: Header=BB7_7 Depth=1
	ds_read2_b32 v[36:37], v45 offset1:32
	s_waitcnt lgkmcnt(0)
	v_min_i32_e32 v36, v37, v36
	ds_write_b32 v45, v36
.LBB7_40:                               ;   in Loop: Header=BB7_7 Depth=1
	s_or_b64 exec, exec, s[18:19]
	s_waitcnt lgkmcnt(0)
	s_barrier
	s_and_saveexec_b64 s[18:19], s[8:9]
	s_cbranch_execz .LBB7_42
; %bb.41:                               ;   in Loop: Header=BB7_7 Depth=1
	ds_read2_b32 v[36:37], v45 offset1:16
	s_waitcnt lgkmcnt(0)
	v_min_i32_e32 v36, v37, v36
	ds_write_b32 v45, v36
.LBB7_42:                               ;   in Loop: Header=BB7_7 Depth=1
	;; [unrolled: 11-line block ×5, first 2 shown]
	s_or_b64 exec, exec, s[18:19]
	s_waitcnt lgkmcnt(0)
	s_barrier
	s_and_saveexec_b64 s[18:19], s[16:17]
	s_cbranch_execz .LBB7_6
; %bb.49:                               ;   in Loop: Header=BB7_7 Depth=1
	ds_read_b64 v[36:37], v3
	s_waitcnt lgkmcnt(0)
	v_min_i32_e32 v36, v37, v36
	ds_write_b32 v3, v36
	s_branch .LBB7_6
.LBB7_50:                               ;   in Loop: Header=BB7_7 Depth=1
	ds_read_b32 v51, v46
	v_lshl_add_u64 v[52:53], v[2:3], 2, v[36:37]
	v_cndmask_b32_e64 v53, v53, v39, s[0:1]
	v_cndmask_b32_e64 v52, v52, v38, s[0:1]
	s_waitcnt lgkmcnt(0)
	global_store_dword v[52:53], v51, off
	s_or_b64 exec, exec, s[18:19]
	s_and_saveexec_b64 s[18:19], s[36:37]
	s_cbranch_execz .LBB7_18
.LBB7_51:                               ;   in Loop: Header=BB7_7 Depth=1
	ds_read_b32 v51, v46 offset:16
	v_lshl_add_u64 v[52:53], v[38:39], 0, 16
	v_lshl_add_u64 v[54:55], v[0:1], 2, v[36:37]
	v_cndmask_b32_e64 v53, v55, v53, s[0:1]
	v_cndmask_b32_e64 v52, v54, v52, s[0:1]
	s_waitcnt lgkmcnt(0)
	global_store_dword v[52:53], v51, off
	s_or_b64 exec, exec, s[18:19]
	s_and_saveexec_b64 s[18:19], s[38:39]
	s_cbranch_execz .LBB7_19
.LBB7_52:                               ;   in Loop: Header=BB7_7 Depth=1
	ds_read_b32 v51, v46 offset:32
	v_lshl_add_u64 v[52:53], v[38:39], 0, 32
	v_lshl_add_u64 v[54:55], v[8:9], 2, v[36:37]
	v_cndmask_b32_e64 v53, v55, v53, s[0:1]
	v_cndmask_b32_e64 v52, v54, v52, s[0:1]
	s_waitcnt lgkmcnt(0)
	global_store_dword v[52:53], v51, off
	s_or_b64 exec, exec, s[18:19]
	s_and_saveexec_b64 s[18:19], s[40:41]
	s_cbranch_execz .LBB7_20
.LBB7_53:                               ;   in Loop: Header=BB7_7 Depth=1
	ds_read_b32 v51, v46 offset:48
	v_lshl_add_u64 v[52:53], v[38:39], 0, 48
	v_lshl_add_u64 v[54:55], v[10:11], 2, v[36:37]
	v_cndmask_b32_e64 v53, v55, v53, s[0:1]
	v_cndmask_b32_e64 v52, v54, v52, s[0:1]
	s_waitcnt lgkmcnt(0)
	global_store_dword v[52:53], v51, off
	s_or_b64 exec, exec, s[18:19]
	s_and_saveexec_b64 s[18:19], s[42:43]
	s_cbranch_execz .LBB7_21
.LBB7_54:                               ;   in Loop: Header=BB7_7 Depth=1
	ds_read_b32 v51, v46 offset:64
	v_lshl_add_u64 v[52:53], v[38:39], 0, 64
	v_lshl_add_u64 v[54:55], v[12:13], 2, v[36:37]
	v_cndmask_b32_e64 v53, v55, v53, s[0:1]
	v_cndmask_b32_e64 v52, v54, v52, s[0:1]
	s_waitcnt lgkmcnt(0)
	global_store_dword v[52:53], v51, off
	s_or_b64 exec, exec, s[18:19]
	s_and_saveexec_b64 s[18:19], s[44:45]
	s_cbranch_execz .LBB7_22
.LBB7_55:                               ;   in Loop: Header=BB7_7 Depth=1
	ds_read_b32 v51, v46 offset:80
	v_lshl_add_u64 v[52:53], v[38:39], 0, s[66:67]
	v_lshl_add_u64 v[54:55], v[14:15], 2, v[36:37]
	v_cndmask_b32_e64 v53, v55, v53, s[0:1]
	v_cndmask_b32_e64 v52, v54, v52, s[0:1]
	s_waitcnt lgkmcnt(0)
	global_store_dword v[52:53], v51, off
	s_or_b64 exec, exec, s[18:19]
	s_and_saveexec_b64 s[18:19], s[46:47]
	s_cbranch_execz .LBB7_23
.LBB7_56:                               ;   in Loop: Header=BB7_7 Depth=1
	ds_read_b32 v51, v46 offset:96
	v_lshl_add_u64 v[52:53], v[38:39], 0, s[68:69]
	v_lshl_add_u64 v[54:55], v[16:17], 2, v[36:37]
	v_cndmask_b32_e64 v53, v55, v53, s[0:1]
	v_cndmask_b32_e64 v52, v54, v52, s[0:1]
	s_waitcnt lgkmcnt(0)
	global_store_dword v[52:53], v51, off
	s_or_b64 exec, exec, s[18:19]
	s_and_saveexec_b64 s[18:19], s[48:49]
	s_cbranch_execz .LBB7_24
.LBB7_57:                               ;   in Loop: Header=BB7_7 Depth=1
	ds_read_b32 v51, v46 offset:112
	v_lshl_add_u64 v[52:53], v[38:39], 0, s[70:71]
	v_lshl_add_u64 v[54:55], v[18:19], 2, v[36:37]
	v_cndmask_b32_e64 v53, v55, v53, s[0:1]
	v_cndmask_b32_e64 v52, v54, v52, s[0:1]
	s_waitcnt lgkmcnt(0)
	global_store_dword v[52:53], v51, off
	s_or_b64 exec, exec, s[18:19]
	s_and_saveexec_b64 s[18:19], s[50:51]
	s_cbranch_execz .LBB7_25
.LBB7_58:                               ;   in Loop: Header=BB7_7 Depth=1
	ds_read_b32 v51, v46 offset:128
	v_lshl_add_u64 v[52:53], v[38:39], 0, s[72:73]
	v_lshl_add_u64 v[54:55], v[20:21], 2, v[36:37]
	v_cndmask_b32_e64 v53, v55, v53, s[0:1]
	v_cndmask_b32_e64 v52, v54, v52, s[0:1]
	s_waitcnt lgkmcnt(0)
	global_store_dword v[52:53], v51, off
	s_or_b64 exec, exec, s[18:19]
	s_and_saveexec_b64 s[18:19], s[52:53]
	s_cbranch_execz .LBB7_26
.LBB7_59:                               ;   in Loop: Header=BB7_7 Depth=1
	ds_read_b32 v51, v46 offset:144
	v_lshl_add_u64 v[52:53], v[38:39], 0, s[74:75]
	v_lshl_add_u64 v[54:55], v[22:23], 2, v[36:37]
	v_cndmask_b32_e64 v53, v55, v53, s[0:1]
	v_cndmask_b32_e64 v52, v54, v52, s[0:1]
	s_waitcnt lgkmcnt(0)
	global_store_dword v[52:53], v51, off
	s_or_b64 exec, exec, s[18:19]
	s_and_saveexec_b64 s[18:19], s[54:55]
	s_cbranch_execz .LBB7_27
.LBB7_60:                               ;   in Loop: Header=BB7_7 Depth=1
	ds_read_b32 v51, v46 offset:160
	v_lshl_add_u64 v[52:53], v[38:39], 0, s[76:77]
	v_lshl_add_u64 v[54:55], v[24:25], 2, v[36:37]
	v_cndmask_b32_e64 v53, v55, v53, s[0:1]
	v_cndmask_b32_e64 v52, v54, v52, s[0:1]
	s_waitcnt lgkmcnt(0)
	global_store_dword v[52:53], v51, off
	s_or_b64 exec, exec, s[18:19]
	s_and_saveexec_b64 s[18:19], s[56:57]
	s_cbranch_execz .LBB7_28
.LBB7_61:                               ;   in Loop: Header=BB7_7 Depth=1
	ds_read_b32 v51, v46 offset:176
	v_lshl_add_u64 v[52:53], v[38:39], 0, s[78:79]
	v_lshl_add_u64 v[54:55], v[26:27], 2, v[36:37]
	v_cndmask_b32_e64 v53, v55, v53, s[0:1]
	v_cndmask_b32_e64 v52, v54, v52, s[0:1]
	s_waitcnt lgkmcnt(0)
	global_store_dword v[52:53], v51, off
	s_or_b64 exec, exec, s[18:19]
	s_and_saveexec_b64 s[18:19], s[58:59]
	s_cbranch_execz .LBB7_29
.LBB7_62:                               ;   in Loop: Header=BB7_7 Depth=1
	ds_read_b32 v51, v46 offset:192
	v_lshl_add_u64 v[52:53], v[38:39], 0, s[80:81]
	v_lshl_add_u64 v[54:55], v[28:29], 2, v[36:37]
	v_cndmask_b32_e64 v53, v55, v53, s[0:1]
	v_cndmask_b32_e64 v52, v54, v52, s[0:1]
	s_waitcnt lgkmcnt(0)
	global_store_dword v[52:53], v51, off
	s_or_b64 exec, exec, s[18:19]
	s_and_saveexec_b64 s[18:19], s[60:61]
	s_cbranch_execz .LBB7_30
.LBB7_63:                               ;   in Loop: Header=BB7_7 Depth=1
	ds_read_b32 v51, v46 offset:208
	v_lshl_add_u64 v[52:53], v[38:39], 0, s[82:83]
	v_lshl_add_u64 v[54:55], v[30:31], 2, v[36:37]
	v_cndmask_b32_e64 v53, v55, v53, s[0:1]
	v_cndmask_b32_e64 v52, v54, v52, s[0:1]
	s_waitcnt lgkmcnt(0)
	global_store_dword v[52:53], v51, off
	s_or_b64 exec, exec, s[18:19]
	s_and_saveexec_b64 s[18:19], s[62:63]
	s_cbranch_execz .LBB7_31
.LBB7_64:                               ;   in Loop: Header=BB7_7 Depth=1
	ds_read_b32 v51, v46 offset:224
	v_lshl_add_u64 v[52:53], v[38:39], 0, s[84:85]
	v_lshl_add_u64 v[54:55], v[32:33], 2, v[36:37]
	v_cndmask_b32_e64 v53, v55, v53, s[0:1]
	v_cndmask_b32_e64 v52, v54, v52, s[0:1]
	s_waitcnt lgkmcnt(0)
	global_store_dword v[52:53], v51, off
	s_or_b64 exec, exec, s[18:19]
	s_and_saveexec_b64 s[18:19], s[64:65]
	s_cbranch_execnz .LBB7_32
	s_branch .LBB7_33
.LBB7_65:
	s_endpgm
	.section	.rodata,"a",@progbits
	.p2align	6, 0x0
	.amdhsa_kernel _ZN9rocsparseL38csr2bsr_block_per_row_multipass_kernelILj256ELj64EiiiEEv20rocsparse_direction_T3_S2_S2_S2_S2_21rocsparse_index_base_PKT1_PKT2_PKS2_S3_PS4_PS7_PS2_
		.amdhsa_group_segment_fixed_size 16388
		.amdhsa_private_segment_fixed_size 0
		.amdhsa_kernarg_size 88
		.amdhsa_user_sgpr_count 2
		.amdhsa_user_sgpr_dispatch_ptr 0
		.amdhsa_user_sgpr_queue_ptr 0
		.amdhsa_user_sgpr_kernarg_segment_ptr 1
		.amdhsa_user_sgpr_dispatch_id 0
		.amdhsa_user_sgpr_kernarg_preload_length 0
		.amdhsa_user_sgpr_kernarg_preload_offset 0
		.amdhsa_user_sgpr_private_segment_size 0
		.amdhsa_uses_dynamic_stack 0
		.amdhsa_enable_private_segment 0
		.amdhsa_system_sgpr_workgroup_id_x 1
		.amdhsa_system_sgpr_workgroup_id_y 0
		.amdhsa_system_sgpr_workgroup_id_z 0
		.amdhsa_system_sgpr_workgroup_info 0
		.amdhsa_system_vgpr_workitem_id 0
		.amdhsa_next_free_vgpr 57
		.amdhsa_next_free_sgpr 98
		.amdhsa_accum_offset 60
		.amdhsa_reserve_vcc 1
		.amdhsa_float_round_mode_32 0
		.amdhsa_float_round_mode_16_64 0
		.amdhsa_float_denorm_mode_32 3
		.amdhsa_float_denorm_mode_16_64 3
		.amdhsa_dx10_clamp 1
		.amdhsa_ieee_mode 1
		.amdhsa_fp16_overflow 0
		.amdhsa_tg_split 0
		.amdhsa_exception_fp_ieee_invalid_op 0
		.amdhsa_exception_fp_denorm_src 0
		.amdhsa_exception_fp_ieee_div_zero 0
		.amdhsa_exception_fp_ieee_overflow 0
		.amdhsa_exception_fp_ieee_underflow 0
		.amdhsa_exception_fp_ieee_inexact 0
		.amdhsa_exception_int_div_zero 0
	.end_amdhsa_kernel
	.section	.text._ZN9rocsparseL38csr2bsr_block_per_row_multipass_kernelILj256ELj64EiiiEEv20rocsparse_direction_T3_S2_S2_S2_S2_21rocsparse_index_base_PKT1_PKT2_PKS2_S3_PS4_PS7_PS2_,"axG",@progbits,_ZN9rocsparseL38csr2bsr_block_per_row_multipass_kernelILj256ELj64EiiiEEv20rocsparse_direction_T3_S2_S2_S2_S2_21rocsparse_index_base_PKT1_PKT2_PKS2_S3_PS4_PS7_PS2_,comdat
.Lfunc_end7:
	.size	_ZN9rocsparseL38csr2bsr_block_per_row_multipass_kernelILj256ELj64EiiiEEv20rocsparse_direction_T3_S2_S2_S2_S2_21rocsparse_index_base_PKT1_PKT2_PKS2_S3_PS4_PS7_PS2_, .Lfunc_end7-_ZN9rocsparseL38csr2bsr_block_per_row_multipass_kernelILj256ELj64EiiiEEv20rocsparse_direction_T3_S2_S2_S2_S2_21rocsparse_index_base_PKT1_PKT2_PKS2_S3_PS4_PS7_PS2_
                                        ; -- End function
	.section	.AMDGPU.csdata,"",@progbits
; Kernel info:
; codeLenInByte = 3104
; NumSgprs: 104
; NumVgprs: 57
; NumAgprs: 0
; TotalNumVgprs: 57
; ScratchSize: 0
; MemoryBound: 0
; FloatMode: 240
; IeeeMode: 1
; LDSByteSize: 16388 bytes/workgroup (compile time only)
; SGPRBlocks: 12
; VGPRBlocks: 7
; NumSGPRsForWavesPerEU: 104
; NumVGPRsForWavesPerEU: 57
; AccumOffset: 60
; Occupancy: 3
; WaveLimiterHint : 0
; COMPUTE_PGM_RSRC2:SCRATCH_EN: 0
; COMPUTE_PGM_RSRC2:USER_SGPR: 2
; COMPUTE_PGM_RSRC2:TRAP_HANDLER: 0
; COMPUTE_PGM_RSRC2:TGID_X_EN: 1
; COMPUTE_PGM_RSRC2:TGID_Y_EN: 0
; COMPUTE_PGM_RSRC2:TGID_Z_EN: 0
; COMPUTE_PGM_RSRC2:TIDIG_COMP_CNT: 0
; COMPUTE_PGM_RSRC3_GFX90A:ACCUM_OFFSET: 14
; COMPUTE_PGM_RSRC3_GFX90A:TG_SPLIT: 0
	.section	.text._ZN9rocsparseL21csr2bsr_65_inf_kernelILj32EiiiEEv20rocsparse_direction_T2_S2_S2_S2_S2_S2_21rocsparse_index_base_PKT0_PKT1_PKS2_S3_PS4_PS7_PS2_SD_SE_SC_,"axG",@progbits,_ZN9rocsparseL21csr2bsr_65_inf_kernelILj32EiiiEEv20rocsparse_direction_T2_S2_S2_S2_S2_S2_21rocsparse_index_base_PKT0_PKT1_PKS2_S3_PS4_PS7_PS2_SD_SE_SC_,comdat
	.globl	_ZN9rocsparseL21csr2bsr_65_inf_kernelILj32EiiiEEv20rocsparse_direction_T2_S2_S2_S2_S2_S2_21rocsparse_index_base_PKT0_PKT1_PKS2_S3_PS4_PS7_PS2_SD_SE_SC_ ; -- Begin function _ZN9rocsparseL21csr2bsr_65_inf_kernelILj32EiiiEEv20rocsparse_direction_T2_S2_S2_S2_S2_S2_21rocsparse_index_base_PKT0_PKT1_PKS2_S3_PS4_PS7_PS2_SD_SE_SC_
	.p2align	8
	.type	_ZN9rocsparseL21csr2bsr_65_inf_kernelILj32EiiiEEv20rocsparse_direction_T2_S2_S2_S2_S2_S2_21rocsparse_index_base_PKT0_PKT1_PKS2_S3_PS4_PS7_PS2_SD_SE_SC_,@function
_ZN9rocsparseL21csr2bsr_65_inf_kernelILj32EiiiEEv20rocsparse_direction_T2_S2_S2_S2_S2_S2_21rocsparse_index_base_PKT0_PKT1_PKS2_S3_PS4_PS7_PS2_SD_SE_SC_: ; @_ZN9rocsparseL21csr2bsr_65_inf_kernelILj32EiiiEEv20rocsparse_direction_T2_S2_S2_S2_S2_S2_21rocsparse_index_base_PKT0_PKT1_PKS2_S3_PS4_PS7_PS2_SD_SE_SC_
; %bb.0:
	s_load_dwordx4 s[8:11], s[0:1], 0x0
	s_load_dwordx2 s[4:5], s[0:1], 0x58
	s_load_dword s33, s[0:1], 0x38
	s_mov_b32 s21, 0
	s_waitcnt lgkmcnt(0)
	s_cmp_ge_i32 s2, s11
	s_mov_b32 s11, 0
	s_cbranch_scc1 .LBB8_2
; %bb.1:
	s_load_dwordx2 s[6:7], s[0:1], 0x48
	s_ashr_i32 s3, s2, 31
	s_lshl_b64 s[12:13], s[2:3], 2
	s_waitcnt lgkmcnt(0)
	s_add_u32 s6, s6, s12
	s_addc_u32 s7, s7, s13
	s_load_dword s3, s[6:7], 0x0
	s_waitcnt lgkmcnt(0)
	s_sub_i32 s11, s3, s33
.LBB8_2:
	s_load_dwordx4 s[12:15], s[0:1], 0x14
	s_waitcnt lgkmcnt(0)
	s_mul_i32 s3, s2, s13
	s_lshl_b32 s20, s3, 6
	s_lshl_b64 s[6:7], s[20:21], 2
	s_add_u32 s22, s4, s6
	v_mul_lo_u32 v4, v0, s13
	s_addc_u32 s23, s5, s7
	s_lshl_b32 s20, s13, 5
	v_ashrrev_i32_e32 v5, 31, v4
	s_cmp_gt_i32 s13, 0
	s_cselect_b64 s[24:25], -1, 0
	s_cmp_lt_i32 s13, 1
	v_lshl_add_u64 v[2:3], v[4:5], 2, s[22:23]
	s_cbranch_scc1 .LBB8_7
; %bb.3:
	s_load_dwordx2 s[6:7], s[0:1], 0x28
	s_mul_i32 s3, s2, s12
	s_lshl_b64 s[16:17], s[20:21], 2
	v_mov_b32_e32 v1, 0
	v_mov_b32_e32 v12, v0
	v_mov_b64_e32 v[6:7], v[2:3]
	s_mov_b32 s15, s13
	s_branch .LBB8_5
.LBB8_4:                                ;   in Loop: Header=BB8_5 Depth=1
	s_or_b64 exec, exec, s[4:5]
	s_add_i32 s15, s15, -1
	v_lshl_add_u64 v[6:7], v[6:7], 0, 4
	s_cmp_eq_u32 s15, 0
	v_add_u32_e32 v12, 32, v12
	s_cbranch_scc1 .LBB8_7
.LBB8_5:                                ; =>This Inner Loop Header: Depth=1
	v_add_u32_e32 v10, s3, v12
	v_cmp_gt_i32_e32 vcc, s9, v10
	v_cmp_gt_u32_e64 s[4:5], s12, v12
	v_lshl_add_u64 v[8:9], v[6:7], 0, s[16:17]
	s_and_b64 s[18:19], s[4:5], vcc
	global_store_dword v[6:7], v1, off
	global_store_dword v[8:9], v1, off
	s_and_saveexec_b64 s[4:5], s[18:19]
	s_cbranch_execz .LBB8_4
; %bb.6:                                ;   in Loop: Header=BB8_5 Depth=1
	v_ashrrev_i32_e32 v11, 31, v10
	s_waitcnt lgkmcnt(0)
	v_lshl_add_u64 v[10:11], v[10:11], 2, s[6:7]
	global_load_dwordx2 v[10:11], v[10:11], off
	s_waitcnt vmcnt(0)
	v_subrev_u32_e32 v10, s14, v10
	v_subrev_u32_e32 v11, s14, v11
	global_store_dword v[6:7], v10, off
	global_store_dword v[8:9], v11, off
	s_branch .LBB8_4
.LBB8_7:
	s_cmp_lt_i32 s10, 1
	s_cbranch_scc1 .LBB8_37
; %bb.8:
	s_load_dwordx4 s[28:31], s[0:1], 0x60
	s_load_dwordx2 s[4:5], s[0:1], 0x20
	s_waitcnt lgkmcnt(0)
	s_load_dwordx2 s[6:7], s[0:1], 0x50
	s_load_dwordx2 s[16:17], s[0:1], 0x40
	;; [unrolled: 1-line block ×3, first 2 shown]
	s_lshl_b64 s[0:1], s[20:21], 2
	s_add_u32 s0, s22, s0
	s_addc_u32 s1, s23, s1
	v_lshlrev_b64 v[8:9], 2, v[4:5]
	s_mul_i32 s20, s20, s2
	s_mov_b32 s21, 0
	v_lshl_add_u64 v[4:5], s[0:1], 0, v[8:9]
	s_lshl_b64 s[0:1], s[20:21], 2
	s_add_u32 s2, s28, s0
	s_addc_u32 s3, s29, s1
	s_add_u32 s0, s30, s0
	s_addc_u32 s1, s31, s1
	s_cmp_lg_u32 s8, 0
	s_cselect_b64 s[8:9], -1, 0
	s_abs_i32 s15, s12
	v_cvt_f32_u32_e32 v1, s15
	v_mbcnt_lo_u32_b32 v11, -1, 0
	v_mbcnt_hi_u32_b32 v11, -1, v11
	v_mov_b32_e32 v12, 0x7c
	v_rcp_iflag_f32_e32 v13, v1
	v_lshl_or_b32 v1, v11, 2, v12
	v_lshl_add_u64 v[6:7], s[2:3], 0, v[8:9]
	s_sub_i32 s2, 0, s15
	v_mul_f32_e32 v11, 0x4f7ffffe, v13
	v_cvt_u32_f32_e32 v11, v11
	v_lshl_add_u64 v[8:9], s[0:1], 0, v[8:9]
	v_cmp_eq_u32_e64 s[0:1], 31, v0
	v_mov_b32_e32 v10, 0
	v_mul_lo_u32 v12, s2, v11
	v_mul_hi_u32 v12, v11, v12
	v_add_u32_e32 v24, v11, v12
	v_cndmask_b32_e64 v11, 0, 1, s[24:25]
	s_add_i32 s38, s11, -1
	s_mul_hi_i32 s39, s12, s12
	s_mul_i32 s40, s12, s12
	s_ashr_i32 s41, s12, 31
	v_mul_lo_u32 v25, v0, s12
	s_lshl_b32 s42, s12, 5
	s_mov_b64 s[22:23], 0
	v_cmp_ne_u32_e64 s[2:3], 1, v11
	v_mov_b32_e32 v11, 0
	v_mov_b32_e32 v26, 0
	;; [unrolled: 1-line block ×3, first 2 shown]
	s_branch .LBB8_10
.LBB8_9:                                ;   in Loop: Header=BB8_10 Depth=1
	s_waitcnt lgkmcnt(0)
	v_add_u32_e32 v10, 1, v28
	v_cmp_le_i32_e32 vcc, s10, v10
	s_or_b64 s[22:23], vcc, s[22:23]
	s_andn2_b64 exec, exec, s[22:23]
	s_cbranch_execz .LBB8_37
.LBB8_10:                               ; =>This Loop Header: Depth=1
                                        ;     Child Loop BB8_14 Depth 2
                                        ;       Child Loop BB8_17 Depth 3
                                        ;     Child Loop BB8_31 Depth 2
	s_and_b64 vcc, exec, s[2:3]
	v_mov_b32_e32 v28, s10
	s_cbranch_vccnz .LBB8_23
; %bb.11:                               ;   in Loop: Header=BB8_10 Depth=1
	s_mov_b32 s20, 0
	v_mov_b32_e32 v28, s10
	s_branch .LBB8_14
.LBB8_12:                               ;   in Loop: Header=BB8_14 Depth=2
	s_or_b64 exec, exec, s[26:27]
.LBB8_13:                               ;   in Loop: Header=BB8_14 Depth=2
	s_or_b64 exec, exec, s[24:25]
	s_add_i32 s20, s20, 1
	s_cmp_eq_u32 s20, s13
	s_cbranch_scc1 .LBB8_23
.LBB8_14:                               ;   Parent Loop BB8_10 Depth=1
                                        ; =>  This Loop Header: Depth=2
                                        ;       Child Loop BB8_17 Depth 3
	s_lshl_b64 s[24:25], s[20:21], 2
	v_lshl_add_u64 v[12:13], v[2:3], 0, s[24:25]
	v_lshl_add_u64 v[14:15], v[4:5], 0, s[24:25]
	global_load_dword v20, v[12:13], off
	global_load_dword v30, v[14:15], off
	v_lshl_add_u64 v[14:15], v[8:9], 0, s[24:25]
	v_lshl_add_u64 v[16:17], v[6:7], 0, s[24:25]
	v_mov_b32_e32 v18, s10
	global_store_dword v[14:15], v11, off
	global_store_dword v[16:17], v18, off
	s_waitcnt vmcnt(2)
	v_cmp_lt_i32_e32 vcc, v20, v30
	s_and_saveexec_b64 s[24:25], vcc
	s_cbranch_execz .LBB8_13
; %bb.15:                               ;   in Loop: Header=BB8_14 Depth=2
	v_ashrrev_i32_e32 v21, 31, v20
	s_waitcnt lgkmcnt(0)
	v_lshl_add_u64 v[22:23], v[20:21], 2, s[18:19]
	s_mov_b64 s[26:27], 0
                                        ; implicit-def: $sgpr28_sgpr29
                                        ; implicit-def: $sgpr34_sgpr35
                                        ; implicit-def: $sgpr30_sgpr31
	s_branch .LBB8_17
.LBB8_16:                               ;   in Loop: Header=BB8_17 Depth=3
	s_or_b64 exec, exec, s[36:37]
	s_and_b64 s[36:37], exec, s[34:35]
	s_or_b64 s[26:27], s[36:37], s[26:27]
	s_andn2_b64 s[28:29], s[28:29], exec
	s_and_b64 s[36:37], s[30:31], exec
	s_or_b64 s[28:29], s[28:29], s[36:37]
	s_andn2_b64 exec, exec, s[26:27]
	s_cbranch_execz .LBB8_19
.LBB8_17:                               ;   Parent Loop BB8_10 Depth=1
                                        ;     Parent Loop BB8_14 Depth=2
                                        ; =>    This Inner Loop Header: Depth=3
	global_load_dword v29, v[22:23], off
	v_mov_b64_e32 v[18:19], v[20:21]
	s_or_b64 s[30:31], s[30:31], exec
	s_or_b64 s[34:35], s[34:35], exec
                                        ; implicit-def: $vgpr20_vgpr21
	s_waitcnt vmcnt(0)
	v_subrev_u32_e32 v29, s14, v29
	v_cmp_lt_i32_e32 vcc, v29, v10
	s_and_saveexec_b64 s[36:37], vcc
	s_cbranch_execz .LBB8_16
; %bb.18:                               ;   in Loop: Header=BB8_17 Depth=3
	v_lshl_add_u64 v[20:21], v[18:19], 0, 1
	v_cmp_ge_i32_e32 vcc, v20, v30
	s_andn2_b64 s[34:35], s[34:35], exec
	s_and_b64 s[44:45], vcc, exec
	v_lshl_add_u64 v[22:23], v[22:23], 0, 4
	s_andn2_b64 s[30:31], s[30:31], exec
	s_or_b64 s[34:35], s[34:35], s[44:45]
	s_branch .LBB8_16
.LBB8_19:                               ;   in Loop: Header=BB8_14 Depth=2
	s_or_b64 exec, exec, s[26:27]
	s_xor_b64 s[26:27], s[28:29], -1
	v_lshl_add_u64 v[20:21], v[18:19], 2, s[4:5]
	s_and_saveexec_b64 s[28:29], s[26:27]
	s_xor_b64 s[26:27], exec, s[28:29]
	s_cbranch_execz .LBB8_21
; %bb.20:                               ;   in Loop: Header=BB8_14 Depth=2
	global_load_dword v12, v[20:21], off
                                        ; implicit-def: $vgpr20_vgpr21
	s_waitcnt vmcnt(0)
	global_store_dword v[14:15], v12, off
	global_store_dword v[16:17], v29, off
                                        ; implicit-def: $vgpr14_vgpr15
                                        ; implicit-def: $vgpr16_vgpr17
                                        ; implicit-def: $vgpr12_vgpr13
.LBB8_21:                               ;   in Loop: Header=BB8_14 Depth=2
	s_andn2_saveexec_b64 s[26:27], s[26:27]
	s_cbranch_execz .LBB8_12
; %bb.22:                               ;   in Loop: Header=BB8_14 Depth=2
	global_load_dword v19, v[20:21], off
	v_min_i32_e32 v28, v29, v28
	global_store_dword v[16:17], v29, off
	s_waitcnt vmcnt(1)
	global_store_dword v[14:15], v19, off
	global_store_dword v[12:13], v18, off
	s_branch .LBB8_12
.LBB8_23:                               ;   in Loop: Header=BB8_10 Depth=1
	s_nop 0
	v_mov_b32_dpp v10, v28 row_shr:1 row_mask:0xf bank_mask:0xf
	v_min_i32_e32 v10, v10, v28
	s_nop 1
	v_mov_b32_dpp v12, v10 row_shr:2 row_mask:0xf bank_mask:0xf
	v_min_i32_e32 v10, v12, v10
	;; [unrolled: 3-line block ×4, first 2 shown]
	s_nop 1
	v_mov_b32_dpp v12, v10 row_bcast:15 row_mask:0xa bank_mask:0xf
	v_min_i32_e32 v10, v12, v10
	v_cmp_gt_i32_e32 vcc, s10, v10
	s_and_b64 s[26:27], s[0:1], vcc
	s_and_saveexec_b64 s[24:25], s[26:27]
	s_cbranch_execz .LBB8_27
; %bb.24:                               ;   in Loop: Header=BB8_10 Depth=1
	v_sub_u32_e32 v13, 0, v10
	v_max_i32_e32 v13, v10, v13
	v_mul_hi_u32 v14, v13, v24
	v_mul_lo_u32 v15, v14, s15
	v_sub_u32_e32 v13, v13, v15
	v_add_u32_e32 v15, 1, v14
	v_cmp_le_u32_e32 vcc, s15, v13
	v_ashrrev_i32_e32 v12, 31, v10
	v_xor_b32_e32 v12, s41, v12
	v_cndmask_b32_e32 v14, v14, v15, vcc
	v_subrev_u32_e32 v15, s15, v13
	v_cndmask_b32_e32 v13, v13, v15, vcc
	v_add_u32_e32 v15, 1, v14
	v_cmp_le_u32_e32 vcc, s15, v13
	s_nop 1
	v_cndmask_b32_e32 v13, v14, v15, vcc
	v_xor_b32_e32 v13, v13, v12
	v_sub_u32_e32 v12, v13, v12
	v_cmp_ge_i32_e32 vcc, v12, v26
	s_and_saveexec_b64 s[26:27], vcc
	s_cbranch_execz .LBB8_26
; %bb.25:                               ;   in Loop: Header=BB8_10 Depth=1
	v_add_u32_e32 v14, s11, v27
	v_add_u32_e32 v13, 1, v27
	v_ashrrev_i32_e32 v15, 31, v14
	v_add_u32_e32 v26, 1, v12
	s_waitcnt lgkmcnt(0)
	v_lshl_add_u64 v[14:15], v[14:15], 2, s[6:7]
	v_add_u32_e32 v12, s33, v12
	v_mov_b32_e32 v27, v13
	global_store_dword v[14:15], v12, off
.LBB8_26:                               ;   in Loop: Header=BB8_10 Depth=1
	s_or_b64 exec, exec, s[26:27]
.LBB8_27:                               ;   in Loop: Header=BB8_10 Depth=1
	s_or_b64 exec, exec, s[24:25]
	ds_bpermute_b32 v28, v1, v10
	ds_bpermute_b32 v27, v1, v27
	s_and_b64 vcc, exec, s[2:3]
	s_cbranch_vccnz .LBB8_9
; %bb.28:                               ;   in Loop: Header=BB8_10 Depth=1
	s_waitcnt lgkmcnt(0)
	v_add_u32_e32 v10, s38, v27
	v_ashrrev_i32_e32 v12, 31, v10
	v_mul_lo_u32 v14, s40, v12
	v_mul_lo_u32 v15, s39, v10
	v_mad_u64_u32 v[12:13], s[24:25], s40, v10, 0
	v_add3_u32 v13, v13, v14, v15
	v_sub_u32_e32 v14, 0, v28
	v_max_i32_e32 v14, v28, v14
	v_mul_hi_u32 v15, v14, v24
	v_mul_lo_u32 v16, v15, s15
	v_sub_u32_e32 v14, v14, v16
	v_add_u32_e32 v16, 1, v15
	v_cmp_le_u32_e32 vcc, s15, v14
	v_ashrrev_i32_e32 v10, 31, v28
	v_xor_b32_e32 v10, s41, v10
	v_cndmask_b32_e32 v15, v15, v16, vcc
	v_subrev_u32_e32 v16, s15, v14
	v_cndmask_b32_e32 v14, v14, v16, vcc
	v_add_u32_e32 v16, 1, v15
	v_cmp_le_u32_e32 vcc, s15, v14
	v_lshl_add_u64 v[12:13], v[12:13], 2, s[16:17]
	s_mov_b32 s20, s13
	v_cndmask_b32_e32 v14, v15, v16, vcc
	v_xor_b32_e32 v14, v14, v10
	v_sub_u32_e32 v29, v14, v10
	v_mov_b64_e32 v[14:15], v[8:9]
	v_mov_b64_e32 v[16:17], v[6:7]
	v_mov_b32_e32 v18, v0
	v_mov_b32_e32 v10, v25
	s_branch .LBB8_31
.LBB8_29:                               ;   in Loop: Header=BB8_31 Depth=2
	v_lshl_add_u64 v[20:21], v[20:21], 2, v[12:13]
	v_lshl_add_u64 v[20:21], v[22:23], 2, v[20:21]
	s_waitcnt vmcnt(0)
	global_store_dword v[20:21], v32, off
.LBB8_30:                               ;   in Loop: Header=BB8_31 Depth=2
	s_or_b64 exec, exec, s[24:25]
	s_add_i32 s20, s20, -1
	v_add_u32_e32 v10, s42, v10
	v_add_u32_e32 v18, 32, v18
	v_lshl_add_u64 v[16:17], v[16:17], 0, 4
	s_cmp_eq_u32 s20, 0
	v_lshl_add_u64 v[14:15], v[14:15], 0, 4
	s_cbranch_scc1 .LBB8_9
.LBB8_31:                               ;   Parent Loop BB8_10 Depth=1
                                        ; =>  This Inner Loop Header: Depth=2
	global_load_dword v19, v[16:17], off
	s_waitcnt vmcnt(0)
	v_cmp_gt_i32_e32 vcc, s10, v19
	s_and_saveexec_b64 s[24:25], vcc
	s_cbranch_execz .LBB8_30
; %bb.32:                               ;   in Loop: Header=BB8_31 Depth=2
	v_sub_u32_e32 v21, 0, v19
	v_max_i32_e32 v21, v19, v21
	v_mul_hi_u32 v22, v21, v24
	v_mul_lo_u32 v23, v22, s15
	v_sub_u32_e32 v31, v21, v23
	v_add_u32_e32 v21, 1, v22
	v_cmp_le_u32_e32 vcc, s15, v31
	v_subrev_u32_e32 v33, s15, v31
	v_ashrrev_i32_e32 v30, 31, v19
	v_cndmask_b32_e32 v21, v22, v21, vcc
	v_cndmask_b32_e32 v22, v31, v33, vcc
	v_add_u32_e32 v23, 1, v21
	v_cmp_le_u32_e32 vcc, s15, v22
	v_xor_b32_e32 v20, s41, v30
	s_nop 0
	v_cndmask_b32_e32 v21, v21, v23, vcc
	v_xor_b32_e32 v21, v21, v20
	v_sub_u32_e32 v20, v21, v20
	v_cmp_eq_u32_e32 vcc, v20, v29
	s_and_b64 exec, exec, vcc
	s_cbranch_execz .LBB8_30
; %bb.33:                               ;   in Loop: Header=BB8_31 Depth=2
	global_load_dword v32, v[14:15], off
	s_and_b64 vcc, exec, s[8:9]
	s_cbranch_vccz .LBB8_35
; %bb.34:                               ;   in Loop: Header=BB8_31 Depth=2
	v_mul_lo_u32 v20, v29, s12
	v_sub_u32_e32 v19, v19, v20
	v_mul_lo_u32 v20, v19, s12
	v_mov_b32_e32 v19, v11
	v_ashrrev_i32_e32 v21, 31, v20
	v_mov_b64_e32 v[22:23], v[18:19]
	s_cbranch_execnz .LBB8_29
	s_branch .LBB8_36
.LBB8_35:                               ;   in Loop: Header=BB8_31 Depth=2
                                        ; implicit-def: $vgpr22_vgpr23
                                        ; implicit-def: $vgpr20_vgpr21
.LBB8_36:                               ;   in Loop: Header=BB8_31 Depth=2
	v_cmp_le_u32_e32 vcc, s15, v31
	s_nop 1
	v_cndmask_b32_e32 v19, v31, v33, vcc
	v_subrev_u32_e32 v20, s15, v19
	v_cmp_le_u32_e32 vcc, s15, v19
	s_nop 1
	v_cndmask_b32_e32 v19, v19, v20, vcc
	v_xor_b32_e32 v19, v19, v30
	v_sub_u32_e32 v22, v19, v30
	v_ashrrev_i32_e32 v23, 31, v22
	v_mov_b64_e32 v[20:21], v[10:11]
	s_branch .LBB8_29
.LBB8_37:
	s_endpgm
	.section	.rodata,"a",@progbits
	.p2align	6, 0x0
	.amdhsa_kernel _ZN9rocsparseL21csr2bsr_65_inf_kernelILj32EiiiEEv20rocsparse_direction_T2_S2_S2_S2_S2_S2_21rocsparse_index_base_PKT0_PKT1_PKS2_S3_PS4_PS7_PS2_SD_SE_SC_
		.amdhsa_group_segment_fixed_size 0
		.amdhsa_private_segment_fixed_size 0
		.amdhsa_kernarg_size 112
		.amdhsa_user_sgpr_count 2
		.amdhsa_user_sgpr_dispatch_ptr 0
		.amdhsa_user_sgpr_queue_ptr 0
		.amdhsa_user_sgpr_kernarg_segment_ptr 1
		.amdhsa_user_sgpr_dispatch_id 0
		.amdhsa_user_sgpr_kernarg_preload_length 0
		.amdhsa_user_sgpr_kernarg_preload_offset 0
		.amdhsa_user_sgpr_private_segment_size 0
		.amdhsa_uses_dynamic_stack 0
		.amdhsa_enable_private_segment 0
		.amdhsa_system_sgpr_workgroup_id_x 1
		.amdhsa_system_sgpr_workgroup_id_y 0
		.amdhsa_system_sgpr_workgroup_id_z 0
		.amdhsa_system_sgpr_workgroup_info 0
		.amdhsa_system_vgpr_workitem_id 0
		.amdhsa_next_free_vgpr 34
		.amdhsa_next_free_sgpr 46
		.amdhsa_accum_offset 36
		.amdhsa_reserve_vcc 1
		.amdhsa_float_round_mode_32 0
		.amdhsa_float_round_mode_16_64 0
		.amdhsa_float_denorm_mode_32 3
		.amdhsa_float_denorm_mode_16_64 3
		.amdhsa_dx10_clamp 1
		.amdhsa_ieee_mode 1
		.amdhsa_fp16_overflow 0
		.amdhsa_tg_split 0
		.amdhsa_exception_fp_ieee_invalid_op 0
		.amdhsa_exception_fp_denorm_src 0
		.amdhsa_exception_fp_ieee_div_zero 0
		.amdhsa_exception_fp_ieee_overflow 0
		.amdhsa_exception_fp_ieee_underflow 0
		.amdhsa_exception_fp_ieee_inexact 0
		.amdhsa_exception_int_div_zero 0
	.end_amdhsa_kernel
	.section	.text._ZN9rocsparseL21csr2bsr_65_inf_kernelILj32EiiiEEv20rocsparse_direction_T2_S2_S2_S2_S2_S2_21rocsparse_index_base_PKT0_PKT1_PKS2_S3_PS4_PS7_PS2_SD_SE_SC_,"axG",@progbits,_ZN9rocsparseL21csr2bsr_65_inf_kernelILj32EiiiEEv20rocsparse_direction_T2_S2_S2_S2_S2_S2_21rocsparse_index_base_PKT0_PKT1_PKS2_S3_PS4_PS7_PS2_SD_SE_SC_,comdat
.Lfunc_end8:
	.size	_ZN9rocsparseL21csr2bsr_65_inf_kernelILj32EiiiEEv20rocsparse_direction_T2_S2_S2_S2_S2_S2_21rocsparse_index_base_PKT0_PKT1_PKS2_S3_PS4_PS7_PS2_SD_SE_SC_, .Lfunc_end8-_ZN9rocsparseL21csr2bsr_65_inf_kernelILj32EiiiEEv20rocsparse_direction_T2_S2_S2_S2_S2_S2_21rocsparse_index_base_PKT0_PKT1_PKS2_S3_PS4_PS7_PS2_SD_SE_SC_
                                        ; -- End function
	.section	.AMDGPU.csdata,"",@progbits
; Kernel info:
; codeLenInByte = 1728
; NumSgprs: 52
; NumVgprs: 34
; NumAgprs: 0
; TotalNumVgprs: 34
; ScratchSize: 0
; MemoryBound: 0
; FloatMode: 240
; IeeeMode: 1
; LDSByteSize: 0 bytes/workgroup (compile time only)
; SGPRBlocks: 6
; VGPRBlocks: 4
; NumSGPRsForWavesPerEU: 52
; NumVGPRsForWavesPerEU: 34
; AccumOffset: 36
; Occupancy: 8
; WaveLimiterHint : 0
; COMPUTE_PGM_RSRC2:SCRATCH_EN: 0
; COMPUTE_PGM_RSRC2:USER_SGPR: 2
; COMPUTE_PGM_RSRC2:TRAP_HANDLER: 0
; COMPUTE_PGM_RSRC2:TGID_X_EN: 1
; COMPUTE_PGM_RSRC2:TGID_Y_EN: 0
; COMPUTE_PGM_RSRC2:TGID_Z_EN: 0
; COMPUTE_PGM_RSRC2:TIDIG_COMP_CNT: 0
; COMPUTE_PGM_RSRC3_GFX90A:ACCUM_OFFSET: 8
; COMPUTE_PGM_RSRC3_GFX90A:TG_SPLIT: 0
	.section	.text._ZN9rocsparseL35csr2bsr_block_dim_equals_one_kernelILj256EiliEEvT2_S1_S1_S1_21rocsparse_index_base_PKT0_PKT1_PKS1_S2_PS3_PS6_PS1_,"axG",@progbits,_ZN9rocsparseL35csr2bsr_block_dim_equals_one_kernelILj256EiliEEvT2_S1_S1_S1_21rocsparse_index_base_PKT0_PKT1_PKS1_S2_PS3_PS6_PS1_,comdat
	.globl	_ZN9rocsparseL35csr2bsr_block_dim_equals_one_kernelILj256EiliEEvT2_S1_S1_S1_21rocsparse_index_base_PKT0_PKT1_PKS1_S2_PS3_PS6_PS1_ ; -- Begin function _ZN9rocsparseL35csr2bsr_block_dim_equals_one_kernelILj256EiliEEvT2_S1_S1_S1_21rocsparse_index_base_PKT0_PKT1_PKS1_S2_PS3_PS6_PS1_
	.p2align	8
	.type	_ZN9rocsparseL35csr2bsr_block_dim_equals_one_kernelILj256EiliEEvT2_S1_S1_S1_21rocsparse_index_base_PKT0_PKT1_PKS1_S2_PS3_PS6_PS1_,@function
_ZN9rocsparseL35csr2bsr_block_dim_equals_one_kernelILj256EiliEEvT2_S1_S1_S1_21rocsparse_index_base_PKT0_PKT1_PKS1_S2_PS3_PS6_PS1_: ; @_ZN9rocsparseL35csr2bsr_block_dim_equals_one_kernelILj256EiliEEvT2_S1_S1_S1_21rocsparse_index_base_PKT0_PKT1_PKS1_S2_PS3_PS6_PS1_
; %bb.0:
	s_load_dword s8, s[0:1], 0x0
	s_load_dwordx4 s[4:7], s[0:1], 0x18
	v_lshl_or_b32 v0, s2, 8, v0
	v_ashrrev_i32_e32 v1, 31, v0
	s_waitcnt lgkmcnt(0)
	s_ashr_i32 s9, s8, 31
	s_lshl_b64 s[8:9], s[8:9], 3
	s_add_u32 s8, s6, s8
	s_addc_u32 s9, s7, s9
	s_load_dwordx2 s[10:11], s[8:9], 0x0
	s_load_dwordx2 s[12:13], s[6:7], 0x0
	s_waitcnt lgkmcnt(0)
	s_sub_u32 s2, s10, s12
	s_subb_u32 s3, s11, s13
	v_cmp_gt_i64_e32 vcc, s[2:3], v[0:1]
	s_and_saveexec_b64 s[6:7], vcc
	s_cbranch_execz .LBB9_3
; %bb.1:
	s_load_dword s12, s[0:1], 0x30
	s_load_dwordx2 s[6:7], s[0:1], 0x38
	s_load_dword s13, s[0:1], 0x10
	s_load_dword s14, s[0:1], 0x50
	s_load_dwordx2 s[8:9], s[0:1], 0x28
	s_load_dwordx2 s[10:11], s[0:1], 0x48
	s_mov_b32 s1, 0
	s_waitcnt lgkmcnt(0)
	s_sub_i32 s16, s12, s13
	s_lshl_b32 s0, s14, 8
	v_lshlrev_b64 v[2:3], 2, v[0:1]
	s_lshl_b64 s[12:13], s[0:1], 2
	s_mov_b64 s[14:15], 0
.LBB9_2:                                ; =>This Inner Loop Header: Depth=1
	v_lshl_add_u64 v[4:5], s[8:9], 0, v[2:3]
	global_load_dword v8, v[4:5], off
	v_lshl_add_u64 v[4:5], s[10:11], 0, v[2:3]
	v_lshl_add_u64 v[6:7], s[4:5], 0, v[2:3]
	;; [unrolled: 1-line block ×3, first 2 shown]
	v_cmp_le_i64_e32 vcc, s[2:3], v[0:1]
	s_or_b64 s[14:15], vcc, s[14:15]
	s_waitcnt vmcnt(0)
	v_add_u32_e32 v8, s16, v8
	global_store_dword v[4:5], v8, off
	global_load_dword v6, v[6:7], off
	v_lshl_add_u64 v[4:5], s[6:7], 0, v[2:3]
	v_lshl_add_u64 v[2:3], v[2:3], 0, s[12:13]
	s_waitcnt vmcnt(0)
	global_store_dword v[4:5], v6, off
	s_andn2_b64 exec, exec, s[14:15]
	s_cbranch_execnz .LBB9_2
.LBB9_3:
	s_endpgm
	.section	.rodata,"a",@progbits
	.p2align	6, 0x0
	.amdhsa_kernel _ZN9rocsparseL35csr2bsr_block_dim_equals_one_kernelILj256EiliEEvT2_S1_S1_S1_21rocsparse_index_base_PKT0_PKT1_PKS1_S2_PS3_PS6_PS1_
		.amdhsa_group_segment_fixed_size 0
		.amdhsa_private_segment_fixed_size 0
		.amdhsa_kernarg_size 336
		.amdhsa_user_sgpr_count 2
		.amdhsa_user_sgpr_dispatch_ptr 0
		.amdhsa_user_sgpr_queue_ptr 0
		.amdhsa_user_sgpr_kernarg_segment_ptr 1
		.amdhsa_user_sgpr_dispatch_id 0
		.amdhsa_user_sgpr_kernarg_preload_length 0
		.amdhsa_user_sgpr_kernarg_preload_offset 0
		.amdhsa_user_sgpr_private_segment_size 0
		.amdhsa_uses_dynamic_stack 0
		.amdhsa_enable_private_segment 0
		.amdhsa_system_sgpr_workgroup_id_x 1
		.amdhsa_system_sgpr_workgroup_id_y 0
		.amdhsa_system_sgpr_workgroup_id_z 0
		.amdhsa_system_sgpr_workgroup_info 0
		.amdhsa_system_vgpr_workitem_id 0
		.amdhsa_next_free_vgpr 9
		.amdhsa_next_free_sgpr 17
		.amdhsa_accum_offset 12
		.amdhsa_reserve_vcc 1
		.amdhsa_float_round_mode_32 0
		.amdhsa_float_round_mode_16_64 0
		.amdhsa_float_denorm_mode_32 3
		.amdhsa_float_denorm_mode_16_64 3
		.amdhsa_dx10_clamp 1
		.amdhsa_ieee_mode 1
		.amdhsa_fp16_overflow 0
		.amdhsa_tg_split 0
		.amdhsa_exception_fp_ieee_invalid_op 0
		.amdhsa_exception_fp_denorm_src 0
		.amdhsa_exception_fp_ieee_div_zero 0
		.amdhsa_exception_fp_ieee_overflow 0
		.amdhsa_exception_fp_ieee_underflow 0
		.amdhsa_exception_fp_ieee_inexact 0
		.amdhsa_exception_int_div_zero 0
	.end_amdhsa_kernel
	.section	.text._ZN9rocsparseL35csr2bsr_block_dim_equals_one_kernelILj256EiliEEvT2_S1_S1_S1_21rocsparse_index_base_PKT0_PKT1_PKS1_S2_PS3_PS6_PS1_,"axG",@progbits,_ZN9rocsparseL35csr2bsr_block_dim_equals_one_kernelILj256EiliEEvT2_S1_S1_S1_21rocsparse_index_base_PKT0_PKT1_PKS1_S2_PS3_PS6_PS1_,comdat
.Lfunc_end9:
	.size	_ZN9rocsparseL35csr2bsr_block_dim_equals_one_kernelILj256EiliEEvT2_S1_S1_S1_21rocsparse_index_base_PKT0_PKT1_PKS1_S2_PS3_PS6_PS1_, .Lfunc_end9-_ZN9rocsparseL35csr2bsr_block_dim_equals_one_kernelILj256EiliEEvT2_S1_S1_S1_21rocsparse_index_base_PKT0_PKT1_PKS1_S2_PS3_PS6_PS1_
                                        ; -- End function
	.section	.AMDGPU.csdata,"",@progbits
; Kernel info:
; codeLenInByte = 280
; NumSgprs: 23
; NumVgprs: 9
; NumAgprs: 0
; TotalNumVgprs: 9
; ScratchSize: 0
; MemoryBound: 0
; FloatMode: 240
; IeeeMode: 1
; LDSByteSize: 0 bytes/workgroup (compile time only)
; SGPRBlocks: 2
; VGPRBlocks: 1
; NumSGPRsForWavesPerEU: 23
; NumVGPRsForWavesPerEU: 9
; AccumOffset: 12
; Occupancy: 8
; WaveLimiterHint : 0
; COMPUTE_PGM_RSRC2:SCRATCH_EN: 0
; COMPUTE_PGM_RSRC2:USER_SGPR: 2
; COMPUTE_PGM_RSRC2:TRAP_HANDLER: 0
; COMPUTE_PGM_RSRC2:TGID_X_EN: 1
; COMPUTE_PGM_RSRC2:TGID_Y_EN: 0
; COMPUTE_PGM_RSRC2:TGID_Z_EN: 0
; COMPUTE_PGM_RSRC2:TIDIG_COMP_CNT: 0
; COMPUTE_PGM_RSRC3_GFX90A:ACCUM_OFFSET: 2
; COMPUTE_PGM_RSRC3_GFX90A:TG_SPLIT: 0
	.section	.text._ZN9rocsparseL42csr2bsr_wavefront_per_row_multipass_kernelILj256ELj16ELj4EiliEEv20rocsparse_direction_T4_S2_S2_S2_S2_21rocsparse_index_base_PKT2_PKT3_PKS2_S3_PS4_PS7_PS2_,"axG",@progbits,_ZN9rocsparseL42csr2bsr_wavefront_per_row_multipass_kernelILj256ELj16ELj4EiliEEv20rocsparse_direction_T4_S2_S2_S2_S2_21rocsparse_index_base_PKT2_PKT3_PKS2_S3_PS4_PS7_PS2_,comdat
	.globl	_ZN9rocsparseL42csr2bsr_wavefront_per_row_multipass_kernelILj256ELj16ELj4EiliEEv20rocsparse_direction_T4_S2_S2_S2_S2_21rocsparse_index_base_PKT2_PKT3_PKS2_S3_PS4_PS7_PS2_ ; -- Begin function _ZN9rocsparseL42csr2bsr_wavefront_per_row_multipass_kernelILj256ELj16ELj4EiliEEv20rocsparse_direction_T4_S2_S2_S2_S2_21rocsparse_index_base_PKT2_PKT3_PKS2_S3_PS4_PS7_PS2_
	.p2align	8
	.type	_ZN9rocsparseL42csr2bsr_wavefront_per_row_multipass_kernelILj256ELj16ELj4EiliEEv20rocsparse_direction_T4_S2_S2_S2_S2_21rocsparse_index_base_PKT2_PKT3_PKS2_S3_PS4_PS7_PS2_,@function
_ZN9rocsparseL42csr2bsr_wavefront_per_row_multipass_kernelILj256ELj16ELj4EiliEEv20rocsparse_direction_T4_S2_S2_S2_S2_21rocsparse_index_base_PKT2_PKT3_PKS2_S3_PS4_PS7_PS2_: ; @_ZN9rocsparseL42csr2bsr_wavefront_per_row_multipass_kernelILj256ELj16ELj4EiliEEv20rocsparse_direction_T4_S2_S2_S2_S2_21rocsparse_index_base_PKT2_PKT3_PKS2_S3_PS4_PS7_PS2_
; %bb.0:
	s_load_dwordx2 s[14:15], s[0:1], 0x0
	s_load_dwordx4 s[4:7], s[0:1], 0xc
	s_load_dwordx2 s[8:9], s[0:1], 0x28
	v_lshrrev_b32_e32 v22, 4, v0
	v_bfe_u32 v10, v0, 2, 2
	v_lshl_or_b32 v6, s2, 4, v22
	s_waitcnt lgkmcnt(0)
	v_mad_u64_u32 v[4:5], s[2:3], v6, s6, v[10:11]
	v_cmp_gt_i32_e64 s[2:3], s15, v4
	v_cmp_gt_i32_e32 vcc, s6, v10
	v_mov_b64_e32 v[2:3], 0
	s_and_b64 s[10:11], vcc, s[2:3]
	v_mov_b64_e32 v[8:9], v[2:3]
	s_and_saveexec_b64 s[12:13], s[10:11]
	s_cbranch_execz .LBB10_2
; %bb.1:
	v_ashrrev_i32_e32 v5, 31, v4
	v_lshl_add_u64 v[8:9], v[4:5], 3, s[8:9]
	global_load_dwordx2 v[8:9], v[8:9], off
	s_waitcnt vmcnt(0)
	v_subrev_co_u32_e64 v8, s[2:3], s7, v8
	s_nop 1
	v_subbrev_co_u32_e64 v9, s[2:3], 0, v9, s[2:3]
.LBB10_2:
	s_or_b64 exec, exec, s[12:13]
	s_and_saveexec_b64 s[12:13], s[10:11]
	s_cbranch_execz .LBB10_4
; %bb.3:
	v_ashrrev_i32_e32 v5, 31, v4
	v_lshl_add_u64 v[2:3], v[4:5], 3, s[8:9]
	global_load_dwordx2 v[2:3], v[2:3], off offset:8
	s_waitcnt vmcnt(0)
	v_subrev_co_u32_e64 v2, s[2:3], s7, v2
	s_nop 1
	v_subbrev_co_u32_e64 v3, s[2:3], 0, v3, s[2:3]
.LBB10_4:
	s_or_b64 exec, exec, s[12:13]
	s_load_dword s20, s[0:1], 0x38
	v_cmp_gt_i32_e64 s[2:3], s4, v6
	v_mov_b64_e32 v[4:5], 0
	s_and_saveexec_b64 s[8:9], s[2:3]
	s_cbranch_execz .LBB10_6
; %bb.5:
	s_load_dwordx2 s[2:3], s[0:1], 0x48
	v_ashrrev_i32_e32 v7, 31, v6
	s_waitcnt lgkmcnt(0)
	v_lshl_add_u64 v[4:5], v[6:7], 3, s[2:3]
	global_load_dwordx2 v[4:5], v[4:5], off
	s_waitcnt vmcnt(0)
	v_subrev_co_u32_e64 v4, s[2:3], s20, v4
	s_nop 1
	v_subbrev_co_u32_e64 v5, s[2:3], 0, v5, s[2:3]
.LBB10_6:
	s_or_b64 exec, exec, s[8:9]
	s_cmp_lt_i32 s5, 1
	s_cbranch_scc1 .LBB10_21
; %bb.7:
	s_load_dwordx2 s[2:3], s[0:1], 0x20
	s_load_dwordx2 s[8:9], s[0:1], 0x50
	;; [unrolled: 1-line block ×4, first 2 shown]
	v_lshlrev_b32_e32 v12, 2, v10
	s_movk_i32 s0, 0xf0
	v_and_b32_e32 v6, 3, v0
	v_and_or_b32 v23, v0, s0, v12
	v_or_b32_e32 v0, v23, v6
	v_lshlrev_b32_e32 v24, 2, v0
	v_mov_b32_e32 v7, 0
	v_mbcnt_lo_u32_b32 v0, -1, 0
	v_cmp_gt_u32_e64 s[0:1], s6, v6
	v_mbcnt_hi_u32_b32 v14, -1, v0
	s_and_b64 s[12:13], vcc, s[0:1]
	v_mul_lo_u32 v0, v6, s6
	v_mov_b32_e32 v1, v7
	s_cmp_eq_u32 s14, 0
	s_waitcnt lgkmcnt(0)
	v_lshl_add_u64 v[0:1], v[0:1], 2, s[16:17]
	v_mov_b32_e32 v13, v7
	v_mul_lo_u32 v10, v10, s6
	v_mov_b32_e32 v11, v7
	v_lshl_add_u64 v[0:1], v[0:1], 0, v[12:13]
	v_lshl_add_u64 v[10:11], v[10:11], 2, s[16:17]
	v_lshlrev_b32_e32 v12, 2, v6
	s_cselect_b64 vcc, -1, 0
	s_abs_i32 s4, s6
	v_lshl_add_u64 v[10:11], v[10:11], 0, v[12:13]
	v_cvt_f32_u32_e32 v12, s4
	v_cndmask_b32_e32 v1, v1, v11, vcc
	s_sub_i32 s0, 0, s4
	v_cndmask_b32_e32 v0, v0, v10, vcc
	v_rcp_iflag_f32_e32 v12, v12
	v_lshlrev_b32_e32 v13, 2, v14
	v_or_b32_e32 v25, 12, v13
	s_mul_hi_u32 s21, s6, s6
	v_mul_f32_e32 v11, 0x4f7ffffe, v12
	v_cvt_u32_f32_e32 v11, v11
	s_mul_i32 s22, s6, s6
	v_or_b32_e32 v26, 60, v13
	s_ashr_i32 s23, s6, 31
	v_mul_lo_u32 v10, s0, v11
	v_mul_hi_u32 v10, v11, v10
	v_add_u32_e32 v27, v11, v10
	s_mov_b64 s[14:15], 0
	v_mov_b64_e32 v[10:11], 0
	v_mov_b32_e32 v28, 1
	s_branch .LBB10_10
.LBB10_8:                               ;   in Loop: Header=BB10_10 Depth=1
	s_or_b64 exec, exec, s[16:17]
	v_mov_b64_e32 v[12:13], 1
.LBB10_9:                               ;   in Loop: Header=BB10_10 Depth=1
	s_or_b64 exec, exec, s[0:1]
	v_mov_b32_dpp v10, v29 row_shr:1 row_mask:0xf bank_mask:0xf
	v_min_i32_e32 v10, v10, v29
	v_lshl_add_u64 v[4:5], v[12:13], 0, v[4:5]
	s_waitcnt lgkmcnt(0)
	v_mov_b32_dpp v11, v10 row_shr:2 row_mask:0xf bank_mask:0xf
	v_min_i32_e32 v10, v11, v10
	s_nop 1
	v_mov_b32_dpp v11, v10 row_shr:4 row_mask:0xf bank_mask:0xe
	v_min_i32_e32 v10, v11, v10
	s_nop 1
	v_mov_b32_dpp v11, v10 row_shr:8 row_mask:0xf bank_mask:0xc
	v_min_i32_e32 v10, v11, v10
	ds_bpermute_b32 v10, v26, v10
	s_waitcnt lgkmcnt(0)
	v_cmp_le_i32_e32 vcc, s5, v10
	v_ashrrev_i32_e32 v11, 31, v10
	s_or_b64 s[14:15], vcc, s[14:15]
	s_andn2_b64 exec, exec, s[14:15]
	s_cbranch_execz .LBB10_21
.LBB10_10:                              ; =>This Loop Header: Depth=1
                                        ;     Child Loop BB10_13 Depth 2
	v_lshl_add_u64 v[8:9], v[8:9], 0, v[6:7]
	v_cmp_lt_i64_e32 vcc, v[8:9], v[2:3]
	v_mov_b32_e32 v29, s5
	v_mov_b64_e32 v[16:17], v[2:3]
	ds_write_b8 v22, v7 offset:1024
	ds_write_b32 v24, v7
	s_waitcnt lgkmcnt(0)
	s_and_saveexec_b64 s[16:17], vcc
	s_cbranch_execz .LBB10_18
; %bb.11:                               ;   in Loop: Header=BB10_10 Depth=1
	v_lshlrev_b64 v[14:15], 2, v[8:9]
	v_lshl_add_u64 v[12:13], s[2:3], 0, v[14:15]
	v_lshl_add_u64 v[14:15], s[10:11], 0, v[14:15]
	s_mov_b64 s[18:19], 0
	v_mov_b32_e32 v29, s5
	v_mov_b64_e32 v[16:17], v[2:3]
	s_branch .LBB10_13
.LBB10_12:                              ;   in Loop: Header=BB10_13 Depth=2
	s_or_b64 exec, exec, s[0:1]
	v_lshl_add_u64 v[8:9], v[8:9], 0, 4
	v_cmp_ge_i64_e64 s[0:1], v[8:9], v[2:3]
	s_xor_b64 s[24:25], vcc, -1
	s_or_b64 s[0:1], s[24:25], s[0:1]
	s_and_b64 s[0:1], exec, s[0:1]
	v_lshl_add_u64 v[12:13], v[12:13], 0, 16
	s_or_b64 s[18:19], s[0:1], s[18:19]
	v_lshl_add_u64 v[14:15], v[14:15], 0, 16
	s_andn2_b64 exec, exec, s[18:19]
	s_cbranch_execz .LBB10_17
.LBB10_13:                              ;   Parent Loop BB10_10 Depth=1
                                        ; =>  This Inner Loop Header: Depth=2
	global_load_dword v18, v[14:15], off
	s_waitcnt vmcnt(0)
	v_subrev_u32_e32 v30, s7, v18
	v_sub_u32_e32 v19, 0, v30
	v_max_i32_e32 v19, v30, v19
	v_mul_hi_u32 v20, v19, v27
	v_mul_lo_u32 v21, v20, s4
	v_sub_u32_e32 v19, v19, v21
	v_add_u32_e32 v31, 1, v20
	v_cmp_le_u32_e32 vcc, s4, v19
	v_subrev_u32_e32 v21, s4, v19
	v_ashrrev_i32_e32 v18, 31, v30
	v_cndmask_b32_e32 v20, v20, v31, vcc
	v_cndmask_b32_e32 v19, v19, v21, vcc
	v_add_u32_e32 v21, 1, v20
	v_cmp_le_u32_e32 vcc, s4, v19
	v_xor_b32_e32 v18, s23, v18
	s_nop 0
	v_cndmask_b32_e32 v19, v20, v21, vcc
	v_xor_b32_e32 v19, v19, v18
	v_sub_u32_e32 v18, v19, v18
	v_ashrrev_i32_e32 v19, 31, v18
	v_cmp_eq_u64_e32 vcc, v[10:11], v[18:19]
	v_cmp_ne_u64_e64 s[0:1], v[10:11], v[18:19]
	v_mov_b64_e32 v[20:21], v[16:17]
	s_and_saveexec_b64 s[24:25], s[0:1]
	s_xor_b64 s[0:1], exec, s[24:25]
; %bb.14:                               ;   in Loop: Header=BB10_13 Depth=2
	v_min_i32_e32 v29, v18, v29
                                        ; implicit-def: $vgpr18
                                        ; implicit-def: $vgpr30
                                        ; implicit-def: $vgpr20_vgpr21
; %bb.15:                               ;   in Loop: Header=BB10_13 Depth=2
	s_or_saveexec_b64 s[0:1], s[0:1]
	v_mov_b64_e32 v[16:17], v[8:9]
	s_xor_b64 exec, exec, s[0:1]
	s_cbranch_execz .LBB10_12
; %bb.16:                               ;   in Loop: Header=BB10_13 Depth=2
	global_load_dword v16, v[12:13], off
	v_mul_lo_u32 v17, v18, s6
	v_sub_u32_e32 v17, v30, v17
	v_add_lshl_u32 v17, v17, v23, 2
	ds_write_b8 v22, v28 offset:1024
	s_waitcnt vmcnt(0)
	ds_write_b32 v17, v16
	v_mov_b64_e32 v[16:17], v[20:21]
	s_branch .LBB10_12
.LBB10_17:                              ;   in Loop: Header=BB10_10 Depth=1
	s_or_b64 exec, exec, s[18:19]
.LBB10_18:                              ;   in Loop: Header=BB10_10 Depth=1
	s_or_b64 exec, exec, s[16:17]
	v_mov_b32_dpp v8, v16 row_shr:1 row_mask:0xf bank_mask:0xf
	v_mov_b32_dpp v9, v17 row_shr:1 row_mask:0xf bank_mask:0xf
	v_cmp_lt_i64_e32 vcc, v[8:9], v[16:17]
	s_waitcnt lgkmcnt(0)
	ds_read_u8 v11, v22 offset:1024
	v_cndmask_b32_e32 v9, v17, v9, vcc
	v_cndmask_b32_e32 v8, v16, v8, vcc
	s_waitcnt lgkmcnt(0)
	v_and_b32_e32 v11, 1, v11
	v_mov_b32_dpp v12, v8 row_shr:2 row_mask:0xf bank_mask:0xf
	v_mov_b32_dpp v13, v9 row_shr:2 row_mask:0xf bank_mask:0xf
	v_cmp_lt_i64_e32 vcc, v[12:13], v[8:9]
	s_nop 1
	v_cndmask_b32_e32 v9, v9, v13, vcc
	v_cndmask_b32_e32 v8, v8, v12, vcc
	ds_bpermute_b32 v8, v25, v8
	ds_bpermute_b32 v9, v25, v9
	v_cmp_eq_u32_e32 vcc, 1, v11
	v_mov_b64_e32 v[12:13], 0
	s_and_saveexec_b64 s[0:1], vcc
	s_cbranch_execz .LBB10_9
; %bb.19:                               ;   in Loop: Header=BB10_10 Depth=1
	v_add_u32_e32 v12, s20, v10
	v_lshl_add_u64 v[10:11], v[4:5], 2, s[8:9]
	global_store_dword v[10:11], v12, off
	s_and_saveexec_b64 s[16:17], s[12:13]
	s_cbranch_execz .LBB10_8
; %bb.20:                               ;   in Loop: Header=BB10_10 Depth=1
	ds_read_b32 v12, v24
	v_mul_lo_u32 v13, s21, v4
	v_mul_lo_u32 v14, s22, v5
	v_mad_u64_u32 v[10:11], s[18:19], s22, v4, 0
	v_add3_u32 v11, v11, v14, v13
	v_lshl_add_u64 v[10:11], v[10:11], 2, v[0:1]
	s_waitcnt lgkmcnt(0)
	global_store_dword v[10:11], v12, off
	s_branch .LBB10_8
.LBB10_21:
	s_endpgm
	.section	.rodata,"a",@progbits
	.p2align	6, 0x0
	.amdhsa_kernel _ZN9rocsparseL42csr2bsr_wavefront_per_row_multipass_kernelILj256ELj16ELj4EiliEEv20rocsparse_direction_T4_S2_S2_S2_S2_21rocsparse_index_base_PKT2_PKT3_PKS2_S3_PS4_PS7_PS2_
		.amdhsa_group_segment_fixed_size 1040
		.amdhsa_private_segment_fixed_size 0
		.amdhsa_kernarg_size 88
		.amdhsa_user_sgpr_count 2
		.amdhsa_user_sgpr_dispatch_ptr 0
		.amdhsa_user_sgpr_queue_ptr 0
		.amdhsa_user_sgpr_kernarg_segment_ptr 1
		.amdhsa_user_sgpr_dispatch_id 0
		.amdhsa_user_sgpr_kernarg_preload_length 0
		.amdhsa_user_sgpr_kernarg_preload_offset 0
		.amdhsa_user_sgpr_private_segment_size 0
		.amdhsa_uses_dynamic_stack 0
		.amdhsa_enable_private_segment 0
		.amdhsa_system_sgpr_workgroup_id_x 1
		.amdhsa_system_sgpr_workgroup_id_y 0
		.amdhsa_system_sgpr_workgroup_id_z 0
		.amdhsa_system_sgpr_workgroup_info 0
		.amdhsa_system_vgpr_workitem_id 0
		.amdhsa_next_free_vgpr 32
		.amdhsa_next_free_sgpr 26
		.amdhsa_accum_offset 32
		.amdhsa_reserve_vcc 1
		.amdhsa_float_round_mode_32 0
		.amdhsa_float_round_mode_16_64 0
		.amdhsa_float_denorm_mode_32 3
		.amdhsa_float_denorm_mode_16_64 3
		.amdhsa_dx10_clamp 1
		.amdhsa_ieee_mode 1
		.amdhsa_fp16_overflow 0
		.amdhsa_tg_split 0
		.amdhsa_exception_fp_ieee_invalid_op 0
		.amdhsa_exception_fp_denorm_src 0
		.amdhsa_exception_fp_ieee_div_zero 0
		.amdhsa_exception_fp_ieee_overflow 0
		.amdhsa_exception_fp_ieee_underflow 0
		.amdhsa_exception_fp_ieee_inexact 0
		.amdhsa_exception_int_div_zero 0
	.end_amdhsa_kernel
	.section	.text._ZN9rocsparseL42csr2bsr_wavefront_per_row_multipass_kernelILj256ELj16ELj4EiliEEv20rocsparse_direction_T4_S2_S2_S2_S2_21rocsparse_index_base_PKT2_PKT3_PKS2_S3_PS4_PS7_PS2_,"axG",@progbits,_ZN9rocsparseL42csr2bsr_wavefront_per_row_multipass_kernelILj256ELj16ELj4EiliEEv20rocsparse_direction_T4_S2_S2_S2_S2_21rocsparse_index_base_PKT2_PKT3_PKS2_S3_PS4_PS7_PS2_,comdat
.Lfunc_end10:
	.size	_ZN9rocsparseL42csr2bsr_wavefront_per_row_multipass_kernelILj256ELj16ELj4EiliEEv20rocsparse_direction_T4_S2_S2_S2_S2_21rocsparse_index_base_PKT2_PKT3_PKS2_S3_PS4_PS7_PS2_, .Lfunc_end10-_ZN9rocsparseL42csr2bsr_wavefront_per_row_multipass_kernelILj256ELj16ELj4EiliEEv20rocsparse_direction_T4_S2_S2_S2_S2_21rocsparse_index_base_PKT2_PKT3_PKS2_S3_PS4_PS7_PS2_
                                        ; -- End function
	.section	.AMDGPU.csdata,"",@progbits
; Kernel info:
; codeLenInByte = 1228
; NumSgprs: 32
; NumVgprs: 32
; NumAgprs: 0
; TotalNumVgprs: 32
; ScratchSize: 0
; MemoryBound: 0
; FloatMode: 240
; IeeeMode: 1
; LDSByteSize: 1040 bytes/workgroup (compile time only)
; SGPRBlocks: 3
; VGPRBlocks: 3
; NumSGPRsForWavesPerEU: 32
; NumVGPRsForWavesPerEU: 32
; AccumOffset: 32
; Occupancy: 8
; WaveLimiterHint : 0
; COMPUTE_PGM_RSRC2:SCRATCH_EN: 0
; COMPUTE_PGM_RSRC2:USER_SGPR: 2
; COMPUTE_PGM_RSRC2:TRAP_HANDLER: 0
; COMPUTE_PGM_RSRC2:TGID_X_EN: 1
; COMPUTE_PGM_RSRC2:TGID_Y_EN: 0
; COMPUTE_PGM_RSRC2:TGID_Z_EN: 0
; COMPUTE_PGM_RSRC2:TIDIG_COMP_CNT: 0
; COMPUTE_PGM_RSRC3_GFX90A:ACCUM_OFFSET: 7
; COMPUTE_PGM_RSRC3_GFX90A:TG_SPLIT: 0
	.section	.text._ZN9rocsparseL42csr2bsr_wavefront_per_row_multipass_kernelILj256ELj64ELj8EiliEEv20rocsparse_direction_T4_S2_S2_S2_S2_21rocsparse_index_base_PKT2_PKT3_PKS2_S3_PS4_PS7_PS2_,"axG",@progbits,_ZN9rocsparseL42csr2bsr_wavefront_per_row_multipass_kernelILj256ELj64ELj8EiliEEv20rocsparse_direction_T4_S2_S2_S2_S2_21rocsparse_index_base_PKT2_PKT3_PKS2_S3_PS4_PS7_PS2_,comdat
	.globl	_ZN9rocsparseL42csr2bsr_wavefront_per_row_multipass_kernelILj256ELj64ELj8EiliEEv20rocsparse_direction_T4_S2_S2_S2_S2_21rocsparse_index_base_PKT2_PKT3_PKS2_S3_PS4_PS7_PS2_ ; -- Begin function _ZN9rocsparseL42csr2bsr_wavefront_per_row_multipass_kernelILj256ELj64ELj8EiliEEv20rocsparse_direction_T4_S2_S2_S2_S2_21rocsparse_index_base_PKT2_PKT3_PKS2_S3_PS4_PS7_PS2_
	.p2align	8
	.type	_ZN9rocsparseL42csr2bsr_wavefront_per_row_multipass_kernelILj256ELj64ELj8EiliEEv20rocsparse_direction_T4_S2_S2_S2_S2_21rocsparse_index_base_PKT2_PKT3_PKS2_S3_PS4_PS7_PS2_,@function
_ZN9rocsparseL42csr2bsr_wavefront_per_row_multipass_kernelILj256ELj64ELj8EiliEEv20rocsparse_direction_T4_S2_S2_S2_S2_21rocsparse_index_base_PKT2_PKT3_PKS2_S3_PS4_PS7_PS2_: ; @_ZN9rocsparseL42csr2bsr_wavefront_per_row_multipass_kernelILj256ELj64ELj8EiliEEv20rocsparse_direction_T4_S2_S2_S2_S2_21rocsparse_index_base_PKT2_PKT3_PKS2_S3_PS4_PS7_PS2_
; %bb.0:
	s_load_dwordx2 s[14:15], s[0:1], 0x0
	s_load_dwordx4 s[4:7], s[0:1], 0xc
	s_load_dwordx2 s[8:9], s[0:1], 0x28
	v_lshrrev_b32_e32 v22, 6, v0
	v_bfe_u32 v10, v0, 3, 3
	v_lshl_or_b32 v6, s2, 2, v22
	s_waitcnt lgkmcnt(0)
	v_mad_u64_u32 v[4:5], s[2:3], v6, s6, v[10:11]
	v_cmp_gt_i32_e64 s[2:3], s15, v4
	v_cmp_gt_i32_e32 vcc, s6, v10
	v_mov_b64_e32 v[2:3], 0
	s_and_b64 s[10:11], vcc, s[2:3]
	v_mov_b64_e32 v[8:9], v[2:3]
	s_and_saveexec_b64 s[12:13], s[10:11]
	s_cbranch_execz .LBB11_2
; %bb.1:
	v_ashrrev_i32_e32 v5, 31, v4
	v_lshl_add_u64 v[8:9], v[4:5], 3, s[8:9]
	global_load_dwordx2 v[8:9], v[8:9], off
	s_waitcnt vmcnt(0)
	v_subrev_co_u32_e64 v8, s[2:3], s7, v8
	s_nop 1
	v_subbrev_co_u32_e64 v9, s[2:3], 0, v9, s[2:3]
.LBB11_2:
	s_or_b64 exec, exec, s[12:13]
	s_and_saveexec_b64 s[12:13], s[10:11]
	s_cbranch_execz .LBB11_4
; %bb.3:
	v_ashrrev_i32_e32 v5, 31, v4
	v_lshl_add_u64 v[2:3], v[4:5], 3, s[8:9]
	global_load_dwordx2 v[2:3], v[2:3], off offset:8
	s_waitcnt vmcnt(0)
	v_subrev_co_u32_e64 v2, s[2:3], s7, v2
	s_nop 1
	v_subbrev_co_u32_e64 v3, s[2:3], 0, v3, s[2:3]
.LBB11_4:
	s_or_b64 exec, exec, s[12:13]
	s_load_dword s20, s[0:1], 0x38
	v_cmp_gt_i32_e64 s[2:3], s4, v6
	v_mov_b64_e32 v[4:5], 0
	s_and_saveexec_b64 s[8:9], s[2:3]
	s_cbranch_execz .LBB11_6
; %bb.5:
	s_load_dwordx2 s[2:3], s[0:1], 0x48
	v_ashrrev_i32_e32 v7, 31, v6
	s_waitcnt lgkmcnt(0)
	v_lshl_add_u64 v[4:5], v[6:7], 3, s[2:3]
	global_load_dwordx2 v[4:5], v[4:5], off
	s_waitcnt vmcnt(0)
	v_subrev_co_u32_e64 v4, s[2:3], s20, v4
	s_nop 1
	v_subbrev_co_u32_e64 v5, s[2:3], 0, v5, s[2:3]
.LBB11_6:
	s_or_b64 exec, exec, s[8:9]
	s_cmp_lt_i32 s5, 1
	s_cbranch_scc1 .LBB11_21
; %bb.7:
	v_and_b32_e32 v6, 7, v0
	v_and_b32_e32 v0, 0xc0, v0
	s_load_dwordx2 s[2:3], s[0:1], 0x20
	s_load_dwordx2 s[8:9], s[0:1], 0x50
	s_load_dwordx2 s[16:17], s[0:1], 0x40
	s_load_dwordx2 s[10:11], s[0:1], 0x30
	v_lshl_or_b32 v23, v10, 3, v0
	v_or_b32_e32 v0, v23, v6
	v_lshlrev_b32_e32 v24, 2, v0
	v_mov_b32_e32 v7, 0
	v_mbcnt_lo_u32_b32 v0, -1, 0
	v_cmp_gt_u32_e64 s[0:1], s6, v6
	v_mbcnt_hi_u32_b32 v14, -1, v0
	s_and_b64 s[12:13], vcc, s[0:1]
	v_mul_lo_u32 v0, v6, s6
	v_mov_b32_e32 v1, v7
	s_cmp_eq_u32 s14, 0
	s_waitcnt lgkmcnt(0)
	v_lshl_add_u64 v[0:1], v[0:1], 2, s[16:17]
	v_lshlrev_b32_e32 v12, 2, v10
	v_mov_b32_e32 v13, v7
	v_mul_lo_u32 v10, v10, s6
	v_mov_b32_e32 v11, v7
	v_lshl_add_u64 v[0:1], v[0:1], 0, v[12:13]
	v_lshl_add_u64 v[10:11], v[10:11], 2, s[16:17]
	v_lshlrev_b32_e32 v12, 2, v6
	s_cselect_b64 vcc, -1, 0
	s_abs_i32 s4, s6
	v_lshl_add_u64 v[10:11], v[10:11], 0, v[12:13]
	v_cvt_f32_u32_e32 v12, s4
	v_cndmask_b32_e32 v1, v1, v11, vcc
	s_sub_i32 s0, 0, s4
	v_cndmask_b32_e32 v0, v0, v10, vcc
	v_rcp_iflag_f32_e32 v12, v12
	v_lshlrev_b32_e32 v13, 2, v14
	v_or_b32_e32 v25, 28, v13
	s_mul_hi_u32 s21, s6, s6
	v_mul_f32_e32 v11, 0x4f7ffffe, v12
	v_cvt_u32_f32_e32 v11, v11
	s_mul_i32 s22, s6, s6
	v_or_b32_e32 v26, 0xfc, v13
	s_ashr_i32 s23, s6, 31
	v_mul_lo_u32 v10, s0, v11
	v_mul_hi_u32 v10, v11, v10
	v_add_u32_e32 v27, v11, v10
	s_mov_b64 s[14:15], 0
	v_mov_b64_e32 v[10:11], 0
	v_mov_b32_e32 v28, 1
	s_branch .LBB11_10
.LBB11_8:                               ;   in Loop: Header=BB11_10 Depth=1
	s_or_b64 exec, exec, s[16:17]
	v_mov_b64_e32 v[12:13], 1
.LBB11_9:                               ;   in Loop: Header=BB11_10 Depth=1
	s_or_b64 exec, exec, s[0:1]
	v_mov_b32_dpp v10, v29 row_shr:1 row_mask:0xf bank_mask:0xf
	v_min_i32_e32 v10, v10, v29
	v_lshl_add_u64 v[4:5], v[12:13], 0, v[4:5]
	s_waitcnt lgkmcnt(0)
	v_mov_b32_dpp v11, v10 row_shr:2 row_mask:0xf bank_mask:0xf
	v_min_i32_e32 v10, v11, v10
	s_nop 1
	v_mov_b32_dpp v11, v10 row_shr:4 row_mask:0xf bank_mask:0xe
	v_min_i32_e32 v10, v11, v10
	s_nop 1
	v_mov_b32_dpp v11, v10 row_shr:8 row_mask:0xf bank_mask:0xc
	v_min_i32_e32 v10, v11, v10
	s_nop 1
	v_mov_b32_dpp v11, v10 row_bcast:15 row_mask:0xa bank_mask:0xf
	v_min_i32_e32 v10, v11, v10
	s_nop 1
	v_mov_b32_dpp v11, v10 row_bcast:31 row_mask:0xc bank_mask:0xf
	v_min_i32_e32 v10, v11, v10
	ds_bpermute_b32 v10, v26, v10
	s_waitcnt lgkmcnt(0)
	v_cmp_le_i32_e32 vcc, s5, v10
	v_ashrrev_i32_e32 v11, 31, v10
	s_or_b64 s[14:15], vcc, s[14:15]
	s_andn2_b64 exec, exec, s[14:15]
	s_cbranch_execz .LBB11_21
.LBB11_10:                              ; =>This Loop Header: Depth=1
                                        ;     Child Loop BB11_13 Depth 2
	v_lshl_add_u64 v[8:9], v[8:9], 0, v[6:7]
	v_cmp_lt_i64_e32 vcc, v[8:9], v[2:3]
	v_mov_b32_e32 v29, s5
	v_mov_b64_e32 v[16:17], v[2:3]
	ds_write_b8 v22, v7 offset:1024
	ds_write_b32 v24, v7
	s_waitcnt lgkmcnt(0)
	s_and_saveexec_b64 s[16:17], vcc
	s_cbranch_execz .LBB11_18
; %bb.11:                               ;   in Loop: Header=BB11_10 Depth=1
	v_lshlrev_b64 v[14:15], 2, v[8:9]
	v_lshl_add_u64 v[12:13], s[2:3], 0, v[14:15]
	v_lshl_add_u64 v[14:15], s[10:11], 0, v[14:15]
	s_mov_b64 s[18:19], 0
	v_mov_b32_e32 v29, s5
	v_mov_b64_e32 v[16:17], v[2:3]
	s_branch .LBB11_13
.LBB11_12:                              ;   in Loop: Header=BB11_13 Depth=2
	s_or_b64 exec, exec, s[0:1]
	v_lshl_add_u64 v[8:9], v[8:9], 0, 8
	v_cmp_ge_i64_e64 s[0:1], v[8:9], v[2:3]
	s_xor_b64 s[24:25], vcc, -1
	s_or_b64 s[0:1], s[24:25], s[0:1]
	s_and_b64 s[0:1], exec, s[0:1]
	v_lshl_add_u64 v[12:13], v[12:13], 0, 32
	s_or_b64 s[18:19], s[0:1], s[18:19]
	v_lshl_add_u64 v[14:15], v[14:15], 0, 32
	s_andn2_b64 exec, exec, s[18:19]
	s_cbranch_execz .LBB11_17
.LBB11_13:                              ;   Parent Loop BB11_10 Depth=1
                                        ; =>  This Inner Loop Header: Depth=2
	global_load_dword v18, v[14:15], off
	s_waitcnt vmcnt(0)
	v_subrev_u32_e32 v30, s7, v18
	v_sub_u32_e32 v19, 0, v30
	v_max_i32_e32 v19, v30, v19
	v_mul_hi_u32 v20, v19, v27
	v_mul_lo_u32 v21, v20, s4
	v_sub_u32_e32 v19, v19, v21
	v_add_u32_e32 v31, 1, v20
	v_cmp_le_u32_e32 vcc, s4, v19
	v_subrev_u32_e32 v21, s4, v19
	v_ashrrev_i32_e32 v18, 31, v30
	v_cndmask_b32_e32 v20, v20, v31, vcc
	v_cndmask_b32_e32 v19, v19, v21, vcc
	v_add_u32_e32 v21, 1, v20
	v_cmp_le_u32_e32 vcc, s4, v19
	v_xor_b32_e32 v18, s23, v18
	s_nop 0
	v_cndmask_b32_e32 v19, v20, v21, vcc
	v_xor_b32_e32 v19, v19, v18
	v_sub_u32_e32 v18, v19, v18
	v_ashrrev_i32_e32 v19, 31, v18
	v_cmp_eq_u64_e32 vcc, v[10:11], v[18:19]
	v_cmp_ne_u64_e64 s[0:1], v[10:11], v[18:19]
	v_mov_b64_e32 v[20:21], v[16:17]
	s_and_saveexec_b64 s[24:25], s[0:1]
	s_xor_b64 s[0:1], exec, s[24:25]
; %bb.14:                               ;   in Loop: Header=BB11_13 Depth=2
	v_min_i32_e32 v29, v18, v29
                                        ; implicit-def: $vgpr18
                                        ; implicit-def: $vgpr30
                                        ; implicit-def: $vgpr20_vgpr21
; %bb.15:                               ;   in Loop: Header=BB11_13 Depth=2
	s_or_saveexec_b64 s[0:1], s[0:1]
	v_mov_b64_e32 v[16:17], v[8:9]
	s_xor_b64 exec, exec, s[0:1]
	s_cbranch_execz .LBB11_12
; %bb.16:                               ;   in Loop: Header=BB11_13 Depth=2
	global_load_dword v16, v[12:13], off
	v_mul_lo_u32 v17, v18, s6
	v_sub_u32_e32 v17, v30, v17
	v_add_lshl_u32 v17, v17, v23, 2
	ds_write_b8 v22, v28 offset:1024
	s_waitcnt vmcnt(0)
	ds_write_b32 v17, v16
	v_mov_b64_e32 v[16:17], v[20:21]
	s_branch .LBB11_12
.LBB11_17:                              ;   in Loop: Header=BB11_10 Depth=1
	s_or_b64 exec, exec, s[18:19]
.LBB11_18:                              ;   in Loop: Header=BB11_10 Depth=1
	s_or_b64 exec, exec, s[16:17]
	v_mov_b32_dpp v8, v16 row_shr:1 row_mask:0xf bank_mask:0xf
	v_mov_b32_dpp v9, v17 row_shr:1 row_mask:0xf bank_mask:0xf
	v_cmp_lt_i64_e32 vcc, v[8:9], v[16:17]
	s_waitcnt lgkmcnt(0)
	ds_read_u8 v11, v22 offset:1024
	v_cndmask_b32_e32 v9, v17, v9, vcc
	v_cndmask_b32_e32 v8, v16, v8, vcc
	s_waitcnt lgkmcnt(0)
	v_and_b32_e32 v11, 1, v11
	v_mov_b32_dpp v12, v8 row_shr:2 row_mask:0xf bank_mask:0xf
	v_mov_b32_dpp v13, v9 row_shr:2 row_mask:0xf bank_mask:0xf
	v_cmp_lt_i64_e32 vcc, v[12:13], v[8:9]
	s_nop 1
	v_cndmask_b32_e32 v9, v9, v13, vcc
	v_cndmask_b32_e32 v8, v8, v12, vcc
	s_nop 0
	v_mov_b32_dpp v13, v9 row_shr:4 row_mask:0xf bank_mask:0xe
	v_mov_b32_dpp v12, v8 row_shr:4 row_mask:0xf bank_mask:0xe
	v_cmp_lt_i64_e32 vcc, v[12:13], v[8:9]
	s_nop 1
	v_cndmask_b32_e32 v9, v9, v13, vcc
	v_cndmask_b32_e32 v8, v8, v12, vcc
	ds_bpermute_b32 v8, v25, v8
	ds_bpermute_b32 v9, v25, v9
	v_cmp_eq_u32_e32 vcc, 1, v11
	v_mov_b64_e32 v[12:13], 0
	s_and_saveexec_b64 s[0:1], vcc
	s_cbranch_execz .LBB11_9
; %bb.19:                               ;   in Loop: Header=BB11_10 Depth=1
	v_add_u32_e32 v12, s20, v10
	v_lshl_add_u64 v[10:11], v[4:5], 2, s[8:9]
	global_store_dword v[10:11], v12, off
	s_and_saveexec_b64 s[16:17], s[12:13]
	s_cbranch_execz .LBB11_8
; %bb.20:                               ;   in Loop: Header=BB11_10 Depth=1
	ds_read_b32 v12, v24
	v_mul_lo_u32 v13, s21, v4
	v_mul_lo_u32 v14, s22, v5
	v_mad_u64_u32 v[10:11], s[18:19], s22, v4, 0
	v_add3_u32 v11, v11, v14, v13
	v_lshl_add_u64 v[10:11], v[10:11], 2, v[0:1]
	s_waitcnt lgkmcnt(0)
	global_store_dword v[10:11], v12, off
	s_branch .LBB11_8
.LBB11_21:
	s_endpgm
	.section	.rodata,"a",@progbits
	.p2align	6, 0x0
	.amdhsa_kernel _ZN9rocsparseL42csr2bsr_wavefront_per_row_multipass_kernelILj256ELj64ELj8EiliEEv20rocsparse_direction_T4_S2_S2_S2_S2_21rocsparse_index_base_PKT2_PKT3_PKS2_S3_PS4_PS7_PS2_
		.amdhsa_group_segment_fixed_size 1028
		.amdhsa_private_segment_fixed_size 0
		.amdhsa_kernarg_size 88
		.amdhsa_user_sgpr_count 2
		.amdhsa_user_sgpr_dispatch_ptr 0
		.amdhsa_user_sgpr_queue_ptr 0
		.amdhsa_user_sgpr_kernarg_segment_ptr 1
		.amdhsa_user_sgpr_dispatch_id 0
		.amdhsa_user_sgpr_kernarg_preload_length 0
		.amdhsa_user_sgpr_kernarg_preload_offset 0
		.amdhsa_user_sgpr_private_segment_size 0
		.amdhsa_uses_dynamic_stack 0
		.amdhsa_enable_private_segment 0
		.amdhsa_system_sgpr_workgroup_id_x 1
		.amdhsa_system_sgpr_workgroup_id_y 0
		.amdhsa_system_sgpr_workgroup_id_z 0
		.amdhsa_system_sgpr_workgroup_info 0
		.amdhsa_system_vgpr_workitem_id 0
		.amdhsa_next_free_vgpr 32
		.amdhsa_next_free_sgpr 26
		.amdhsa_accum_offset 32
		.amdhsa_reserve_vcc 1
		.amdhsa_float_round_mode_32 0
		.amdhsa_float_round_mode_16_64 0
		.amdhsa_float_denorm_mode_32 3
		.amdhsa_float_denorm_mode_16_64 3
		.amdhsa_dx10_clamp 1
		.amdhsa_ieee_mode 1
		.amdhsa_fp16_overflow 0
		.amdhsa_tg_split 0
		.amdhsa_exception_fp_ieee_invalid_op 0
		.amdhsa_exception_fp_denorm_src 0
		.amdhsa_exception_fp_ieee_div_zero 0
		.amdhsa_exception_fp_ieee_overflow 0
		.amdhsa_exception_fp_ieee_underflow 0
		.amdhsa_exception_fp_ieee_inexact 0
		.amdhsa_exception_int_div_zero 0
	.end_amdhsa_kernel
	.section	.text._ZN9rocsparseL42csr2bsr_wavefront_per_row_multipass_kernelILj256ELj64ELj8EiliEEv20rocsparse_direction_T4_S2_S2_S2_S2_21rocsparse_index_base_PKT2_PKT3_PKS2_S3_PS4_PS7_PS2_,"axG",@progbits,_ZN9rocsparseL42csr2bsr_wavefront_per_row_multipass_kernelILj256ELj64ELj8EiliEEv20rocsparse_direction_T4_S2_S2_S2_S2_21rocsparse_index_base_PKT2_PKT3_PKS2_S3_PS4_PS7_PS2_,comdat
.Lfunc_end11:
	.size	_ZN9rocsparseL42csr2bsr_wavefront_per_row_multipass_kernelILj256ELj64ELj8EiliEEv20rocsparse_direction_T4_S2_S2_S2_S2_21rocsparse_index_base_PKT2_PKT3_PKS2_S3_PS4_PS7_PS2_, .Lfunc_end11-_ZN9rocsparseL42csr2bsr_wavefront_per_row_multipass_kernelILj256ELj64ELj8EiliEEv20rocsparse_direction_T4_S2_S2_S2_S2_21rocsparse_index_base_PKT2_PKT3_PKS2_S3_PS4_PS7_PS2_
                                        ; -- End function
	.section	.AMDGPU.csdata,"",@progbits
; Kernel info:
; codeLenInByte = 1304
; NumSgprs: 32
; NumVgprs: 32
; NumAgprs: 0
; TotalNumVgprs: 32
; ScratchSize: 0
; MemoryBound: 0
; FloatMode: 240
; IeeeMode: 1
; LDSByteSize: 1028 bytes/workgroup (compile time only)
; SGPRBlocks: 3
; VGPRBlocks: 3
; NumSGPRsForWavesPerEU: 32
; NumVGPRsForWavesPerEU: 32
; AccumOffset: 32
; Occupancy: 8
; WaveLimiterHint : 0
; COMPUTE_PGM_RSRC2:SCRATCH_EN: 0
; COMPUTE_PGM_RSRC2:USER_SGPR: 2
; COMPUTE_PGM_RSRC2:TRAP_HANDLER: 0
; COMPUTE_PGM_RSRC2:TGID_X_EN: 1
; COMPUTE_PGM_RSRC2:TGID_Y_EN: 0
; COMPUTE_PGM_RSRC2:TGID_Z_EN: 0
; COMPUTE_PGM_RSRC2:TIDIG_COMP_CNT: 0
; COMPUTE_PGM_RSRC3_GFX90A:ACCUM_OFFSET: 7
; COMPUTE_PGM_RSRC3_GFX90A:TG_SPLIT: 0
	.section	.text._ZN9rocsparseL42csr2bsr_wavefront_per_row_multipass_kernelILj256ELj32ELj8EiliEEv20rocsparse_direction_T4_S2_S2_S2_S2_21rocsparse_index_base_PKT2_PKT3_PKS2_S3_PS4_PS7_PS2_,"axG",@progbits,_ZN9rocsparseL42csr2bsr_wavefront_per_row_multipass_kernelILj256ELj32ELj8EiliEEv20rocsparse_direction_T4_S2_S2_S2_S2_21rocsparse_index_base_PKT2_PKT3_PKS2_S3_PS4_PS7_PS2_,comdat
	.globl	_ZN9rocsparseL42csr2bsr_wavefront_per_row_multipass_kernelILj256ELj32ELj8EiliEEv20rocsparse_direction_T4_S2_S2_S2_S2_21rocsparse_index_base_PKT2_PKT3_PKS2_S3_PS4_PS7_PS2_ ; -- Begin function _ZN9rocsparseL42csr2bsr_wavefront_per_row_multipass_kernelILj256ELj32ELj8EiliEEv20rocsparse_direction_T4_S2_S2_S2_S2_21rocsparse_index_base_PKT2_PKT3_PKS2_S3_PS4_PS7_PS2_
	.p2align	8
	.type	_ZN9rocsparseL42csr2bsr_wavefront_per_row_multipass_kernelILj256ELj32ELj8EiliEEv20rocsparse_direction_T4_S2_S2_S2_S2_21rocsparse_index_base_PKT2_PKT3_PKS2_S3_PS4_PS7_PS2_,@function
_ZN9rocsparseL42csr2bsr_wavefront_per_row_multipass_kernelILj256ELj32ELj8EiliEEv20rocsparse_direction_T4_S2_S2_S2_S2_21rocsparse_index_base_PKT2_PKT3_PKS2_S3_PS4_PS7_PS2_: ; @_ZN9rocsparseL42csr2bsr_wavefront_per_row_multipass_kernelILj256ELj32ELj8EiliEEv20rocsparse_direction_T4_S2_S2_S2_S2_21rocsparse_index_base_PKT2_PKT3_PKS2_S3_PS4_PS7_PS2_
; %bb.0:
	s_load_dwordx2 s[14:15], s[0:1], 0x0
	s_load_dwordx4 s[4:7], s[0:1], 0xc
	s_load_dwordx2 s[8:9], s[0:1], 0x28
	v_lshrrev_b32_e32 v30, 5, v0
	v_bfe_u32 v10, v0, 2, 3
	v_lshl_or_b32 v6, s2, 3, v30
	s_waitcnt lgkmcnt(0)
	v_mad_u64_u32 v[4:5], s[2:3], v6, s6, v[10:11]
	v_cmp_gt_i32_e64 s[2:3], s15, v4
	v_cmp_gt_i32_e32 vcc, s6, v10
	v_mov_b64_e32 v[2:3], 0
	s_and_b64 s[10:11], vcc, s[2:3]
	v_mov_b64_e32 v[16:17], v[2:3]
	s_and_saveexec_b64 s[12:13], s[10:11]
	s_cbranch_execz .LBB12_2
; %bb.1:
	v_ashrrev_i32_e32 v5, 31, v4
	v_lshl_add_u64 v[8:9], v[4:5], 3, s[8:9]
	global_load_dwordx2 v[8:9], v[8:9], off
	s_waitcnt vmcnt(0)
	v_subrev_co_u32_e64 v16, s[2:3], s7, v8
	s_nop 1
	v_subbrev_co_u32_e64 v17, s[2:3], 0, v9, s[2:3]
.LBB12_2:
	s_or_b64 exec, exec, s[12:13]
	s_and_saveexec_b64 s[12:13], s[10:11]
	s_cbranch_execz .LBB12_4
; %bb.3:
	v_ashrrev_i32_e32 v5, 31, v4
	v_lshl_add_u64 v[2:3], v[4:5], 3, s[8:9]
	global_load_dwordx2 v[2:3], v[2:3], off offset:8
	s_waitcnt vmcnt(0)
	v_subrev_co_u32_e64 v2, s[2:3], s7, v2
	s_nop 1
	v_subbrev_co_u32_e64 v3, s[2:3], 0, v3, s[2:3]
.LBB12_4:
	s_or_b64 exec, exec, s[12:13]
	s_load_dword s26, s[0:1], 0x38
	v_cmp_gt_i32_e64 s[2:3], s4, v6
	v_mov_b64_e32 v[4:5], 0
	s_and_saveexec_b64 s[8:9], s[2:3]
	s_cbranch_execz .LBB12_6
; %bb.5:
	s_load_dwordx2 s[2:3], s[0:1], 0x48
	v_ashrrev_i32_e32 v7, 31, v6
	s_waitcnt lgkmcnt(0)
	v_lshl_add_u64 v[4:5], v[6:7], 3, s[2:3]
	global_load_dwordx2 v[4:5], v[4:5], off
	s_waitcnt vmcnt(0)
	v_subrev_co_u32_e64 v4, s[2:3], s26, v4
	s_nop 1
	v_subbrev_co_u32_e64 v5, s[2:3], 0, v5, s[2:3]
.LBB12_6:
	s_or_b64 exec, exec, s[8:9]
	s_cmp_lt_i32 s5, 1
	s_cbranch_scc1 .LBB12_30
; %bb.7:
	s_load_dwordx2 s[8:9], s[0:1], 0x20
	s_load_dwordx2 s[10:11], s[0:1], 0x50
	;; [unrolled: 1-line block ×4, first 2 shown]
	v_mbcnt_lo_u32_b32 v6, -1, 0
	v_mbcnt_hi_u32_b32 v6, -1, v6
	v_lshlrev_b32_e32 v1, 6, v30
	v_mov_b32_e32 v7, 0
	v_lshlrev_b32_e32 v12, 2, v6
	v_lshlrev_b32_e32 v6, 2, v10
	v_and_b32_e32 v0, 3, v0
	v_lshl_or_b32 v31, v10, 3, v1
	s_cmp_lg_u32 s14, 0
	s_waitcnt lgkmcnt(0)
	v_lshl_add_u64 v[8:9], s[2:3], 0, v[6:7]
	v_mul_lo_u32 v6, v10, s6
	s_cselect_b64 s[14:15], -1, 0
	v_lshl_add_u64 v[10:11], v[6:7], 2, s[2:3]
	v_or_b32_e32 v6, v31, v0
	s_abs_i32 s28, s6
	v_lshlrev_b32_e32 v34, 2, v6
	v_cvt_f32_u32_e32 v6, s28
	v_cmp_gt_u32_e64 s[0:1], s6, v0
	s_and_b64 s[16:17], s[0:1], vcc
	s_sub_i32 s0, 0, s28
	v_rcp_iflag_f32_e32 v6, v6
	v_or_b32_e32 v14, 4, v0
	v_or_b32_e32 v32, 12, v12
	;; [unrolled: 1-line block ×3, first 2 shown]
	v_mul_f32_e32 v6, 0x4f7ffffe, v6
	v_cvt_u32_f32_e32 v6, v6
	v_mul_lo_u32 v12, v0, s6
	v_cmp_gt_u32_e64 s[2:3], s6, v14
	v_mov_b32_e32 v1, v7
	v_mul_lo_u32 v18, s0, v6
	v_mul_hi_u32 v18, v6, v18
	s_mul_hi_u32 s4, s6, s6
	s_mul_i32 s27, s6, s6
	v_mov_b32_e32 v13, v7
	v_lshl_add_u32 v14, s6, 2, v12
	v_mov_b32_e32 v15, v7
	s_and_b64 s[2:3], vcc, s[2:3]
	s_ashr_i32 s29, s6, 31
	v_add_u32_e32 v35, v6, v18
	s_mov_b64 s[18:19], 0
	v_mov_b64_e32 v[18:19], 0
	v_mov_b32_e32 v36, 1
	s_branch .LBB12_11
.LBB12_8:                               ;   in Loop: Header=BB12_11 Depth=1
	v_mov_b64_e32 v[22:23], s[22:23]
.LBB12_9:                               ;   in Loop: Header=BB12_11 Depth=1
	s_or_b64 exec, exec, s[20:21]
.LBB12_10:                              ;   in Loop: Header=BB12_11 Depth=1
	s_or_b64 exec, exec, s[0:1]
	v_mov_b32_dpp v6, v37 row_shr:1 row_mask:0xf bank_mask:0xf
	v_min_i32_e32 v6, v6, v37
	v_lshl_add_u64 v[4:5], v[22:23], 0, v[4:5]
	s_waitcnt lgkmcnt(0)
	v_mov_b32_dpp v18, v6 row_shr:2 row_mask:0xf bank_mask:0xf
	v_min_i32_e32 v6, v18, v6
	s_nop 1
	v_mov_b32_dpp v18, v6 row_shr:4 row_mask:0xf bank_mask:0xe
	v_min_i32_e32 v6, v18, v6
	s_nop 1
	;; [unrolled: 3-line block ×3, first 2 shown]
	v_mov_b32_dpp v18, v6 row_bcast:15 row_mask:0xa bank_mask:0xf
	v_min_i32_e32 v6, v18, v6
	ds_bpermute_b32 v18, v33, v6
	s_waitcnt lgkmcnt(0)
	v_cmp_le_i32_e32 vcc, s5, v18
	v_ashrrev_i32_e32 v19, 31, v18
	s_or_b64 s[18:19], vcc, s[18:19]
	s_andn2_b64 exec, exec, s[18:19]
	s_cbranch_execz .LBB12_30
.LBB12_11:                              ; =>This Loop Header: Depth=1
                                        ;     Child Loop BB12_14 Depth 2
	v_lshl_add_u64 v[16:17], v[16:17], 0, v[0:1]
	v_cmp_lt_i64_e32 vcc, v[16:17], v[2:3]
	v_mov_b32_e32 v37, s5
	v_mov_b64_e32 v[24:25], v[2:3]
	ds_write_b8 v30, v7 offset:2048
	ds_write2_b32 v34, v7, v7 offset1:4
	s_waitcnt lgkmcnt(0)
	s_and_saveexec_b64 s[20:21], vcc
	s_cbranch_execz .LBB12_19
; %bb.12:                               ;   in Loop: Header=BB12_11 Depth=1
	v_lshlrev_b64 v[22:23], 2, v[16:17]
	v_lshl_add_u64 v[20:21], s[8:9], 0, v[22:23]
	v_lshl_add_u64 v[22:23], s[12:13], 0, v[22:23]
	s_mov_b64 s[22:23], 0
	v_mov_b32_e32 v37, s5
	v_mov_b64_e32 v[24:25], v[2:3]
	s_branch .LBB12_14
.LBB12_13:                              ;   in Loop: Header=BB12_14 Depth=2
	s_or_b64 exec, exec, s[0:1]
	v_lshl_add_u64 v[16:17], v[16:17], 0, 4
	v_cmp_ge_i64_e64 s[0:1], v[16:17], v[2:3]
	s_xor_b64 s[24:25], vcc, -1
	s_or_b64 s[0:1], s[24:25], s[0:1]
	s_and_b64 s[0:1], exec, s[0:1]
	v_lshl_add_u64 v[20:21], v[20:21], 0, 16
	s_or_b64 s[22:23], s[0:1], s[22:23]
	v_lshl_add_u64 v[22:23], v[22:23], 0, 16
	s_andn2_b64 exec, exec, s[22:23]
	s_cbranch_execz .LBB12_18
.LBB12_14:                              ;   Parent Loop BB12_11 Depth=1
                                        ; =>  This Inner Loop Header: Depth=2
	global_load_dword v6, v[22:23], off
	s_waitcnt vmcnt(0)
	v_subrev_u32_e32 v6, s7, v6
	v_sub_u32_e32 v27, 0, v6
	v_max_i32_e32 v27, v6, v27
	v_mul_hi_u32 v28, v27, v35
	v_mul_lo_u32 v29, v28, s28
	v_sub_u32_e32 v27, v27, v29
	v_add_u32_e32 v38, 1, v28
	v_cmp_le_u32_e32 vcc, s28, v27
	v_subrev_u32_e32 v29, s28, v27
	v_ashrrev_i32_e32 v26, 31, v6
	v_cndmask_b32_e32 v28, v28, v38, vcc
	v_cndmask_b32_e32 v27, v27, v29, vcc
	v_add_u32_e32 v29, 1, v28
	v_cmp_le_u32_e32 vcc, s28, v27
	v_xor_b32_e32 v26, s29, v26
	s_nop 0
	v_cndmask_b32_e32 v27, v28, v29, vcc
	v_xor_b32_e32 v27, v27, v26
	v_sub_u32_e32 v26, v27, v26
	v_ashrrev_i32_e32 v27, 31, v26
	v_cmp_eq_u64_e32 vcc, v[18:19], v[26:27]
	v_cmp_ne_u64_e64 s[0:1], v[18:19], v[26:27]
	v_mov_b64_e32 v[28:29], v[24:25]
	s_and_saveexec_b64 s[24:25], s[0:1]
	s_xor_b64 s[0:1], exec, s[24:25]
; %bb.15:                               ;   in Loop: Header=BB12_14 Depth=2
	v_min_i32_e32 v37, v26, v37
                                        ; implicit-def: $vgpr26
                                        ; implicit-def: $vgpr6
                                        ; implicit-def: $vgpr28_vgpr29
; %bb.16:                               ;   in Loop: Header=BB12_14 Depth=2
	s_or_saveexec_b64 s[0:1], s[0:1]
	v_mov_b64_e32 v[24:25], v[16:17]
	s_xor_b64 exec, exec, s[0:1]
	s_cbranch_execz .LBB12_13
; %bb.17:                               ;   in Loop: Header=BB12_14 Depth=2
	global_load_dword v24, v[20:21], off
	v_mul_lo_u32 v25, v26, s6
	v_sub_u32_e32 v6, v6, v25
	v_add_lshl_u32 v6, v31, v6, 2
	ds_write_b8 v30, v36 offset:2048
	s_waitcnt vmcnt(0)
	ds_write_b32 v6, v24
	v_mov_b64_e32 v[24:25], v[28:29]
	s_branch .LBB12_13
.LBB12_18:                              ;   in Loop: Header=BB12_11 Depth=1
	s_or_b64 exec, exec, s[22:23]
.LBB12_19:                              ;   in Loop: Header=BB12_11 Depth=1
	s_or_b64 exec, exec, s[20:21]
	v_mov_b32_dpp v16, v24 row_shr:1 row_mask:0xf bank_mask:0xf
	v_mov_b32_dpp v17, v25 row_shr:1 row_mask:0xf bank_mask:0xf
	v_cmp_lt_i64_e32 vcc, v[16:17], v[24:25]
	s_waitcnt lgkmcnt(0)
	ds_read_u8 v19, v30 offset:2048
	v_cndmask_b32_e32 v17, v25, v17, vcc
	v_cndmask_b32_e32 v16, v24, v16, vcc
	v_mov_b64_e32 v[22:23], 0
	v_mov_b32_dpp v21, v17 row_shr:2 row_mask:0xf bank_mask:0xf
	v_mov_b32_dpp v20, v16 row_shr:2 row_mask:0xf bank_mask:0xf
	v_cmp_lt_i64_e32 vcc, v[20:21], v[16:17]
	s_nop 1
	v_cndmask_b32_e32 v6, v17, v21, vcc
	v_cndmask_b32_e32 v16, v16, v20, vcc
	ds_bpermute_b32 v16, v32, v16
	ds_bpermute_b32 v17, v32, v6
	s_waitcnt lgkmcnt(2)
	v_and_b32_e32 v6, 1, v19
	v_cmp_eq_u32_e32 vcc, 1, v6
	s_and_saveexec_b64 s[0:1], vcc
	s_cbranch_execz .LBB12_10
; %bb.20:                               ;   in Loop: Header=BB12_11 Depth=1
	v_add_u32_e32 v6, s26, v18
	v_lshl_add_u64 v[18:19], v[4:5], 2, s[10:11]
	global_store_dword v[18:19], v6, off
	v_mul_lo_u32 v6, s4, v4
	v_mul_lo_u32 v20, s27, v5
	v_mad_u64_u32 v[18:19], s[20:21], s27, v4, 0
	v_add3_u32 v19, v19, v20, v6
	v_lshlrev_b64 v[18:19], 2, v[18:19]
	v_lshl_add_u64 v[20:21], v[8:9], 0, v[18:19]
	v_lshl_add_u64 v[18:19], v[10:11], 0, v[18:19]
	s_and_saveexec_b64 s[20:21], s[16:17]
	s_cbranch_execz .LBB12_24
; %bb.21:                               ;   in Loop: Header=BB12_11 Depth=1
	s_and_b64 vcc, exec, s[14:15]
	s_cbranch_vccz .LBB12_27
; %bb.22:                               ;   in Loop: Header=BB12_11 Depth=1
	ds_read_b32 v6, v34
	v_lshl_add_u64 v[22:23], v[12:13], 2, v[20:21]
	s_waitcnt lgkmcnt(0)
	global_store_dword v[22:23], v6, off
	s_cbranch_execnz .LBB12_24
.LBB12_23:                              ;   in Loop: Header=BB12_11 Depth=1
	ds_read_b32 v24, v34
	v_lshlrev_b32_e32 v6, 2, v0
	v_lshl_add_u64 v[22:23], v[18:19], 0, v[6:7]
	s_waitcnt lgkmcnt(0)
	global_store_dword v[22:23], v24, off
.LBB12_24:                              ;   in Loop: Header=BB12_11 Depth=1
	s_or_b64 exec, exec, s[20:21]
	v_mov_b64_e32 v[22:23], 1
	s_and_saveexec_b64 s[20:21], s[2:3]
	s_cbranch_execz .LBB12_9
; %bb.25:                               ;   in Loop: Header=BB12_11 Depth=1
	s_andn2_b64 vcc, exec, s[14:15]
	s_cbranch_vccnz .LBB12_28
; %bb.26:                               ;   in Loop: Header=BB12_11 Depth=1
	ds_read_b32 v6, v34 offset:16
	v_lshl_add_u64 v[20:21], v[14:15], 2, v[20:21]
	s_mov_b64 s[22:23], 1
	s_waitcnt lgkmcnt(0)
	global_store_dword v[20:21], v6, off
	s_cbranch_execnz .LBB12_8
	s_branch .LBB12_29
.LBB12_27:                              ;   in Loop: Header=BB12_11 Depth=1
	s_branch .LBB12_23
.LBB12_28:                              ;   in Loop: Header=BB12_11 Depth=1
                                        ; implicit-def: $sgpr22_sgpr23
.LBB12_29:                              ;   in Loop: Header=BB12_11 Depth=1
	ds_read_b32 v20, v34 offset:16
	v_lshlrev_b32_e32 v6, 2, v0
	v_lshl_add_u64 v[18:19], v[18:19], 0, v[6:7]
	s_mov_b64 s[22:23], 1
	s_waitcnt lgkmcnt(0)
	global_store_dword v[18:19], v20, off offset:16
	s_branch .LBB12_8
.LBB12_30:
	s_endpgm
	.section	.rodata,"a",@progbits
	.p2align	6, 0x0
	.amdhsa_kernel _ZN9rocsparseL42csr2bsr_wavefront_per_row_multipass_kernelILj256ELj32ELj8EiliEEv20rocsparse_direction_T4_S2_S2_S2_S2_21rocsparse_index_base_PKT2_PKT3_PKS2_S3_PS4_PS7_PS2_
		.amdhsa_group_segment_fixed_size 2056
		.amdhsa_private_segment_fixed_size 0
		.amdhsa_kernarg_size 88
		.amdhsa_user_sgpr_count 2
		.amdhsa_user_sgpr_dispatch_ptr 0
		.amdhsa_user_sgpr_queue_ptr 0
		.amdhsa_user_sgpr_kernarg_segment_ptr 1
		.amdhsa_user_sgpr_dispatch_id 0
		.amdhsa_user_sgpr_kernarg_preload_length 0
		.amdhsa_user_sgpr_kernarg_preload_offset 0
		.amdhsa_user_sgpr_private_segment_size 0
		.amdhsa_uses_dynamic_stack 0
		.amdhsa_enable_private_segment 0
		.amdhsa_system_sgpr_workgroup_id_x 1
		.amdhsa_system_sgpr_workgroup_id_y 0
		.amdhsa_system_sgpr_workgroup_id_z 0
		.amdhsa_system_sgpr_workgroup_info 0
		.amdhsa_system_vgpr_workitem_id 0
		.amdhsa_next_free_vgpr 39
		.amdhsa_next_free_sgpr 30
		.amdhsa_accum_offset 40
		.amdhsa_reserve_vcc 1
		.amdhsa_float_round_mode_32 0
		.amdhsa_float_round_mode_16_64 0
		.amdhsa_float_denorm_mode_32 3
		.amdhsa_float_denorm_mode_16_64 3
		.amdhsa_dx10_clamp 1
		.amdhsa_ieee_mode 1
		.amdhsa_fp16_overflow 0
		.amdhsa_tg_split 0
		.amdhsa_exception_fp_ieee_invalid_op 0
		.amdhsa_exception_fp_denorm_src 0
		.amdhsa_exception_fp_ieee_div_zero 0
		.amdhsa_exception_fp_ieee_overflow 0
		.amdhsa_exception_fp_ieee_underflow 0
		.amdhsa_exception_fp_ieee_inexact 0
		.amdhsa_exception_int_div_zero 0
	.end_amdhsa_kernel
	.section	.text._ZN9rocsparseL42csr2bsr_wavefront_per_row_multipass_kernelILj256ELj32ELj8EiliEEv20rocsparse_direction_T4_S2_S2_S2_S2_21rocsparse_index_base_PKT2_PKT3_PKS2_S3_PS4_PS7_PS2_,"axG",@progbits,_ZN9rocsparseL42csr2bsr_wavefront_per_row_multipass_kernelILj256ELj32ELj8EiliEEv20rocsparse_direction_T4_S2_S2_S2_S2_21rocsparse_index_base_PKT2_PKT3_PKS2_S3_PS4_PS7_PS2_,comdat
.Lfunc_end12:
	.size	_ZN9rocsparseL42csr2bsr_wavefront_per_row_multipass_kernelILj256ELj32ELj8EiliEEv20rocsparse_direction_T4_S2_S2_S2_S2_21rocsparse_index_base_PKT2_PKT3_PKS2_S3_PS4_PS7_PS2_, .Lfunc_end12-_ZN9rocsparseL42csr2bsr_wavefront_per_row_multipass_kernelILj256ELj32ELj8EiliEEv20rocsparse_direction_T4_S2_S2_S2_S2_21rocsparse_index_base_PKT2_PKT3_PKS2_S3_PS4_PS7_PS2_
                                        ; -- End function
	.section	.AMDGPU.csdata,"",@progbits
; Kernel info:
; codeLenInByte = 1416
; NumSgprs: 36
; NumVgprs: 39
; NumAgprs: 0
; TotalNumVgprs: 39
; ScratchSize: 0
; MemoryBound: 0
; FloatMode: 240
; IeeeMode: 1
; LDSByteSize: 2056 bytes/workgroup (compile time only)
; SGPRBlocks: 4
; VGPRBlocks: 4
; NumSGPRsForWavesPerEU: 36
; NumVGPRsForWavesPerEU: 39
; AccumOffset: 40
; Occupancy: 8
; WaveLimiterHint : 0
; COMPUTE_PGM_RSRC2:SCRATCH_EN: 0
; COMPUTE_PGM_RSRC2:USER_SGPR: 2
; COMPUTE_PGM_RSRC2:TRAP_HANDLER: 0
; COMPUTE_PGM_RSRC2:TGID_X_EN: 1
; COMPUTE_PGM_RSRC2:TGID_Y_EN: 0
; COMPUTE_PGM_RSRC2:TGID_Z_EN: 0
; COMPUTE_PGM_RSRC2:TIDIG_COMP_CNT: 0
; COMPUTE_PGM_RSRC3_GFX90A:ACCUM_OFFSET: 9
; COMPUTE_PGM_RSRC3_GFX90A:TG_SPLIT: 0
	.section	.text._ZN9rocsparseL42csr2bsr_wavefront_per_row_multipass_kernelILj256ELj64ELj16EiliEEv20rocsparse_direction_T4_S2_S2_S2_S2_21rocsparse_index_base_PKT2_PKT3_PKS2_S3_PS4_PS7_PS2_,"axG",@progbits,_ZN9rocsparseL42csr2bsr_wavefront_per_row_multipass_kernelILj256ELj64ELj16EiliEEv20rocsparse_direction_T4_S2_S2_S2_S2_21rocsparse_index_base_PKT2_PKT3_PKS2_S3_PS4_PS7_PS2_,comdat
	.globl	_ZN9rocsparseL42csr2bsr_wavefront_per_row_multipass_kernelILj256ELj64ELj16EiliEEv20rocsparse_direction_T4_S2_S2_S2_S2_21rocsparse_index_base_PKT2_PKT3_PKS2_S3_PS4_PS7_PS2_ ; -- Begin function _ZN9rocsparseL42csr2bsr_wavefront_per_row_multipass_kernelILj256ELj64ELj16EiliEEv20rocsparse_direction_T4_S2_S2_S2_S2_21rocsparse_index_base_PKT2_PKT3_PKS2_S3_PS4_PS7_PS2_
	.p2align	8
	.type	_ZN9rocsparseL42csr2bsr_wavefront_per_row_multipass_kernelILj256ELj64ELj16EiliEEv20rocsparse_direction_T4_S2_S2_S2_S2_21rocsparse_index_base_PKT2_PKT3_PKS2_S3_PS4_PS7_PS2_,@function
_ZN9rocsparseL42csr2bsr_wavefront_per_row_multipass_kernelILj256ELj64ELj16EiliEEv20rocsparse_direction_T4_S2_S2_S2_S2_21rocsparse_index_base_PKT2_PKT3_PKS2_S3_PS4_PS7_PS2_: ; @_ZN9rocsparseL42csr2bsr_wavefront_per_row_multipass_kernelILj256ELj64ELj16EiliEEv20rocsparse_direction_T4_S2_S2_S2_S2_21rocsparse_index_base_PKT2_PKT3_PKS2_S3_PS4_PS7_PS2_
; %bb.0:
	s_load_dwordx2 s[4:5], s[0:1], 0x0
	s_load_dwordx4 s[8:11], s[0:1], 0xc
	s_load_dwordx2 s[6:7], s[0:1], 0x28
	v_lshrrev_b32_e32 v34, 6, v0
	v_bfe_u32 v10, v0, 2, 4
	v_lshl_or_b32 v6, s2, 2, v34
	s_waitcnt lgkmcnt(0)
	v_mad_u64_u32 v[4:5], s[2:3], v6, s10, v[10:11]
	v_cmp_gt_i32_e64 s[2:3], s5, v4
	v_cmp_gt_i32_e32 vcc, s10, v10
	v_mov_b64_e32 v[2:3], 0
	s_and_b64 s[12:13], vcc, s[2:3]
	v_mov_b64_e32 v[20:21], v[2:3]
	s_and_saveexec_b64 s[14:15], s[12:13]
	s_cbranch_execz .LBB13_2
; %bb.1:
	v_ashrrev_i32_e32 v5, 31, v4
	v_lshl_add_u64 v[8:9], v[4:5], 3, s[6:7]
	global_load_dwordx2 v[8:9], v[8:9], off
	s_waitcnt vmcnt(0)
	v_subrev_co_u32_e64 v20, s[2:3], s11, v8
	s_nop 1
	v_subbrev_co_u32_e64 v21, s[2:3], 0, v9, s[2:3]
.LBB13_2:
	s_or_b64 exec, exec, s[14:15]
	s_and_saveexec_b64 s[14:15], s[12:13]
	s_cbranch_execz .LBB13_4
; %bb.3:
	v_ashrrev_i32_e32 v5, 31, v4
	v_lshl_add_u64 v[2:3], v[4:5], 3, s[6:7]
	global_load_dwordx2 v[2:3], v[2:3], off offset:8
	s_waitcnt vmcnt(0)
	v_subrev_co_u32_e64 v2, s[2:3], s11, v2
	s_nop 1
	v_subbrev_co_u32_e64 v3, s[2:3], 0, v3, s[2:3]
.LBB13_4:
	s_or_b64 exec, exec, s[14:15]
	s_load_dword s30, s[0:1], 0x38
	v_cmp_gt_i32_e64 s[2:3], s8, v6
	v_mov_b64_e32 v[4:5], 0
	s_and_saveexec_b64 s[6:7], s[2:3]
	s_cbranch_execz .LBB13_6
; %bb.5:
	s_load_dwordx2 s[2:3], s[0:1], 0x48
	v_ashrrev_i32_e32 v7, 31, v6
	s_waitcnt lgkmcnt(0)
	v_lshl_add_u64 v[4:5], v[6:7], 3, s[2:3]
	global_load_dwordx2 v[4:5], v[4:5], off
	s_waitcnt vmcnt(0)
	v_subrev_co_u32_e64 v4, s[2:3], s30, v4
	s_nop 1
	v_subbrev_co_u32_e64 v5, s[2:3], 0, v5, s[2:3]
.LBB13_6:
	s_or_b64 exec, exec, s[6:7]
	s_cmp_lt_i32 s9, 1
	s_cbranch_scc1 .LBB13_40
; %bb.7:
	s_load_dwordx2 s[12:13], s[0:1], 0x20
	s_load_dwordx2 s[14:15], s[0:1], 0x50
	;; [unrolled: 1-line block ×4, first 2 shown]
	v_mbcnt_lo_u32_b32 v6, -1, 0
	v_mbcnt_hi_u32_b32 v6, -1, v6
	v_lshlrev_b32_e32 v1, 8, v34
	v_mov_b32_e32 v7, 0
	v_lshlrev_b32_e32 v12, 2, v6
	s_cmp_lg_u32 s4, 0
	v_lshlrev_b32_e32 v6, 2, v10
	v_and_b32_e32 v0, 3, v0
	v_lshl_or_b32 v35, v10, 4, v1
	s_cselect_b64 s[18:19], -1, 0
	s_waitcnt lgkmcnt(0)
	v_lshl_add_u64 v[8:9], s[2:3], 0, v[6:7]
	v_mul_lo_u32 v6, v10, s10
	s_abs_i32 s33, s10
	v_lshl_add_u64 v[10:11], v[6:7], 2, s[2:3]
	v_or_b32_e32 v6, v35, v0
	v_cvt_f32_u32_e32 v22, s33
	v_lshlrev_b32_e32 v38, 2, v6
	v_or_b32_e32 v6, 4, v0
	v_cmp_gt_u32_e64 s[2:3], s10, v6
	v_or_b32_e32 v6, 8, v0
	v_cmp_gt_u32_e64 s[4:5], s10, v6
	;; [unrolled: 2-line block ×3, first 2 shown]
	v_rcp_iflag_f32_e32 v6, v22
	v_or_b32_e32 v36, 12, v12
	v_or_b32_e32 v37, 0xfc, v12
	v_mul_lo_u32 v12, v0, s10
	v_mul_f32_e32 v6, 0x4f7ffffe, v6
	s_lshl_b32 s20, s10, 2
	v_cvt_u32_f32_e32 v6, v6
	v_add_u32_e32 v14, s20, v12
	v_cmp_gt_u32_e64 s[0:1], s10, v0
	v_add_u32_e32 v16, s20, v14
	v_add_u32_e32 v18, s20, v16
	s_and_b64 s[20:21], s[0:1], vcc
	s_sub_i32 s0, 0, s33
	v_mul_lo_u32 v22, s0, v6
	v_mul_hi_u32 v22, v6, v22
	v_mov_b32_e32 v1, v7
	s_mul_hi_u32 s8, s10, s10
	s_mul_i32 s31, s10, s10
	v_mov_b32_e32 v13, v7
	v_mov_b32_e32 v15, v7
	;; [unrolled: 1-line block ×4, first 2 shown]
	s_and_b64 s[2:3], vcc, s[2:3]
	s_and_b64 s[4:5], vcc, s[4:5]
	;; [unrolled: 1-line block ×3, first 2 shown]
	s_ashr_i32 s34, s10, 31
	v_add_u32_e32 v39, v6, v22
	s_mov_b64 s[22:23], 0
	v_mov_b64_e32 v[22:23], 0
	v_mov_b32_e32 v40, 1
	s_branch .LBB13_11
.LBB13_8:                               ;   in Loop: Header=BB13_11 Depth=1
	v_mov_b64_e32 v[26:27], s[0:1]
.LBB13_9:                               ;   in Loop: Header=BB13_11 Depth=1
	s_or_b64 exec, exec, s[26:27]
.LBB13_10:                              ;   in Loop: Header=BB13_11 Depth=1
	s_or_b64 exec, exec, s[24:25]
	v_mov_b32_dpp v6, v41 row_shr:1 row_mask:0xf bank_mask:0xf
	v_min_i32_e32 v6, v6, v41
	v_lshl_add_u64 v[4:5], v[26:27], 0, v[4:5]
	s_waitcnt lgkmcnt(0)
	v_mov_b32_dpp v22, v6 row_shr:2 row_mask:0xf bank_mask:0xf
	v_min_i32_e32 v6, v22, v6
	s_nop 1
	v_mov_b32_dpp v22, v6 row_shr:4 row_mask:0xf bank_mask:0xe
	v_min_i32_e32 v6, v22, v6
	s_nop 1
	;; [unrolled: 3-line block ×3, first 2 shown]
	v_mov_b32_dpp v22, v6 row_bcast:15 row_mask:0xa bank_mask:0xf
	v_min_i32_e32 v6, v22, v6
	s_nop 1
	v_mov_b32_dpp v22, v6 row_bcast:31 row_mask:0xc bank_mask:0xf
	v_min_i32_e32 v6, v22, v6
	ds_bpermute_b32 v22, v37, v6
	s_waitcnt lgkmcnt(0)
	v_cmp_le_i32_e32 vcc, s9, v22
	v_ashrrev_i32_e32 v23, 31, v22
	s_or_b64 s[22:23], vcc, s[22:23]
	s_andn2_b64 exec, exec, s[22:23]
	s_cbranch_execz .LBB13_40
.LBB13_11:                              ; =>This Loop Header: Depth=1
                                        ;     Child Loop BB13_14 Depth 2
	v_lshl_add_u64 v[20:21], v[20:21], 0, v[0:1]
	v_cmp_lt_i64_e32 vcc, v[20:21], v[2:3]
	v_mov_b32_e32 v41, s9
	v_mov_b64_e32 v[28:29], v[2:3]
	ds_write_b8 v34, v7 offset:4096
	ds_write2_b32 v38, v7, v7 offset1:4
	ds_write2_b32 v38, v7, v7 offset0:8 offset1:12
	s_waitcnt lgkmcnt(0)
	s_and_saveexec_b64 s[24:25], vcc
	s_cbranch_execz .LBB13_19
; %bb.12:                               ;   in Loop: Header=BB13_11 Depth=1
	v_lshlrev_b64 v[26:27], 2, v[20:21]
	v_lshl_add_u64 v[24:25], s[12:13], 0, v[26:27]
	v_lshl_add_u64 v[26:27], s[16:17], 0, v[26:27]
	s_mov_b64 s[26:27], 0
	v_mov_b32_e32 v41, s9
	v_mov_b64_e32 v[28:29], v[2:3]
	s_branch .LBB13_14
.LBB13_13:                              ;   in Loop: Header=BB13_14 Depth=2
	s_or_b64 exec, exec, s[0:1]
	v_lshl_add_u64 v[20:21], v[20:21], 0, 4
	v_cmp_ge_i64_e64 s[0:1], v[20:21], v[2:3]
	s_xor_b64 s[28:29], vcc, -1
	s_or_b64 s[0:1], s[28:29], s[0:1]
	s_and_b64 s[0:1], exec, s[0:1]
	v_lshl_add_u64 v[24:25], v[24:25], 0, 16
	s_or_b64 s[26:27], s[0:1], s[26:27]
	v_lshl_add_u64 v[26:27], v[26:27], 0, 16
	s_andn2_b64 exec, exec, s[26:27]
	s_cbranch_execz .LBB13_18
.LBB13_14:                              ;   Parent Loop BB13_11 Depth=1
                                        ; =>  This Inner Loop Header: Depth=2
	global_load_dword v6, v[26:27], off
	s_waitcnt vmcnt(0)
	v_subrev_u32_e32 v6, s11, v6
	v_sub_u32_e32 v31, 0, v6
	v_max_i32_e32 v31, v6, v31
	v_mul_hi_u32 v32, v31, v39
	v_mul_lo_u32 v33, v32, s33
	v_sub_u32_e32 v31, v31, v33
	v_add_u32_e32 v42, 1, v32
	v_cmp_le_u32_e32 vcc, s33, v31
	v_subrev_u32_e32 v33, s33, v31
	v_ashrrev_i32_e32 v30, 31, v6
	v_cndmask_b32_e32 v32, v32, v42, vcc
	v_cndmask_b32_e32 v31, v31, v33, vcc
	v_add_u32_e32 v33, 1, v32
	v_cmp_le_u32_e32 vcc, s33, v31
	v_xor_b32_e32 v30, s34, v30
	s_nop 0
	v_cndmask_b32_e32 v31, v32, v33, vcc
	v_xor_b32_e32 v31, v31, v30
	v_sub_u32_e32 v30, v31, v30
	v_ashrrev_i32_e32 v31, 31, v30
	v_cmp_eq_u64_e32 vcc, v[22:23], v[30:31]
	v_cmp_ne_u64_e64 s[0:1], v[22:23], v[30:31]
	v_mov_b64_e32 v[32:33], v[28:29]
	s_and_saveexec_b64 s[28:29], s[0:1]
	s_xor_b64 s[0:1], exec, s[28:29]
; %bb.15:                               ;   in Loop: Header=BB13_14 Depth=2
	v_min_i32_e32 v41, v30, v41
                                        ; implicit-def: $vgpr30
                                        ; implicit-def: $vgpr6
                                        ; implicit-def: $vgpr32_vgpr33
; %bb.16:                               ;   in Loop: Header=BB13_14 Depth=2
	s_or_saveexec_b64 s[0:1], s[0:1]
	v_mov_b64_e32 v[28:29], v[20:21]
	s_xor_b64 exec, exec, s[0:1]
	s_cbranch_execz .LBB13_13
; %bb.17:                               ;   in Loop: Header=BB13_14 Depth=2
	global_load_dword v28, v[24:25], off
	v_mul_lo_u32 v29, v30, s10
	v_sub_u32_e32 v6, v6, v29
	v_add_lshl_u32 v6, v35, v6, 2
	ds_write_b8 v34, v40 offset:4096
	s_waitcnt vmcnt(0)
	ds_write_b32 v6, v28
	v_mov_b64_e32 v[28:29], v[32:33]
	s_branch .LBB13_13
.LBB13_18:                              ;   in Loop: Header=BB13_11 Depth=1
	s_or_b64 exec, exec, s[26:27]
.LBB13_19:                              ;   in Loop: Header=BB13_11 Depth=1
	s_or_b64 exec, exec, s[24:25]
	v_mov_b32_dpp v20, v28 row_shr:1 row_mask:0xf bank_mask:0xf
	v_mov_b32_dpp v21, v29 row_shr:1 row_mask:0xf bank_mask:0xf
	v_cmp_lt_i64_e32 vcc, v[20:21], v[28:29]
	s_waitcnt lgkmcnt(0)
	ds_read_u8 v23, v34 offset:4096
	v_cndmask_b32_e32 v21, v29, v21, vcc
	v_cndmask_b32_e32 v20, v28, v20, vcc
	v_mov_b64_e32 v[26:27], 0
	v_mov_b32_dpp v25, v21 row_shr:2 row_mask:0xf bank_mask:0xf
	v_mov_b32_dpp v24, v20 row_shr:2 row_mask:0xf bank_mask:0xf
	v_cmp_lt_i64_e32 vcc, v[24:25], v[20:21]
	s_nop 1
	v_cndmask_b32_e32 v6, v21, v25, vcc
	v_cndmask_b32_e32 v20, v20, v24, vcc
	ds_bpermute_b32 v20, v36, v20
	ds_bpermute_b32 v21, v36, v6
	s_waitcnt lgkmcnt(2)
	v_and_b32_e32 v6, 1, v23
	v_cmp_eq_u32_e32 vcc, 1, v6
	s_and_saveexec_b64 s[24:25], vcc
	s_cbranch_execz .LBB13_10
; %bb.20:                               ;   in Loop: Header=BB13_11 Depth=1
	v_add_u32_e32 v6, s30, v22
	v_lshl_add_u64 v[22:23], v[4:5], 2, s[14:15]
	global_store_dword v[22:23], v6, off
	v_mul_lo_u32 v6, s8, v4
	v_mul_lo_u32 v24, s31, v5
	v_mad_u64_u32 v[22:23], s[0:1], s31, v4, 0
	v_add3_u32 v23, v23, v24, v6
	v_lshlrev_b64 v[22:23], 2, v[22:23]
	v_lshl_add_u64 v[24:25], v[8:9], 0, v[22:23]
	v_lshl_add_u64 v[22:23], v[10:11], 0, v[22:23]
	s_and_saveexec_b64 s[0:1], s[20:21]
	s_cbranch_execz .LBB13_24
; %bb.21:                               ;   in Loop: Header=BB13_11 Depth=1
	s_and_b64 vcc, exec, s[18:19]
	s_cbranch_vccz .LBB13_35
; %bb.22:                               ;   in Loop: Header=BB13_11 Depth=1
	ds_read_b32 v6, v38
	v_lshl_add_u64 v[26:27], v[12:13], 2, v[24:25]
	s_waitcnt lgkmcnt(0)
	global_store_dword v[26:27], v6, off
	s_cbranch_execnz .LBB13_24
.LBB13_23:                              ;   in Loop: Header=BB13_11 Depth=1
	ds_read_b32 v28, v38
	v_lshlrev_b32_e32 v6, 2, v0
	v_lshl_add_u64 v[26:27], v[22:23], 0, v[6:7]
	s_waitcnt lgkmcnt(0)
	global_store_dword v[26:27], v28, off
.LBB13_24:                              ;   in Loop: Header=BB13_11 Depth=1
	s_or_b64 exec, exec, s[0:1]
	v_cndmask_b32_e64 v6, 0, 1, s[18:19]
	v_cmp_ne_u32_e64 s[0:1], 1, v6
	s_and_saveexec_b64 s[26:27], s[2:3]
	s_cbranch_execz .LBB13_28
; %bb.25:                               ;   in Loop: Header=BB13_11 Depth=1
	s_and_b64 vcc, exec, s[0:1]
	s_cbranch_vccnz .LBB13_36
; %bb.26:                               ;   in Loop: Header=BB13_11 Depth=1
	ds_read_b32 v6, v38 offset:16
	v_lshl_add_u64 v[26:27], v[14:15], 2, v[24:25]
	s_waitcnt lgkmcnt(0)
	global_store_dword v[26:27], v6, off
	s_cbranch_execnz .LBB13_28
.LBB13_27:                              ;   in Loop: Header=BB13_11 Depth=1
	ds_read_b32 v28, v38 offset:16
	v_lshlrev_b32_e32 v6, 2, v0
	v_lshl_add_u64 v[26:27], v[22:23], 0, v[6:7]
	s_waitcnt lgkmcnt(0)
	global_store_dword v[26:27], v28, off offset:16
.LBB13_28:                              ;   in Loop: Header=BB13_11 Depth=1
	s_or_b64 exec, exec, s[26:27]
	s_and_saveexec_b64 s[26:27], s[4:5]
	s_cbranch_execz .LBB13_32
; %bb.29:                               ;   in Loop: Header=BB13_11 Depth=1
	s_and_b64 vcc, exec, s[0:1]
	s_cbranch_vccnz .LBB13_37
; %bb.30:                               ;   in Loop: Header=BB13_11 Depth=1
	ds_read_b32 v6, v38 offset:32
	v_lshl_add_u64 v[26:27], v[16:17], 2, v[24:25]
	s_waitcnt lgkmcnt(0)
	global_store_dword v[26:27], v6, off
	s_cbranch_execnz .LBB13_32
.LBB13_31:                              ;   in Loop: Header=BB13_11 Depth=1
	ds_read_b32 v28, v38 offset:32
	v_lshlrev_b32_e32 v6, 2, v0
	v_lshl_add_u64 v[26:27], v[22:23], 0, v[6:7]
	s_waitcnt lgkmcnt(0)
	global_store_dword v[26:27], v28, off offset:32
.LBB13_32:                              ;   in Loop: Header=BB13_11 Depth=1
	s_or_b64 exec, exec, s[26:27]
	v_mov_b64_e32 v[26:27], 1
	s_and_saveexec_b64 s[26:27], s[6:7]
	s_cbranch_execz .LBB13_9
; %bb.33:                               ;   in Loop: Header=BB13_11 Depth=1
	s_and_b64 vcc, exec, s[0:1]
	s_cbranch_vccnz .LBB13_38
; %bb.34:                               ;   in Loop: Header=BB13_11 Depth=1
	ds_read_b32 v6, v38 offset:48
	v_lshl_add_u64 v[24:25], v[18:19], 2, v[24:25]
	s_mov_b64 s[0:1], 1
	s_waitcnt lgkmcnt(0)
	global_store_dword v[24:25], v6, off
	s_cbranch_execnz .LBB13_8
	s_branch .LBB13_39
.LBB13_35:                              ;   in Loop: Header=BB13_11 Depth=1
	s_branch .LBB13_23
.LBB13_36:                              ;   in Loop: Header=BB13_11 Depth=1
	s_branch .LBB13_27
.LBB13_37:                              ;   in Loop: Header=BB13_11 Depth=1
	s_branch .LBB13_31
.LBB13_38:                              ;   in Loop: Header=BB13_11 Depth=1
                                        ; implicit-def: $sgpr0_sgpr1
.LBB13_39:                              ;   in Loop: Header=BB13_11 Depth=1
	ds_read_b32 v24, v38 offset:48
	v_lshlrev_b32_e32 v6, 2, v0
	v_lshl_add_u64 v[22:23], v[22:23], 0, v[6:7]
	s_mov_b64 s[0:1], 1
	s_waitcnt lgkmcnt(0)
	global_store_dword v[22:23], v24, off offset:48
	s_branch .LBB13_8
.LBB13_40:
	s_endpgm
	.section	.rodata,"a",@progbits
	.p2align	6, 0x0
	.amdhsa_kernel _ZN9rocsparseL42csr2bsr_wavefront_per_row_multipass_kernelILj256ELj64ELj16EiliEEv20rocsparse_direction_T4_S2_S2_S2_S2_21rocsparse_index_base_PKT2_PKT3_PKS2_S3_PS4_PS7_PS2_
		.amdhsa_group_segment_fixed_size 4100
		.amdhsa_private_segment_fixed_size 0
		.amdhsa_kernarg_size 88
		.amdhsa_user_sgpr_count 2
		.amdhsa_user_sgpr_dispatch_ptr 0
		.amdhsa_user_sgpr_queue_ptr 0
		.amdhsa_user_sgpr_kernarg_segment_ptr 1
		.amdhsa_user_sgpr_dispatch_id 0
		.amdhsa_user_sgpr_kernarg_preload_length 0
		.amdhsa_user_sgpr_kernarg_preload_offset 0
		.amdhsa_user_sgpr_private_segment_size 0
		.amdhsa_uses_dynamic_stack 0
		.amdhsa_enable_private_segment 0
		.amdhsa_system_sgpr_workgroup_id_x 1
		.amdhsa_system_sgpr_workgroup_id_y 0
		.amdhsa_system_sgpr_workgroup_id_z 0
		.amdhsa_system_sgpr_workgroup_info 0
		.amdhsa_system_vgpr_workitem_id 0
		.amdhsa_next_free_vgpr 43
		.amdhsa_next_free_sgpr 35
		.amdhsa_accum_offset 44
		.amdhsa_reserve_vcc 1
		.amdhsa_float_round_mode_32 0
		.amdhsa_float_round_mode_16_64 0
		.amdhsa_float_denorm_mode_32 3
		.amdhsa_float_denorm_mode_16_64 3
		.amdhsa_dx10_clamp 1
		.amdhsa_ieee_mode 1
		.amdhsa_fp16_overflow 0
		.amdhsa_tg_split 0
		.amdhsa_exception_fp_ieee_invalid_op 0
		.amdhsa_exception_fp_denorm_src 0
		.amdhsa_exception_fp_ieee_div_zero 0
		.amdhsa_exception_fp_ieee_overflow 0
		.amdhsa_exception_fp_ieee_underflow 0
		.amdhsa_exception_fp_ieee_inexact 0
		.amdhsa_exception_int_div_zero 0
	.end_amdhsa_kernel
	.section	.text._ZN9rocsparseL42csr2bsr_wavefront_per_row_multipass_kernelILj256ELj64ELj16EiliEEv20rocsparse_direction_T4_S2_S2_S2_S2_21rocsparse_index_base_PKT2_PKT3_PKS2_S3_PS4_PS7_PS2_,"axG",@progbits,_ZN9rocsparseL42csr2bsr_wavefront_per_row_multipass_kernelILj256ELj64ELj16EiliEEv20rocsparse_direction_T4_S2_S2_S2_S2_21rocsparse_index_base_PKT2_PKT3_PKS2_S3_PS4_PS7_PS2_,comdat
.Lfunc_end13:
	.size	_ZN9rocsparseL42csr2bsr_wavefront_per_row_multipass_kernelILj256ELj64ELj16EiliEEv20rocsparse_direction_T4_S2_S2_S2_S2_21rocsparse_index_base_PKT2_PKT3_PKS2_S3_PS4_PS7_PS2_, .Lfunc_end13-_ZN9rocsparseL42csr2bsr_wavefront_per_row_multipass_kernelILj256ELj64ELj16EiliEEv20rocsparse_direction_T4_S2_S2_S2_S2_21rocsparse_index_base_PKT2_PKT3_PKS2_S3_PS4_PS7_PS2_
                                        ; -- End function
	.section	.AMDGPU.csdata,"",@progbits
; Kernel info:
; codeLenInByte = 1680
; NumSgprs: 41
; NumVgprs: 43
; NumAgprs: 0
; TotalNumVgprs: 43
; ScratchSize: 0
; MemoryBound: 0
; FloatMode: 240
; IeeeMode: 1
; LDSByteSize: 4100 bytes/workgroup (compile time only)
; SGPRBlocks: 5
; VGPRBlocks: 5
; NumSGPRsForWavesPerEU: 41
; NumVGPRsForWavesPerEU: 43
; AccumOffset: 44
; Occupancy: 8
; WaveLimiterHint : 0
; COMPUTE_PGM_RSRC2:SCRATCH_EN: 0
; COMPUTE_PGM_RSRC2:USER_SGPR: 2
; COMPUTE_PGM_RSRC2:TRAP_HANDLER: 0
; COMPUTE_PGM_RSRC2:TGID_X_EN: 1
; COMPUTE_PGM_RSRC2:TGID_Y_EN: 0
; COMPUTE_PGM_RSRC2:TGID_Z_EN: 0
; COMPUTE_PGM_RSRC2:TIDIG_COMP_CNT: 0
; COMPUTE_PGM_RSRC3_GFX90A:ACCUM_OFFSET: 10
; COMPUTE_PGM_RSRC3_GFX90A:TG_SPLIT: 0
	.section	.text._ZN9rocsparseL42csr2bsr_wavefront_per_row_multipass_kernelILj256ELj32ELj16EiliEEv20rocsparse_direction_T4_S2_S2_S2_S2_21rocsparse_index_base_PKT2_PKT3_PKS2_S3_PS4_PS7_PS2_,"axG",@progbits,_ZN9rocsparseL42csr2bsr_wavefront_per_row_multipass_kernelILj256ELj32ELj16EiliEEv20rocsparse_direction_T4_S2_S2_S2_S2_21rocsparse_index_base_PKT2_PKT3_PKS2_S3_PS4_PS7_PS2_,comdat
	.globl	_ZN9rocsparseL42csr2bsr_wavefront_per_row_multipass_kernelILj256ELj32ELj16EiliEEv20rocsparse_direction_T4_S2_S2_S2_S2_21rocsparse_index_base_PKT2_PKT3_PKS2_S3_PS4_PS7_PS2_ ; -- Begin function _ZN9rocsparseL42csr2bsr_wavefront_per_row_multipass_kernelILj256ELj32ELj16EiliEEv20rocsparse_direction_T4_S2_S2_S2_S2_21rocsparse_index_base_PKT2_PKT3_PKS2_S3_PS4_PS7_PS2_
	.p2align	8
	.type	_ZN9rocsparseL42csr2bsr_wavefront_per_row_multipass_kernelILj256ELj32ELj16EiliEEv20rocsparse_direction_T4_S2_S2_S2_S2_21rocsparse_index_base_PKT2_PKT3_PKS2_S3_PS4_PS7_PS2_,@function
_ZN9rocsparseL42csr2bsr_wavefront_per_row_multipass_kernelILj256ELj32ELj16EiliEEv20rocsparse_direction_T4_S2_S2_S2_S2_21rocsparse_index_base_PKT2_PKT3_PKS2_S3_PS4_PS7_PS2_: ; @_ZN9rocsparseL42csr2bsr_wavefront_per_row_multipass_kernelILj256ELj32ELj16EiliEEv20rocsparse_direction_T4_S2_S2_S2_S2_21rocsparse_index_base_PKT2_PKT3_PKS2_S3_PS4_PS7_PS2_
; %bb.0:
	s_load_dwordx2 s[4:5], s[0:1], 0x0
	s_load_dwordx4 s[16:19], s[0:1], 0xc
	s_load_dwordx2 s[6:7], s[0:1], 0x28
	v_lshrrev_b32_e32 v42, 5, v0
	v_bfe_u32 v10, v0, 1, 4
	v_lshl_or_b32 v6, s2, 3, v42
	s_waitcnt lgkmcnt(0)
	v_mad_u64_u32 v[4:5], s[2:3], v6, s18, v[10:11]
	v_cmp_gt_i32_e64 s[2:3], s5, v4
	v_cmp_gt_i32_e32 vcc, s18, v10
	v_mov_b64_e32 v[2:3], 0
	s_and_b64 s[8:9], vcc, s[2:3]
	v_mov_b64_e32 v[28:29], v[2:3]
	s_and_saveexec_b64 s[10:11], s[8:9]
	s_cbranch_execz .LBB14_2
; %bb.1:
	v_ashrrev_i32_e32 v5, 31, v4
	v_lshl_add_u64 v[8:9], v[4:5], 3, s[6:7]
	global_load_dwordx2 v[8:9], v[8:9], off
	s_waitcnt vmcnt(0)
	v_subrev_co_u32_e64 v28, s[2:3], s19, v8
	s_nop 1
	v_subbrev_co_u32_e64 v29, s[2:3], 0, v9, s[2:3]
.LBB14_2:
	s_or_b64 exec, exec, s[10:11]
	s_and_saveexec_b64 s[10:11], s[8:9]
	s_cbranch_execz .LBB14_4
; %bb.3:
	v_ashrrev_i32_e32 v5, 31, v4
	v_lshl_add_u64 v[2:3], v[4:5], 3, s[6:7]
	global_load_dwordx2 v[2:3], v[2:3], off offset:8
	s_waitcnt vmcnt(0)
	v_subrev_co_u32_e64 v2, s[2:3], s19, v2
	s_nop 1
	v_subbrev_co_u32_e64 v3, s[2:3], 0, v3, s[2:3]
.LBB14_4:
	s_or_b64 exec, exec, s[10:11]
	s_load_dword s33, s[0:1], 0x38
	v_cmp_gt_i32_e64 s[2:3], s16, v6
	v_mov_b64_e32 v[4:5], 0
	s_and_saveexec_b64 s[6:7], s[2:3]
	s_cbranch_execz .LBB14_6
; %bb.5:
	s_load_dwordx2 s[2:3], s[0:1], 0x48
	v_ashrrev_i32_e32 v7, 31, v6
	s_waitcnt lgkmcnt(0)
	v_lshl_add_u64 v[4:5], v[6:7], 3, s[2:3]
	global_load_dwordx2 v[4:5], v[4:5], off
	s_waitcnt vmcnt(0)
	v_subrev_co_u32_e64 v4, s[2:3], s33, v4
	s_nop 1
	v_subbrev_co_u32_e64 v5, s[2:3], 0, v5, s[2:3]
.LBB14_6:
	s_or_b64 exec, exec, s[6:7]
	s_cmp_lt_i32 s17, 1
	s_cbranch_scc1 .LBB14_60
; %bb.7:
	s_load_dwordx2 s[20:21], s[0:1], 0x20
	s_load_dwordx2 s[22:23], s[0:1], 0x50
	;; [unrolled: 1-line block ×4, first 2 shown]
	v_mbcnt_lo_u32_b32 v6, -1, 0
	v_mbcnt_hi_u32_b32 v6, -1, v6
	v_lshlrev_b32_e32 v1, 8, v42
	v_mov_b32_e32 v7, 0
	v_lshlrev_b32_e32 v12, 2, v6
	v_lshlrev_b32_e32 v6, 2, v10
	v_and_b32_e32 v0, 1, v0
	v_lshl_or_b32 v43, v10, 4, v1
	s_waitcnt lgkmcnt(0)
	v_lshl_add_u64 v[8:9], s[2:3], 0, v[6:7]
	v_mul_lo_u32 v6, v10, s18
	v_lshl_add_u64 v[10:11], v[6:7], 2, s[2:3]
	v_or_b32_e32 v6, v43, v0
	v_lshlrev_b32_e32 v46, 2, v6
	v_or_b32_e32 v6, 2, v0
	v_cmp_gt_u32_e64 s[2:3], s18, v6
	v_or_b32_e32 v6, 4, v0
	s_cmp_lg_u32 s4, 0
	v_cmp_gt_u32_e64 s[4:5], s18, v6
	v_or_b32_e32 v6, 6, v0
	v_cmp_gt_u32_e64 s[6:7], s18, v6
	v_or_b32_e32 v6, 8, v0
	;; [unrolled: 2-line block ×4, first 2 shown]
	s_cselect_b64 s[26:27], -1, 0
	v_cmp_gt_u32_e64 s[12:13], s18, v6
	v_or_b32_e32 v6, 14, v0
	s_abs_i32 s41, s18
	v_cmp_gt_u32_e64 s[14:15], s18, v6
	v_cvt_f32_u32_e32 v6, s41
	v_or_b32_e32 v44, 4, v12
	v_or_b32_e32 v45, 0x7c, v12
	v_mul_lo_u32 v12, v0, s18
	v_rcp_iflag_f32_e32 v6, v6
	s_lshl_b32 s28, s18, 1
	v_add_u32_e32 v14, s28, v12
	v_add_u32_e32 v16, s28, v14
	;; [unrolled: 1-line block ×3, first 2 shown]
	v_mul_f32_e32 v6, 0x4f7ffffe, v6
	v_add_u32_e32 v20, s28, v18
	v_cvt_u32_f32_e32 v6, v6
	v_add_u32_e32 v22, s28, v20
	v_cmp_gt_u32_e64 s[0:1], s18, v0
	v_add_u32_e32 v24, s28, v22
	v_add_u32_e32 v26, s28, v24
	s_and_b64 s[28:29], s[0:1], vcc
	s_sub_i32 s0, 0, s41
	v_mul_lo_u32 v30, s0, v6
	v_mul_hi_u32 v30, v6, v30
	v_mov_b32_e32 v1, v7
	s_mul_hi_u32 s16, s18, s18
	s_mul_i32 s40, s18, s18
	v_mov_b32_e32 v13, v7
	v_mov_b32_e32 v15, v7
	;; [unrolled: 1-line block ×8, first 2 shown]
	s_and_b64 s[2:3], vcc, s[2:3]
	s_and_b64 s[4:5], vcc, s[4:5]
	;; [unrolled: 1-line block ×7, first 2 shown]
	s_ashr_i32 s42, s18, 31
	v_add_u32_e32 v47, v6, v30
	s_mov_b64 s[30:31], 0
	v_mov_b64_e32 v[30:31], 0
	v_mov_b32_e32 v48, 1
	s_branch .LBB14_11
.LBB14_8:                               ;   in Loop: Header=BB14_11 Depth=1
	v_mov_b64_e32 v[34:35], s[0:1]
.LBB14_9:                               ;   in Loop: Header=BB14_11 Depth=1
	s_or_b64 exec, exec, s[36:37]
.LBB14_10:                              ;   in Loop: Header=BB14_11 Depth=1
	s_or_b64 exec, exec, s[34:35]
	v_mov_b32_dpp v6, v49 row_shr:1 row_mask:0xf bank_mask:0xf
	v_min_i32_e32 v6, v6, v49
	v_lshl_add_u64 v[4:5], v[34:35], 0, v[4:5]
	s_waitcnt lgkmcnt(0)
	v_mov_b32_dpp v30, v6 row_shr:2 row_mask:0xf bank_mask:0xf
	v_min_i32_e32 v6, v30, v6
	s_nop 1
	v_mov_b32_dpp v30, v6 row_shr:4 row_mask:0xf bank_mask:0xe
	v_min_i32_e32 v6, v30, v6
	s_nop 1
	;; [unrolled: 3-line block ×3, first 2 shown]
	v_mov_b32_dpp v30, v6 row_bcast:15 row_mask:0xa bank_mask:0xf
	v_min_i32_e32 v6, v30, v6
	ds_bpermute_b32 v30, v45, v6
	s_waitcnt lgkmcnt(0)
	v_cmp_le_i32_e32 vcc, s17, v30
	v_ashrrev_i32_e32 v31, 31, v30
	s_or_b64 s[30:31], vcc, s[30:31]
	s_andn2_b64 exec, exec, s[30:31]
	s_cbranch_execz .LBB14_60
.LBB14_11:                              ; =>This Loop Header: Depth=1
                                        ;     Child Loop BB14_14 Depth 2
	v_lshl_add_u64 v[28:29], v[28:29], 0, v[0:1]
	v_cmp_lt_i64_e32 vcc, v[28:29], v[2:3]
	v_mov_b32_e32 v49, s17
	v_mov_b64_e32 v[36:37], v[2:3]
	ds_write_b8 v42, v7 offset:8192
	ds_write2_b32 v46, v7, v7 offset1:2
	ds_write2_b32 v46, v7, v7 offset0:4 offset1:6
	ds_write2_b32 v46, v7, v7 offset0:8 offset1:10
	;; [unrolled: 1-line block ×3, first 2 shown]
	s_waitcnt lgkmcnt(0)
	s_and_saveexec_b64 s[34:35], vcc
	s_cbranch_execz .LBB14_19
; %bb.12:                               ;   in Loop: Header=BB14_11 Depth=1
	v_lshlrev_b64 v[34:35], 2, v[28:29]
	v_lshl_add_u64 v[32:33], s[20:21], 0, v[34:35]
	v_lshl_add_u64 v[34:35], s[24:25], 0, v[34:35]
	s_mov_b64 s[36:37], 0
	v_mov_b32_e32 v49, s17
	v_mov_b64_e32 v[36:37], v[2:3]
	s_branch .LBB14_14
.LBB14_13:                              ;   in Loop: Header=BB14_14 Depth=2
	s_or_b64 exec, exec, s[0:1]
	v_lshl_add_u64 v[28:29], v[28:29], 0, 2
	v_cmp_ge_i64_e64 s[0:1], v[28:29], v[2:3]
	s_xor_b64 s[38:39], vcc, -1
	s_or_b64 s[0:1], s[38:39], s[0:1]
	s_and_b64 s[0:1], exec, s[0:1]
	v_lshl_add_u64 v[32:33], v[32:33], 0, 8
	s_or_b64 s[36:37], s[0:1], s[36:37]
	v_lshl_add_u64 v[34:35], v[34:35], 0, 8
	s_andn2_b64 exec, exec, s[36:37]
	s_cbranch_execz .LBB14_18
.LBB14_14:                              ;   Parent Loop BB14_11 Depth=1
                                        ; =>  This Inner Loop Header: Depth=2
	global_load_dword v6, v[34:35], off
	s_waitcnt vmcnt(0)
	v_subrev_u32_e32 v6, s19, v6
	v_sub_u32_e32 v39, 0, v6
	v_max_i32_e32 v39, v6, v39
	v_mul_hi_u32 v40, v39, v47
	v_mul_lo_u32 v41, v40, s41
	v_sub_u32_e32 v39, v39, v41
	v_add_u32_e32 v50, 1, v40
	v_cmp_le_u32_e32 vcc, s41, v39
	v_subrev_u32_e32 v41, s41, v39
	v_ashrrev_i32_e32 v38, 31, v6
	v_cndmask_b32_e32 v40, v40, v50, vcc
	v_cndmask_b32_e32 v39, v39, v41, vcc
	v_add_u32_e32 v41, 1, v40
	v_cmp_le_u32_e32 vcc, s41, v39
	v_xor_b32_e32 v38, s42, v38
	s_nop 0
	v_cndmask_b32_e32 v39, v40, v41, vcc
	v_xor_b32_e32 v39, v39, v38
	v_sub_u32_e32 v38, v39, v38
	v_ashrrev_i32_e32 v39, 31, v38
	v_cmp_eq_u64_e32 vcc, v[30:31], v[38:39]
	v_cmp_ne_u64_e64 s[0:1], v[30:31], v[38:39]
	v_mov_b64_e32 v[40:41], v[36:37]
	s_and_saveexec_b64 s[38:39], s[0:1]
	s_xor_b64 s[0:1], exec, s[38:39]
; %bb.15:                               ;   in Loop: Header=BB14_14 Depth=2
	v_min_i32_e32 v49, v38, v49
                                        ; implicit-def: $vgpr38
                                        ; implicit-def: $vgpr6
                                        ; implicit-def: $vgpr40_vgpr41
; %bb.16:                               ;   in Loop: Header=BB14_14 Depth=2
	s_or_saveexec_b64 s[0:1], s[0:1]
	v_mov_b64_e32 v[36:37], v[28:29]
	s_xor_b64 exec, exec, s[0:1]
	s_cbranch_execz .LBB14_13
; %bb.17:                               ;   in Loop: Header=BB14_14 Depth=2
	global_load_dword v36, v[32:33], off
	v_mul_lo_u32 v37, v38, s18
	v_sub_u32_e32 v6, v6, v37
	v_add_lshl_u32 v6, v43, v6, 2
	ds_write_b8 v42, v48 offset:8192
	s_waitcnt vmcnt(0)
	ds_write_b32 v6, v36
	v_mov_b64_e32 v[36:37], v[40:41]
	s_branch .LBB14_13
.LBB14_18:                              ;   in Loop: Header=BB14_11 Depth=1
	s_or_b64 exec, exec, s[36:37]
.LBB14_19:                              ;   in Loop: Header=BB14_11 Depth=1
	s_or_b64 exec, exec, s[34:35]
	v_mov_b32_dpp v28, v36 row_shr:1 row_mask:0xf bank_mask:0xf
	v_mov_b32_dpp v29, v37 row_shr:1 row_mask:0xf bank_mask:0xf
	s_waitcnt lgkmcnt(0)
	v_cmp_lt_i64_e32 vcc, v[28:29], v[36:37]
	ds_read_u8 v31, v42 offset:8192
	v_mov_b64_e32 v[34:35], 0
	v_cndmask_b32_e32 v6, v37, v29, vcc
	v_cndmask_b32_e32 v28, v36, v28, vcc
	ds_bpermute_b32 v28, v44, v28
	ds_bpermute_b32 v29, v44, v6
	s_waitcnt lgkmcnt(2)
	v_and_b32_e32 v6, 1, v31
	v_cmp_eq_u32_e32 vcc, 1, v6
	s_and_saveexec_b64 s[34:35], vcc
	s_cbranch_execz .LBB14_10
; %bb.20:                               ;   in Loop: Header=BB14_11 Depth=1
	v_add_u32_e32 v6, s33, v30
	v_lshl_add_u64 v[30:31], v[4:5], 2, s[22:23]
	global_store_dword v[30:31], v6, off
	v_mul_lo_u32 v6, s16, v4
	v_mul_lo_u32 v32, s40, v5
	v_mad_u64_u32 v[30:31], s[0:1], s40, v4, 0
	v_add3_u32 v31, v31, v32, v6
	v_lshlrev_b64 v[30:31], 2, v[30:31]
	v_lshl_add_u64 v[32:33], v[8:9], 0, v[30:31]
	v_lshl_add_u64 v[30:31], v[10:11], 0, v[30:31]
	s_and_saveexec_b64 s[0:1], s[28:29]
	s_cbranch_execz .LBB14_24
; %bb.21:                               ;   in Loop: Header=BB14_11 Depth=1
	s_and_b64 vcc, exec, s[26:27]
	s_cbranch_vccz .LBB14_51
; %bb.22:                               ;   in Loop: Header=BB14_11 Depth=1
	ds_read_b32 v6, v46
	v_lshl_add_u64 v[34:35], v[12:13], 2, v[32:33]
	s_waitcnt lgkmcnt(0)
	global_store_dword v[34:35], v6, off
	s_cbranch_execnz .LBB14_24
.LBB14_23:                              ;   in Loop: Header=BB14_11 Depth=1
	ds_read_b32 v36, v46
	v_lshlrev_b32_e32 v6, 2, v0
	v_lshl_add_u64 v[34:35], v[30:31], 0, v[6:7]
	s_waitcnt lgkmcnt(0)
	global_store_dword v[34:35], v36, off
.LBB14_24:                              ;   in Loop: Header=BB14_11 Depth=1
	s_or_b64 exec, exec, s[0:1]
	v_cndmask_b32_e64 v6, 0, 1, s[26:27]
	v_cmp_ne_u32_e64 s[0:1], 1, v6
	s_and_saveexec_b64 s[36:37], s[2:3]
	s_cbranch_execz .LBB14_28
; %bb.25:                               ;   in Loop: Header=BB14_11 Depth=1
	s_and_b64 vcc, exec, s[0:1]
	s_cbranch_vccnz .LBB14_52
; %bb.26:                               ;   in Loop: Header=BB14_11 Depth=1
	ds_read_b32 v6, v46 offset:8
	v_lshl_add_u64 v[34:35], v[14:15], 2, v[32:33]
	s_waitcnt lgkmcnt(0)
	global_store_dword v[34:35], v6, off
	s_cbranch_execnz .LBB14_28
.LBB14_27:                              ;   in Loop: Header=BB14_11 Depth=1
	ds_read_b32 v36, v46 offset:8
	v_lshlrev_b32_e32 v6, 2, v0
	v_lshl_add_u64 v[34:35], v[30:31], 0, v[6:7]
	s_waitcnt lgkmcnt(0)
	global_store_dword v[34:35], v36, off offset:8
.LBB14_28:                              ;   in Loop: Header=BB14_11 Depth=1
	s_or_b64 exec, exec, s[36:37]
	s_and_saveexec_b64 s[36:37], s[4:5]
	s_cbranch_execz .LBB14_32
; %bb.29:                               ;   in Loop: Header=BB14_11 Depth=1
	s_and_b64 vcc, exec, s[0:1]
	s_cbranch_vccnz .LBB14_53
; %bb.30:                               ;   in Loop: Header=BB14_11 Depth=1
	ds_read_b32 v6, v46 offset:16
	v_lshl_add_u64 v[34:35], v[16:17], 2, v[32:33]
	s_waitcnt lgkmcnt(0)
	global_store_dword v[34:35], v6, off
	s_cbranch_execnz .LBB14_32
.LBB14_31:                              ;   in Loop: Header=BB14_11 Depth=1
	ds_read_b32 v36, v46 offset:16
	v_lshlrev_b32_e32 v6, 2, v0
	v_lshl_add_u64 v[34:35], v[30:31], 0, v[6:7]
	s_waitcnt lgkmcnt(0)
	global_store_dword v[34:35], v36, off offset:16
.LBB14_32:                              ;   in Loop: Header=BB14_11 Depth=1
	s_or_b64 exec, exec, s[36:37]
	s_and_saveexec_b64 s[36:37], s[6:7]
	s_cbranch_execz .LBB14_36
; %bb.33:                               ;   in Loop: Header=BB14_11 Depth=1
	s_and_b64 vcc, exec, s[0:1]
	s_cbranch_vccnz .LBB14_54
; %bb.34:                               ;   in Loop: Header=BB14_11 Depth=1
	ds_read_b32 v6, v46 offset:24
	v_lshl_add_u64 v[34:35], v[18:19], 2, v[32:33]
	s_waitcnt lgkmcnt(0)
	global_store_dword v[34:35], v6, off
	s_cbranch_execnz .LBB14_36
.LBB14_35:                              ;   in Loop: Header=BB14_11 Depth=1
	ds_read_b32 v36, v46 offset:24
	v_lshlrev_b32_e32 v6, 2, v0
	v_lshl_add_u64 v[34:35], v[30:31], 0, v[6:7]
	s_waitcnt lgkmcnt(0)
	global_store_dword v[34:35], v36, off offset:24
.LBB14_36:                              ;   in Loop: Header=BB14_11 Depth=1
	s_or_b64 exec, exec, s[36:37]
	s_and_saveexec_b64 s[36:37], s[8:9]
	s_cbranch_execz .LBB14_40
; %bb.37:                               ;   in Loop: Header=BB14_11 Depth=1
	s_and_b64 vcc, exec, s[0:1]
	s_cbranch_vccnz .LBB14_55
; %bb.38:                               ;   in Loop: Header=BB14_11 Depth=1
	ds_read_b32 v6, v46 offset:32
	v_lshl_add_u64 v[34:35], v[20:21], 2, v[32:33]
	s_waitcnt lgkmcnt(0)
	global_store_dword v[34:35], v6, off
	s_cbranch_execnz .LBB14_40
.LBB14_39:                              ;   in Loop: Header=BB14_11 Depth=1
	ds_read_b32 v36, v46 offset:32
	v_lshlrev_b32_e32 v6, 2, v0
	v_lshl_add_u64 v[34:35], v[30:31], 0, v[6:7]
	s_waitcnt lgkmcnt(0)
	global_store_dword v[34:35], v36, off offset:32
.LBB14_40:                              ;   in Loop: Header=BB14_11 Depth=1
	s_or_b64 exec, exec, s[36:37]
	s_and_saveexec_b64 s[36:37], s[10:11]
	s_cbranch_execz .LBB14_44
; %bb.41:                               ;   in Loop: Header=BB14_11 Depth=1
	s_and_b64 vcc, exec, s[0:1]
	s_cbranch_vccnz .LBB14_56
; %bb.42:                               ;   in Loop: Header=BB14_11 Depth=1
	ds_read_b32 v6, v46 offset:40
	v_lshl_add_u64 v[34:35], v[22:23], 2, v[32:33]
	s_waitcnt lgkmcnt(0)
	global_store_dword v[34:35], v6, off
	s_cbranch_execnz .LBB14_44
.LBB14_43:                              ;   in Loop: Header=BB14_11 Depth=1
	ds_read_b32 v36, v46 offset:40
	v_lshlrev_b32_e32 v6, 2, v0
	v_lshl_add_u64 v[34:35], v[30:31], 0, v[6:7]
	s_waitcnt lgkmcnt(0)
	global_store_dword v[34:35], v36, off offset:40
.LBB14_44:                              ;   in Loop: Header=BB14_11 Depth=1
	s_or_b64 exec, exec, s[36:37]
	s_and_saveexec_b64 s[36:37], s[12:13]
	s_cbranch_execz .LBB14_48
; %bb.45:                               ;   in Loop: Header=BB14_11 Depth=1
	s_and_b64 vcc, exec, s[0:1]
	s_cbranch_vccnz .LBB14_57
; %bb.46:                               ;   in Loop: Header=BB14_11 Depth=1
	ds_read_b32 v6, v46 offset:48
	v_lshl_add_u64 v[34:35], v[24:25], 2, v[32:33]
	s_waitcnt lgkmcnt(0)
	global_store_dword v[34:35], v6, off
	s_cbranch_execnz .LBB14_48
.LBB14_47:                              ;   in Loop: Header=BB14_11 Depth=1
	ds_read_b32 v36, v46 offset:48
	v_lshlrev_b32_e32 v6, 2, v0
	v_lshl_add_u64 v[34:35], v[30:31], 0, v[6:7]
	s_waitcnt lgkmcnt(0)
	global_store_dword v[34:35], v36, off offset:48
.LBB14_48:                              ;   in Loop: Header=BB14_11 Depth=1
	s_or_b64 exec, exec, s[36:37]
	v_mov_b64_e32 v[34:35], 1
	s_and_saveexec_b64 s[36:37], s[14:15]
	s_cbranch_execz .LBB14_9
; %bb.49:                               ;   in Loop: Header=BB14_11 Depth=1
	s_and_b64 vcc, exec, s[0:1]
	s_cbranch_vccnz .LBB14_58
; %bb.50:                               ;   in Loop: Header=BB14_11 Depth=1
	ds_read_b32 v6, v46 offset:56
	v_lshl_add_u64 v[32:33], v[26:27], 2, v[32:33]
	s_mov_b64 s[0:1], 1
	s_waitcnt lgkmcnt(0)
	global_store_dword v[32:33], v6, off
	s_cbranch_execnz .LBB14_8
	s_branch .LBB14_59
.LBB14_51:                              ;   in Loop: Header=BB14_11 Depth=1
	s_branch .LBB14_23
.LBB14_52:                              ;   in Loop: Header=BB14_11 Depth=1
	s_branch .LBB14_27
.LBB14_53:                              ;   in Loop: Header=BB14_11 Depth=1
	s_branch .LBB14_31
.LBB14_54:                              ;   in Loop: Header=BB14_11 Depth=1
	s_branch .LBB14_35
.LBB14_55:                              ;   in Loop: Header=BB14_11 Depth=1
	s_branch .LBB14_39
.LBB14_56:                              ;   in Loop: Header=BB14_11 Depth=1
	s_branch .LBB14_43
.LBB14_57:                              ;   in Loop: Header=BB14_11 Depth=1
	s_branch .LBB14_47
.LBB14_58:                              ;   in Loop: Header=BB14_11 Depth=1
                                        ; implicit-def: $sgpr0_sgpr1
.LBB14_59:                              ;   in Loop: Header=BB14_11 Depth=1
	ds_read_b32 v32, v46 offset:56
	v_lshlrev_b32_e32 v6, 2, v0
	v_lshl_add_u64 v[30:31], v[30:31], 0, v[6:7]
	s_mov_b64 s[0:1], 1
	s_waitcnt lgkmcnt(0)
	global_store_dword v[30:31], v32, off offset:56
	s_branch .LBB14_8
.LBB14_60:
	s_endpgm
	.section	.rodata,"a",@progbits
	.p2align	6, 0x0
	.amdhsa_kernel _ZN9rocsparseL42csr2bsr_wavefront_per_row_multipass_kernelILj256ELj32ELj16EiliEEv20rocsparse_direction_T4_S2_S2_S2_S2_21rocsparse_index_base_PKT2_PKT3_PKS2_S3_PS4_PS7_PS2_
		.amdhsa_group_segment_fixed_size 8200
		.amdhsa_private_segment_fixed_size 0
		.amdhsa_kernarg_size 88
		.amdhsa_user_sgpr_count 2
		.amdhsa_user_sgpr_dispatch_ptr 0
		.amdhsa_user_sgpr_queue_ptr 0
		.amdhsa_user_sgpr_kernarg_segment_ptr 1
		.amdhsa_user_sgpr_dispatch_id 0
		.amdhsa_user_sgpr_kernarg_preload_length 0
		.amdhsa_user_sgpr_kernarg_preload_offset 0
		.amdhsa_user_sgpr_private_segment_size 0
		.amdhsa_uses_dynamic_stack 0
		.amdhsa_enable_private_segment 0
		.amdhsa_system_sgpr_workgroup_id_x 1
		.amdhsa_system_sgpr_workgroup_id_y 0
		.amdhsa_system_sgpr_workgroup_id_z 0
		.amdhsa_system_sgpr_workgroup_info 0
		.amdhsa_system_vgpr_workitem_id 0
		.amdhsa_next_free_vgpr 51
		.amdhsa_next_free_sgpr 43
		.amdhsa_accum_offset 52
		.amdhsa_reserve_vcc 1
		.amdhsa_float_round_mode_32 0
		.amdhsa_float_round_mode_16_64 0
		.amdhsa_float_denorm_mode_32 3
		.amdhsa_float_denorm_mode_16_64 3
		.amdhsa_dx10_clamp 1
		.amdhsa_ieee_mode 1
		.amdhsa_fp16_overflow 0
		.amdhsa_tg_split 0
		.amdhsa_exception_fp_ieee_invalid_op 0
		.amdhsa_exception_fp_denorm_src 0
		.amdhsa_exception_fp_ieee_div_zero 0
		.amdhsa_exception_fp_ieee_overflow 0
		.amdhsa_exception_fp_ieee_underflow 0
		.amdhsa_exception_fp_ieee_inexact 0
		.amdhsa_exception_int_div_zero 0
	.end_amdhsa_kernel
	.section	.text._ZN9rocsparseL42csr2bsr_wavefront_per_row_multipass_kernelILj256ELj32ELj16EiliEEv20rocsparse_direction_T4_S2_S2_S2_S2_21rocsparse_index_base_PKT2_PKT3_PKS2_S3_PS4_PS7_PS2_,"axG",@progbits,_ZN9rocsparseL42csr2bsr_wavefront_per_row_multipass_kernelILj256ELj32ELj16EiliEEv20rocsparse_direction_T4_S2_S2_S2_S2_21rocsparse_index_base_PKT2_PKT3_PKS2_S3_PS4_PS7_PS2_,comdat
.Lfunc_end14:
	.size	_ZN9rocsparseL42csr2bsr_wavefront_per_row_multipass_kernelILj256ELj32ELj16EiliEEv20rocsparse_direction_T4_S2_S2_S2_S2_21rocsparse_index_base_PKT2_PKT3_PKS2_S3_PS4_PS7_PS2_, .Lfunc_end14-_ZN9rocsparseL42csr2bsr_wavefront_per_row_multipass_kernelILj256ELj32ELj16EiliEEv20rocsparse_direction_T4_S2_S2_S2_S2_21rocsparse_index_base_PKT2_PKT3_PKS2_S3_PS4_PS7_PS2_
                                        ; -- End function
	.section	.AMDGPU.csdata,"",@progbits
; Kernel info:
; codeLenInByte = 2096
; NumSgprs: 49
; NumVgprs: 51
; NumAgprs: 0
; TotalNumVgprs: 51
; ScratchSize: 0
; MemoryBound: 0
; FloatMode: 240
; IeeeMode: 1
; LDSByteSize: 8200 bytes/workgroup (compile time only)
; SGPRBlocks: 6
; VGPRBlocks: 6
; NumSGPRsForWavesPerEU: 49
; NumVGPRsForWavesPerEU: 51
; AccumOffset: 52
; Occupancy: 7
; WaveLimiterHint : 0
; COMPUTE_PGM_RSRC2:SCRATCH_EN: 0
; COMPUTE_PGM_RSRC2:USER_SGPR: 2
; COMPUTE_PGM_RSRC2:TRAP_HANDLER: 0
; COMPUTE_PGM_RSRC2:TGID_X_EN: 1
; COMPUTE_PGM_RSRC2:TGID_Y_EN: 0
; COMPUTE_PGM_RSRC2:TGID_Z_EN: 0
; COMPUTE_PGM_RSRC2:TIDIG_COMP_CNT: 0
; COMPUTE_PGM_RSRC3_GFX90A:ACCUM_OFFSET: 12
; COMPUTE_PGM_RSRC3_GFX90A:TG_SPLIT: 0
	.section	.text._ZN9rocsparseL38csr2bsr_block_per_row_multipass_kernelILj256ELj32EiliEEv20rocsparse_direction_T3_S2_S2_S2_S2_21rocsparse_index_base_PKT1_PKT2_PKS2_S3_PS4_PS7_PS2_,"axG",@progbits,_ZN9rocsparseL38csr2bsr_block_per_row_multipass_kernelILj256ELj32EiliEEv20rocsparse_direction_T3_S2_S2_S2_S2_21rocsparse_index_base_PKT1_PKT2_PKS2_S3_PS4_PS7_PS2_,comdat
	.globl	_ZN9rocsparseL38csr2bsr_block_per_row_multipass_kernelILj256ELj32EiliEEv20rocsparse_direction_T3_S2_S2_S2_S2_21rocsparse_index_base_PKT1_PKT2_PKS2_S3_PS4_PS7_PS2_ ; -- Begin function _ZN9rocsparseL38csr2bsr_block_per_row_multipass_kernelILj256ELj32EiliEEv20rocsparse_direction_T3_S2_S2_S2_S2_21rocsparse_index_base_PKT1_PKT2_PKS2_S3_PS4_PS7_PS2_
	.p2align	8
	.type	_ZN9rocsparseL38csr2bsr_block_per_row_multipass_kernelILj256ELj32EiliEEv20rocsparse_direction_T3_S2_S2_S2_S2_21rocsparse_index_base_PKT1_PKT2_PKS2_S3_PS4_PS7_PS2_,@function
_ZN9rocsparseL38csr2bsr_block_per_row_multipass_kernelILj256ELj32EiliEEv20rocsparse_direction_T3_S2_S2_S2_S2_21rocsparse_index_base_PKT1_PKT2_PKS2_S3_PS4_PS7_PS2_: ; @_ZN9rocsparseL38csr2bsr_block_per_row_multipass_kernelILj256ELj32EiliEEv20rocsparse_direction_T3_S2_S2_S2_S2_21rocsparse_index_base_PKT1_PKT2_PKS2_S3_PS4_PS7_PS2_
; %bb.0:
	s_load_dwordx4 s[20:23], s[0:1], 0x10
	s_load_dwordx2 s[6:7], s[0:1], 0x0
	s_load_dwordx2 s[8:9], s[0:1], 0x28
	v_lshrrev_b32_e32 v1, 3, v0
	v_mov_b64_e32 v[2:3], 0
	s_waitcnt lgkmcnt(0)
	s_mul_i32 s3, s2, s21
	v_add_u32_e32 v4, s3, v1
	v_cmp_gt_i32_e64 s[4:5], s7, v4
	v_cmp_gt_i32_e32 vcc, s21, v1
	s_and_b64 s[10:11], vcc, s[4:5]
	v_mov_b64_e32 v[16:17], v[2:3]
	s_and_saveexec_b64 s[12:13], s[10:11]
	s_cbranch_execnz .LBB15_3
; %bb.1:
	s_or_b64 exec, exec, s[12:13]
	s_and_saveexec_b64 s[12:13], s[10:11]
	s_cbranch_execnz .LBB15_4
.LBB15_2:
	s_or_b64 exec, exec, s[12:13]
	s_cmp_lt_i32 s20, 1
	s_cbranch_scc0 .LBB15_5
	s_branch .LBB15_41
.LBB15_3:
	v_ashrrev_i32_e32 v5, 31, v4
	v_lshl_add_u64 v[6:7], v[4:5], 3, s[8:9]
	global_load_dwordx2 v[6:7], v[6:7], off
	s_waitcnt vmcnt(0)
	v_subrev_co_u32_e64 v16, s[4:5], s22, v6
	s_nop 1
	v_subbrev_co_u32_e64 v17, s[4:5], 0, v7, s[4:5]
	s_or_b64 exec, exec, s[12:13]
	s_and_saveexec_b64 s[12:13], s[10:11]
	s_cbranch_execz .LBB15_2
.LBB15_4:
	v_ashrrev_i32_e32 v5, 31, v4
	v_lshl_add_u64 v[2:3], v[4:5], 3, s[8:9]
	global_load_dwordx2 v[2:3], v[2:3], off offset:8
	s_waitcnt vmcnt(0)
	v_subrev_co_u32_e64 v2, s[4:5], s22, v2
	s_nop 1
	v_subbrev_co_u32_e64 v3, s[4:5], 0, v3, s[4:5]
	s_or_b64 exec, exec, s[12:13]
	s_cmp_lt_i32 s20, 1
	s_cbranch_scc1 .LBB15_41
.LBB15_5:
	s_load_dwordx4 s[8:11], s[0:1], 0x40
	s_load_dwordx2 s[24:25], s[0:1], 0x50
	s_load_dword s23, s[0:1], 0x38
	s_ashr_i32 s3, s2, 31
	s_lshl_b64 s[2:3], s[2:3], 3
	s_waitcnt lgkmcnt(0)
	s_add_u32 s2, s10, s2
	s_addc_u32 s3, s11, s3
	s_load_dwordx2 s[4:5], s[2:3], 0x0
	s_load_dwordx2 s[26:27], s[0:1], 0x20
	;; [unrolled: 1-line block ×3, first 2 shown]
	v_mov_b32_e32 v5, 0
	v_and_b32_e32 v4, 7, v0
	s_waitcnt lgkmcnt(0)
	s_sub_u32 s30, s4, s23
	s_subb_u32 s31, s5, 0
	s_cmp_eq_u32 s6, 0
	s_cselect_b64 s[0:1], -1, 0
	s_abs_i32 s49, s21
	v_cvt_f32_u32_e32 v14, s49
	v_mul_lo_u32 v8, v1, s21
	v_mov_b32_e32 v9, v5
	v_lshl_add_u64 v[8:9], v[8:9], 2, s[8:9]
	v_lshlrev_b32_e32 v10, 2, v4
	v_mov_b32_e32 v11, v5
	v_rcp_iflag_f32_e32 v18, v14
	v_lshl_add_u64 v[8:9], v[8:9], 0, v[10:11]
	v_cmp_gt_u32_e64 s[18:19], s21, v4
	v_or_b32_e32 v10, 8, v4
	s_and_b64 s[34:35], vcc, s[18:19]
	v_cmp_gt_u32_e64 s[18:19], s21, v10
	v_or_b32_e32 v12, 16, v4
	s_and_b64 s[36:37], vcc, s[18:19]
	v_cmp_gt_u32_e64 s[18:19], s21, v12
	v_or_b32_e32 v15, 24, v4
	v_mbcnt_lo_u32_b32 v6, -1, 0
	s_and_b64 s[38:39], vcc, s[18:19]
	v_cmp_gt_u32_e64 s[18:19], s21, v15
	v_mul_f32_e32 v15, 0x4f7ffffe, v18
	v_mbcnt_hi_u32_b32 v6, -1, v6
	v_cvt_u32_f32_e32 v18, v15
	v_lshlrev_b32_e32 v30, 5, v1
	v_lshl_or_b32 v31, v6, 2, 28
	v_lshlrev_b32_e32 v6, 2, v1
	v_mov_b32_e32 v7, v5
	s_movk_i32 s2, 0x80
	v_lshl_add_u64 v[6:7], s[8:9], 0, v[6:7]
	v_lshlrev_b32_e32 v32, 2, v0
	v_cmp_gt_u32_e64 s[2:3], s2, v0
	v_cmp_gt_u32_e64 s[4:5], 64, v0
	;; [unrolled: 1-line block ×7, first 2 shown]
	v_cmp_eq_u32_e64 s[16:17], 0, v0
	v_or_b32_e32 v0, v30, v4
	v_lshlrev_b32_e32 v33, 2, v0
	v_mul_lo_u32 v0, v4, s21
	s_lshl_b32 s42, s21, 3
	s_and_b64 s[40:41], vcc, s[18:19]
	s_sub_i32 s18, 0, s49
	v_add_u32_e32 v10, s42, v0
	v_mul_lo_u32 v19, s18, v18
	v_add_u32_e32 v12, s42, v10
	v_mul_hi_u32 v19, v18, v19
	s_mul_hi_u32 s33, s21, s21
	s_mul_i32 s48, s21, s21
	v_mov_b32_e32 v1, v5
	v_mov_b32_e32 v13, v5
	v_add_u32_e32 v14, s42, v12
	v_mov_b32_e32 v15, v5
	s_ashr_i32 s50, s21, 31
	v_add_u32_e32 v34, v18, v19
	v_mov_b64_e32 v[18:19], 0
	s_mov_b64 s[42:43], 0x60
	v_mov_b32_e32 v35, 1
	s_branch .LBB15_7
.LBB15_6:                               ;   in Loop: Header=BB15_7 Depth=1
	s_or_b64 exec, exec, s[44:45]
	s_waitcnt lgkmcnt(0)
	s_barrier
	ds_read_b32 v18, v5
	s_add_u32 s30, s18, s30
	s_addc_u32 s31, s19, s31
	s_waitcnt lgkmcnt(0)
	s_barrier
	v_cmp_gt_i32_e32 vcc, s20, v18
	v_ashrrev_i32_e32 v19, 31, v18
	s_cbranch_vccz .LBB15_41
.LBB15_7:                               ; =>This Loop Header: Depth=1
                                        ;     Child Loop BB15_10 Depth 2
	v_lshl_add_u64 v[16:17], v[16:17], 0, v[4:5]
	v_cmp_lt_i64_e32 vcc, v[16:17], v[2:3]
	v_mov_b32_e32 v36, s20
	v_mov_b64_e32 v[24:25], v[2:3]
	ds_write_b8 v5, v5 offset:4096
	ds_write2_b32 v33, v5, v5 offset1:8
	ds_write2_b32 v33, v5, v5 offset0:16 offset1:24
	s_waitcnt lgkmcnt(0)
	s_barrier
	s_and_saveexec_b64 s[44:45], vcc
	s_cbranch_execz .LBB15_15
; %bb.8:                                ;   in Loop: Header=BB15_7 Depth=1
	v_lshlrev_b64 v[22:23], 2, v[16:17]
	v_lshl_add_u64 v[20:21], s[26:27], 0, v[22:23]
	v_lshl_add_u64 v[22:23], s[28:29], 0, v[22:23]
	s_mov_b64 s[46:47], 0
	v_mov_b32_e32 v36, s20
	v_mov_b64_e32 v[24:25], v[2:3]
	s_branch .LBB15_10
.LBB15_9:                               ;   in Loop: Header=BB15_10 Depth=2
	s_or_b64 exec, exec, s[18:19]
	v_lshl_add_u64 v[16:17], v[16:17], 0, 8
	v_cmp_ge_i64_e64 s[18:19], v[16:17], v[2:3]
	s_xor_b64 s[52:53], vcc, -1
	s_or_b64 s[18:19], s[52:53], s[18:19]
	s_and_b64 s[18:19], exec, s[18:19]
	v_lshl_add_u64 v[20:21], v[20:21], 0, 32
	s_or_b64 s[46:47], s[18:19], s[46:47]
	v_lshl_add_u64 v[22:23], v[22:23], 0, 32
	s_andn2_b64 exec, exec, s[46:47]
	s_cbranch_execz .LBB15_14
.LBB15_10:                              ;   Parent Loop BB15_7 Depth=1
                                        ; =>  This Inner Loop Header: Depth=2
	global_load_dword v26, v[22:23], off
	s_waitcnt vmcnt(0)
	v_subrev_u32_e32 v37, s22, v26
	v_sub_u32_e32 v27, 0, v37
	v_max_i32_e32 v27, v37, v27
	v_mul_hi_u32 v28, v27, v34
	v_mul_lo_u32 v29, v28, s49
	v_sub_u32_e32 v27, v27, v29
	v_add_u32_e32 v38, 1, v28
	v_cmp_le_u32_e32 vcc, s49, v27
	v_subrev_u32_e32 v29, s49, v27
	v_ashrrev_i32_e32 v26, 31, v37
	v_cndmask_b32_e32 v28, v28, v38, vcc
	v_cndmask_b32_e32 v27, v27, v29, vcc
	v_add_u32_e32 v29, 1, v28
	v_cmp_le_u32_e32 vcc, s49, v27
	v_xor_b32_e32 v26, s50, v26
	s_nop 0
	v_cndmask_b32_e32 v27, v28, v29, vcc
	v_xor_b32_e32 v27, v27, v26
	v_sub_u32_e32 v26, v27, v26
	v_ashrrev_i32_e32 v27, 31, v26
	v_cmp_eq_u64_e32 vcc, v[18:19], v[26:27]
	v_cmp_ne_u64_e64 s[18:19], v[18:19], v[26:27]
	v_mov_b64_e32 v[28:29], v[24:25]
	s_and_saveexec_b64 s[52:53], s[18:19]
	s_xor_b64 s[18:19], exec, s[52:53]
; %bb.11:                               ;   in Loop: Header=BB15_10 Depth=2
	v_min_i32_e32 v36, v26, v36
                                        ; implicit-def: $vgpr26
                                        ; implicit-def: $vgpr37
                                        ; implicit-def: $vgpr28_vgpr29
; %bb.12:                               ;   in Loop: Header=BB15_10 Depth=2
	s_or_saveexec_b64 s[18:19], s[18:19]
	v_mov_b64_e32 v[24:25], v[16:17]
	s_xor_b64 exec, exec, s[18:19]
	s_cbranch_execz .LBB15_9
; %bb.13:                               ;   in Loop: Header=BB15_10 Depth=2
	global_load_dword v24, v[20:21], off
	v_mul_lo_u32 v25, v26, s21
	v_sub_u32_e32 v25, v37, v25
	v_add_lshl_u32 v25, v25, v30, 2
	ds_write_b8 v5, v35 offset:4096
	s_waitcnt vmcnt(0)
	ds_write_b32 v25, v24
	v_mov_b64_e32 v[24:25], v[28:29]
	s_branch .LBB15_9
.LBB15_14:                              ;   in Loop: Header=BB15_7 Depth=1
	s_or_b64 exec, exec, s[46:47]
.LBB15_15:                              ;   in Loop: Header=BB15_7 Depth=1
	s_or_b64 exec, exec, s[44:45]
	v_mov_b32_dpp v16, v24 row_shr:1 row_mask:0xf bank_mask:0xf
	v_mov_b32_dpp v17, v25 row_shr:1 row_mask:0xf bank_mask:0xf
	v_cmp_lt_i64_e32 vcc, v[16:17], v[24:25]
	s_waitcnt lgkmcnt(0)
	s_barrier
	v_cndmask_b32_e32 v17, v25, v17, vcc
	v_cndmask_b32_e32 v16, v24, v16, vcc
	s_nop 0
	v_mov_b32_dpp v21, v17 row_shr:2 row_mask:0xf bank_mask:0xf
	v_mov_b32_dpp v20, v16 row_shr:2 row_mask:0xf bank_mask:0xf
	v_cmp_lt_i64_e32 vcc, v[20:21], v[16:17]
	ds_read_u8 v19, v5 offset:4096
	s_mov_b64 s[18:19], 0
	v_cndmask_b32_e32 v17, v17, v21, vcc
	v_cndmask_b32_e32 v16, v16, v20, vcc
	s_nop 0
	v_mov_b32_dpp v21, v17 row_shr:4 row_mask:0xf bank_mask:0xe
	v_mov_b32_dpp v20, v16 row_shr:4 row_mask:0xf bank_mask:0xe
	v_cmp_lt_i64_e32 vcc, v[20:21], v[16:17]
	s_nop 1
	v_cndmask_b32_e32 v17, v17, v21, vcc
	v_cndmask_b32_e32 v16, v16, v20, vcc
	ds_bpermute_b32 v16, v31, v16
	ds_bpermute_b32 v17, v31, v17
	s_waitcnt lgkmcnt(2)
	v_cmp_eq_u32_e32 vcc, 0, v19
	s_cbranch_vccnz .LBB15_22
; %bb.16:                               ;   in Loop: Header=BB15_7 Depth=1
	s_lshl_b64 s[18:19], s[30:31], 2
	s_add_u32 s18, s24, s18
	v_add_u32_e32 v18, s23, v18
	s_addc_u32 s19, s25, s19
	global_store_dword v5, v18, s[18:19]
	s_mul_i32 s18, s48, s31
	s_mul_hi_u32 s19, s48, s30
	s_add_i32 s18, s19, s18
	s_mul_i32 s19, s33, s30
	s_add_i32 s19, s18, s19
	s_mul_i32 s18, s48, s30
	s_lshl_b64 s[18:19], s[18:19], 2
	v_lshl_add_u64 v[18:19], v[6:7], 0, s[18:19]
	v_lshl_add_u64 v[20:21], v[8:9], 0, s[18:19]
	s_and_saveexec_b64 s[18:19], s[34:35]
	s_cbranch_execnz .LBB15_38
; %bb.17:                               ;   in Loop: Header=BB15_7 Depth=1
	s_or_b64 exec, exec, s[18:19]
	s_and_saveexec_b64 s[18:19], s[36:37]
	s_cbranch_execnz .LBB15_39
.LBB15_18:                              ;   in Loop: Header=BB15_7 Depth=1
	s_or_b64 exec, exec, s[18:19]
	s_and_saveexec_b64 s[18:19], s[38:39]
	s_cbranch_execnz .LBB15_40
.LBB15_19:                              ;   in Loop: Header=BB15_7 Depth=1
	s_or_b64 exec, exec, s[18:19]
	s_and_saveexec_b64 s[18:19], s[40:41]
	s_cbranch_execz .LBB15_21
.LBB15_20:                              ;   in Loop: Header=BB15_7 Depth=1
	ds_read_b32 v22, v33 offset:96
	v_lshl_add_u64 v[20:21], v[20:21], 0, s[42:43]
	v_lshl_add_u64 v[18:19], v[14:15], 2, v[18:19]
	v_cndmask_b32_e64 v19, v19, v21, s[0:1]
	v_cndmask_b32_e64 v18, v18, v20, s[0:1]
	s_waitcnt lgkmcnt(0)
	global_store_dword v[18:19], v22, off
.LBB15_21:                              ;   in Loop: Header=BB15_7 Depth=1
	s_or_b64 exec, exec, s[18:19]
	s_mov_b64 s[18:19], 1
.LBB15_22:                              ;   in Loop: Header=BB15_7 Depth=1
	s_waitcnt lgkmcnt(0)
	s_barrier
	ds_write_b32 v32, v36
	s_waitcnt lgkmcnt(0)
	s_barrier
	s_and_saveexec_b64 s[44:45], s[2:3]
	s_cbranch_execz .LBB15_24
; %bb.23:                               ;   in Loop: Header=BB15_7 Depth=1
	ds_read2st64_b32 v[18:19], v32 offset1:2
	s_waitcnt lgkmcnt(0)
	v_min_i32_e32 v18, v19, v18
	ds_write_b32 v32, v18
.LBB15_24:                              ;   in Loop: Header=BB15_7 Depth=1
	s_or_b64 exec, exec, s[44:45]
	s_waitcnt lgkmcnt(0)
	s_barrier
	s_and_saveexec_b64 s[44:45], s[4:5]
	s_cbranch_execz .LBB15_26
; %bb.25:                               ;   in Loop: Header=BB15_7 Depth=1
	ds_read2st64_b32 v[18:19], v32 offset1:1
	s_waitcnt lgkmcnt(0)
	v_min_i32_e32 v18, v19, v18
	ds_write_b32 v32, v18
.LBB15_26:                              ;   in Loop: Header=BB15_7 Depth=1
	s_or_b64 exec, exec, s[44:45]
	s_waitcnt lgkmcnt(0)
	s_barrier
	s_and_saveexec_b64 s[44:45], s[6:7]
	s_cbranch_execz .LBB15_28
; %bb.27:                               ;   in Loop: Header=BB15_7 Depth=1
	ds_read2_b32 v[18:19], v32 offset1:32
	s_waitcnt lgkmcnt(0)
	v_min_i32_e32 v18, v19, v18
	ds_write_b32 v32, v18
.LBB15_28:                              ;   in Loop: Header=BB15_7 Depth=1
	s_or_b64 exec, exec, s[44:45]
	s_waitcnt lgkmcnt(0)
	s_barrier
	s_and_saveexec_b64 s[44:45], s[8:9]
	s_cbranch_execz .LBB15_30
; %bb.29:                               ;   in Loop: Header=BB15_7 Depth=1
	ds_read2_b32 v[18:19], v32 offset1:16
	s_waitcnt lgkmcnt(0)
	v_min_i32_e32 v18, v19, v18
	ds_write_b32 v32, v18
.LBB15_30:                              ;   in Loop: Header=BB15_7 Depth=1
	;; [unrolled: 11-line block ×5, first 2 shown]
	s_or_b64 exec, exec, s[44:45]
	s_waitcnt lgkmcnt(0)
	s_barrier
	s_and_saveexec_b64 s[44:45], s[16:17]
	s_cbranch_execz .LBB15_6
; %bb.37:                               ;   in Loop: Header=BB15_7 Depth=1
	ds_read_b64 v[18:19], v5
	s_waitcnt lgkmcnt(0)
	v_min_i32_e32 v18, v19, v18
	ds_write_b32 v5, v18
	s_branch .LBB15_6
.LBB15_38:                              ;   in Loop: Header=BB15_7 Depth=1
	ds_read_b32 v24, v33
	v_lshl_add_u64 v[22:23], v[0:1], 2, v[18:19]
	v_cndmask_b32_e64 v23, v23, v21, s[0:1]
	v_cndmask_b32_e64 v22, v22, v20, s[0:1]
	s_waitcnt lgkmcnt(0)
	global_store_dword v[22:23], v24, off
	s_or_b64 exec, exec, s[18:19]
	s_and_saveexec_b64 s[18:19], s[36:37]
	s_cbranch_execz .LBB15_18
.LBB15_39:                              ;   in Loop: Header=BB15_7 Depth=1
	ds_read_b32 v26, v33 offset:32
	v_lshl_add_u64 v[22:23], v[20:21], 0, 32
	v_lshl_add_u64 v[24:25], v[10:11], 2, v[18:19]
	v_cndmask_b32_e64 v23, v25, v23, s[0:1]
	v_cndmask_b32_e64 v22, v24, v22, s[0:1]
	s_waitcnt lgkmcnt(0)
	global_store_dword v[22:23], v26, off
	s_or_b64 exec, exec, s[18:19]
	s_and_saveexec_b64 s[18:19], s[38:39]
	s_cbranch_execz .LBB15_19
.LBB15_40:                              ;   in Loop: Header=BB15_7 Depth=1
	ds_read_b32 v26, v33 offset:64
	v_lshl_add_u64 v[22:23], v[20:21], 0, 64
	v_lshl_add_u64 v[24:25], v[12:13], 2, v[18:19]
	v_cndmask_b32_e64 v23, v25, v23, s[0:1]
	v_cndmask_b32_e64 v22, v24, v22, s[0:1]
	s_waitcnt lgkmcnt(0)
	global_store_dword v[22:23], v26, off
	s_or_b64 exec, exec, s[18:19]
	s_and_saveexec_b64 s[18:19], s[40:41]
	s_cbranch_execnz .LBB15_20
	s_branch .LBB15_21
.LBB15_41:
	s_endpgm
	.section	.rodata,"a",@progbits
	.p2align	6, 0x0
	.amdhsa_kernel _ZN9rocsparseL38csr2bsr_block_per_row_multipass_kernelILj256ELj32EiliEEv20rocsparse_direction_T3_S2_S2_S2_S2_21rocsparse_index_base_PKT1_PKT2_PKS2_S3_PS4_PS7_PS2_
		.amdhsa_group_segment_fixed_size 4100
		.amdhsa_private_segment_fixed_size 0
		.amdhsa_kernarg_size 88
		.amdhsa_user_sgpr_count 2
		.amdhsa_user_sgpr_dispatch_ptr 0
		.amdhsa_user_sgpr_queue_ptr 0
		.amdhsa_user_sgpr_kernarg_segment_ptr 1
		.amdhsa_user_sgpr_dispatch_id 0
		.amdhsa_user_sgpr_kernarg_preload_length 0
		.amdhsa_user_sgpr_kernarg_preload_offset 0
		.amdhsa_user_sgpr_private_segment_size 0
		.amdhsa_uses_dynamic_stack 0
		.amdhsa_enable_private_segment 0
		.amdhsa_system_sgpr_workgroup_id_x 1
		.amdhsa_system_sgpr_workgroup_id_y 0
		.amdhsa_system_sgpr_workgroup_id_z 0
		.amdhsa_system_sgpr_workgroup_info 0
		.amdhsa_system_vgpr_workitem_id 0
		.amdhsa_next_free_vgpr 39
		.amdhsa_next_free_sgpr 54
		.amdhsa_accum_offset 40
		.amdhsa_reserve_vcc 1
		.amdhsa_float_round_mode_32 0
		.amdhsa_float_round_mode_16_64 0
		.amdhsa_float_denorm_mode_32 3
		.amdhsa_float_denorm_mode_16_64 3
		.amdhsa_dx10_clamp 1
		.amdhsa_ieee_mode 1
		.amdhsa_fp16_overflow 0
		.amdhsa_tg_split 0
		.amdhsa_exception_fp_ieee_invalid_op 0
		.amdhsa_exception_fp_denorm_src 0
		.amdhsa_exception_fp_ieee_div_zero 0
		.amdhsa_exception_fp_ieee_overflow 0
		.amdhsa_exception_fp_ieee_underflow 0
		.amdhsa_exception_fp_ieee_inexact 0
		.amdhsa_exception_int_div_zero 0
	.end_amdhsa_kernel
	.section	.text._ZN9rocsparseL38csr2bsr_block_per_row_multipass_kernelILj256ELj32EiliEEv20rocsparse_direction_T3_S2_S2_S2_S2_21rocsparse_index_base_PKT1_PKT2_PKS2_S3_PS4_PS7_PS2_,"axG",@progbits,_ZN9rocsparseL38csr2bsr_block_per_row_multipass_kernelILj256ELj32EiliEEv20rocsparse_direction_T3_S2_S2_S2_S2_21rocsparse_index_base_PKT1_PKT2_PKS2_S3_PS4_PS7_PS2_,comdat
.Lfunc_end15:
	.size	_ZN9rocsparseL38csr2bsr_block_per_row_multipass_kernelILj256ELj32EiliEEv20rocsparse_direction_T3_S2_S2_S2_S2_21rocsparse_index_base_PKT1_PKT2_PKS2_S3_PS4_PS7_PS2_, .Lfunc_end15-_ZN9rocsparseL38csr2bsr_block_per_row_multipass_kernelILj256ELj32EiliEEv20rocsparse_direction_T3_S2_S2_S2_S2_21rocsparse_index_base_PKT1_PKT2_PKS2_S3_PS4_PS7_PS2_
                                        ; -- End function
	.section	.AMDGPU.csdata,"",@progbits
; Kernel info:
; codeLenInByte = 1936
; NumSgprs: 60
; NumVgprs: 39
; NumAgprs: 0
; TotalNumVgprs: 39
; ScratchSize: 0
; MemoryBound: 0
; FloatMode: 240
; IeeeMode: 1
; LDSByteSize: 4100 bytes/workgroup (compile time only)
; SGPRBlocks: 7
; VGPRBlocks: 4
; NumSGPRsForWavesPerEU: 60
; NumVGPRsForWavesPerEU: 39
; AccumOffset: 40
; Occupancy: 8
; WaveLimiterHint : 0
; COMPUTE_PGM_RSRC2:SCRATCH_EN: 0
; COMPUTE_PGM_RSRC2:USER_SGPR: 2
; COMPUTE_PGM_RSRC2:TRAP_HANDLER: 0
; COMPUTE_PGM_RSRC2:TGID_X_EN: 1
; COMPUTE_PGM_RSRC2:TGID_Y_EN: 0
; COMPUTE_PGM_RSRC2:TGID_Z_EN: 0
; COMPUTE_PGM_RSRC2:TIDIG_COMP_CNT: 0
; COMPUTE_PGM_RSRC3_GFX90A:ACCUM_OFFSET: 9
; COMPUTE_PGM_RSRC3_GFX90A:TG_SPLIT: 0
	.section	.text._ZN9rocsparseL38csr2bsr_block_per_row_multipass_kernelILj256ELj64EiliEEv20rocsparse_direction_T3_S2_S2_S2_S2_21rocsparse_index_base_PKT1_PKT2_PKS2_S3_PS4_PS7_PS2_,"axG",@progbits,_ZN9rocsparseL38csr2bsr_block_per_row_multipass_kernelILj256ELj64EiliEEv20rocsparse_direction_T3_S2_S2_S2_S2_21rocsparse_index_base_PKT1_PKT2_PKS2_S3_PS4_PS7_PS2_,comdat
	.globl	_ZN9rocsparseL38csr2bsr_block_per_row_multipass_kernelILj256ELj64EiliEEv20rocsparse_direction_T3_S2_S2_S2_S2_21rocsparse_index_base_PKT1_PKT2_PKS2_S3_PS4_PS7_PS2_ ; -- Begin function _ZN9rocsparseL38csr2bsr_block_per_row_multipass_kernelILj256ELj64EiliEEv20rocsparse_direction_T3_S2_S2_S2_S2_21rocsparse_index_base_PKT1_PKT2_PKS2_S3_PS4_PS7_PS2_
	.p2align	8
	.type	_ZN9rocsparseL38csr2bsr_block_per_row_multipass_kernelILj256ELj64EiliEEv20rocsparse_direction_T3_S2_S2_S2_S2_21rocsparse_index_base_PKT1_PKT2_PKS2_S3_PS4_PS7_PS2_,@function
_ZN9rocsparseL38csr2bsr_block_per_row_multipass_kernelILj256ELj64EiliEEv20rocsparse_direction_T3_S2_S2_S2_S2_21rocsparse_index_base_PKT1_PKT2_PKS2_S3_PS4_PS7_PS2_: ; @_ZN9rocsparseL38csr2bsr_block_per_row_multipass_kernelILj256ELj64EiliEEv20rocsparse_direction_T3_S2_S2_S2_S2_21rocsparse_index_base_PKT1_PKT2_PKS2_S3_PS4_PS7_PS2_
; %bb.0:
	s_load_dwordx4 s[20:23], s[0:1], 0x10
	s_load_dwordx2 s[6:7], s[0:1], 0x0
	s_load_dwordx2 s[8:9], s[0:1], 0x28
	v_lshrrev_b32_e32 v1, 2, v0
	v_mov_b64_e32 v[2:3], 0
	s_waitcnt lgkmcnt(0)
	s_mul_i32 s3, s2, s21
	v_add_u32_e32 v4, s3, v1
	v_cmp_gt_i32_e64 s[4:5], s7, v4
	v_cmp_gt_i32_e32 vcc, s21, v1
	s_and_b64 s[10:11], vcc, s[4:5]
	v_mov_b64_e32 v[28:29], v[2:3]
	s_and_saveexec_b64 s[12:13], s[10:11]
	s_cbranch_execnz .LBB16_3
; %bb.1:
	s_or_b64 exec, exec, s[12:13]
	s_and_saveexec_b64 s[12:13], s[10:11]
	s_cbranch_execnz .LBB16_4
.LBB16_2:
	s_or_b64 exec, exec, s[12:13]
	s_cmp_lt_i32 s20, 1
	s_cbranch_scc0 .LBB16_5
	s_branch .LBB16_65
.LBB16_3:
	v_ashrrev_i32_e32 v5, 31, v4
	v_lshl_add_u64 v[6:7], v[4:5], 3, s[8:9]
	global_load_dwordx2 v[6:7], v[6:7], off
	s_waitcnt vmcnt(0)
	v_subrev_co_u32_e64 v28, s[4:5], s22, v6
	s_nop 1
	v_subbrev_co_u32_e64 v29, s[4:5], 0, v7, s[4:5]
	s_or_b64 exec, exec, s[12:13]
	s_and_saveexec_b64 s[12:13], s[10:11]
	s_cbranch_execz .LBB16_2
.LBB16_4:
	v_ashrrev_i32_e32 v5, 31, v4
	v_lshl_add_u64 v[2:3], v[4:5], 3, s[8:9]
	global_load_dwordx2 v[2:3], v[2:3], off offset:8
	s_waitcnt vmcnt(0)
	v_subrev_co_u32_e64 v2, s[4:5], s22, v2
	s_nop 1
	v_subbrev_co_u32_e64 v3, s[4:5], 0, v3, s[4:5]
	s_or_b64 exec, exec, s[12:13]
	s_cmp_lt_i32 s20, 1
	s_cbranch_scc1 .LBB16_65
.LBB16_5:
	s_load_dwordx4 s[8:11], s[0:1], 0x40
	s_load_dwordx2 s[24:25], s[0:1], 0x50
	s_load_dword s23, s[0:1], 0x38
	s_ashr_i32 s3, s2, 31
	s_lshl_b64 s[2:3], s[2:3], 3
	s_waitcnt lgkmcnt(0)
	s_add_u32 s2, s10, s2
	s_addc_u32 s3, s11, s3
	s_load_dwordx2 s[4:5], s[2:3], 0x0
	s_load_dwordx2 s[26:27], s[0:1], 0x20
	;; [unrolled: 1-line block ×3, first 2 shown]
	v_mov_b32_e32 v5, 0
	v_and_b32_e32 v4, 3, v0
	s_waitcnt lgkmcnt(0)
	s_sub_u32 s30, s4, s23
	v_mul_lo_u32 v8, v1, s21
	v_mov_b32_e32 v9, v5
	s_subb_u32 s31, s5, 0
	v_lshl_add_u64 v[8:9], v[8:9], 2, s[8:9]
	v_lshlrev_b32_e32 v10, 2, v4
	v_mov_b32_e32 v11, v5
	s_cmp_eq_u32 s6, 0
	v_lshl_add_u64 v[8:9], v[8:9], 0, v[10:11]
	v_cmp_gt_u32_e64 s[18:19], s21, v4
	v_or_b32_e32 v10, 4, v4
	s_cselect_b64 s[0:1], -1, 0
	s_and_b64 s[34:35], vcc, s[18:19]
	v_cmp_gt_u32_e64 s[18:19], s21, v10
	v_or_b32_e32 v12, 8, v4
	s_and_b64 s[36:37], vcc, s[18:19]
	v_cmp_gt_u32_e64 s[18:19], s21, v12
	v_or_b32_e32 v14, 12, v4
	v_mbcnt_lo_u32_b32 v6, -1, 0
	s_and_b64 s[38:39], vcc, s[18:19]
	v_cmp_gt_u32_e64 s[18:19], s21, v14
	v_or_b32_e32 v16, 16, v4
	v_mbcnt_hi_u32_b32 v6, -1, v6
	s_and_b64 s[40:41], vcc, s[18:19]
	v_cmp_gt_u32_e64 s[18:19], s21, v16
	v_or_b32_e32 v18, 20, v4
	v_lshlrev_b32_e32 v54, 6, v1
	v_lshl_or_b32 v55, v6, 2, 12
	v_lshlrev_b32_e32 v6, 2, v1
	v_mov_b32_e32 v7, v5
	s_movk_i32 s2, 0x80
	s_and_b64 s[42:43], vcc, s[18:19]
	v_cmp_gt_u32_e64 s[18:19], s21, v18
	v_or_b32_e32 v20, 24, v4
	v_lshl_add_u64 v[6:7], s[8:9], 0, v[6:7]
	v_lshlrev_b32_e32 v56, 2, v0
	v_cmp_gt_u32_e64 s[2:3], s2, v0
	v_cmp_gt_u32_e64 s[4:5], 64, v0
	;; [unrolled: 1-line block ×7, first 2 shown]
	v_cmp_eq_u32_e64 s[16:17], 0, v0
	v_or_b32_e32 v0, v54, v4
	s_and_b64 s[44:45], vcc, s[18:19]
	v_cmp_gt_u32_e64 s[18:19], s21, v20
	v_or_b32_e32 v22, 28, v4
	s_abs_i32 s93, s21
	v_lshlrev_b32_e32 v57, 2, v0
	v_mul_lo_u32 v0, v4, s21
	s_lshl_b32 s66, s21, 2
	s_and_b64 s[46:47], vcc, s[18:19]
	v_cmp_gt_u32_e64 s[18:19], s21, v22
	v_or_b32_e32 v24, 32, v4
	v_cvt_f32_u32_e32 v40, s93
	v_add_u32_e32 v10, s66, v0
	s_and_b64 s[48:49], vcc, s[18:19]
	v_cmp_gt_u32_e64 s[18:19], s21, v24
	v_or_b32_e32 v26, 36, v4
	v_add_u32_e32 v12, s66, v10
	s_and_b64 s[50:51], vcc, s[18:19]
	v_cmp_gt_u32_e64 s[18:19], s21, v26
	v_or_b32_e32 v30, 40, v4
	;; [unrolled: 4-line block ×4, first 2 shown]
	v_rcp_iflag_f32_e32 v42, v40
	v_add_u32_e32 v18, s66, v16
	s_and_b64 s[56:57], vcc, s[18:19]
	v_cmp_gt_u32_e64 s[18:19], s21, v34
	v_or_b32_e32 v36, 52, v4
	v_add_u32_e32 v20, s66, v18
	s_and_b64 s[58:59], vcc, s[18:19]
	v_cmp_gt_u32_e64 s[18:19], s21, v36
	v_or_b32_e32 v38, 56, v4
	;; [unrolled: 4-line block ×3, first 2 shown]
	v_add_u32_e32 v24, s66, v22
	s_and_b64 s[62:63], vcc, s[18:19]
	v_cmp_gt_u32_e64 s[18:19], s21, v41
	v_mul_f32_e32 v41, 0x4f7ffffe, v42
	v_add_u32_e32 v26, s66, v24
	v_cvt_u32_f32_e32 v42, v41
	v_add_u32_e32 v30, s66, v26
	v_add_u32_e32 v32, s66, v30
	v_add_u32_e32 v34, s66, v32
	s_and_b64 s[64:65], vcc, s[18:19]
	s_sub_i32 s18, 0, s93
	v_add_u32_e32 v36, s66, v34
	v_mul_lo_u32 v43, s18, v42
	v_add_u32_e32 v38, s66, v36
	v_mul_hi_u32 v43, v42, v43
	s_mul_hi_u32 s33, s21, s21
	s_mul_i32 s92, s21, s21
	v_mov_b32_e32 v1, v5
	v_mov_b32_e32 v13, v5
	;; [unrolled: 1-line block ×14, first 2 shown]
	v_add_u32_e32 v40, s66, v38
	v_mov_b32_e32 v41, v5
	s_ashr_i32 s94, s21, 31
	v_add_u32_e32 v58, v42, v43
	v_mov_b64_e32 v[42:43], 0
	s_mov_b64 s[66:67], 0x50
	s_mov_b64 s[68:69], 0x60
	;; [unrolled: 1-line block ×11, first 2 shown]
	v_mov_b32_e32 v59, 1
	s_branch .LBB16_7
.LBB16_6:                               ;   in Loop: Header=BB16_7 Depth=1
	s_or_b64 exec, exec, s[88:89]
	s_waitcnt lgkmcnt(0)
	s_barrier
	ds_read_b32 v42, v5
	s_add_u32 s30, s18, s30
	s_addc_u32 s31, s19, s31
	s_waitcnt lgkmcnt(0)
	s_barrier
	v_cmp_gt_i32_e32 vcc, s20, v42
	v_ashrrev_i32_e32 v43, 31, v42
	s_cbranch_vccz .LBB16_65
.LBB16_7:                               ; =>This Loop Header: Depth=1
                                        ;     Child Loop BB16_10 Depth 2
	v_lshl_add_u64 v[28:29], v[28:29], 0, v[4:5]
	v_cmp_lt_i64_e32 vcc, v[28:29], v[2:3]
	v_mov_b32_e32 v60, s20
	v_mov_b64_e32 v[48:49], v[2:3]
	ds_write_b8 v5, v5 offset:16384
	ds_write2_b32 v57, v5, v5 offset1:4
	ds_write2_b32 v57, v5, v5 offset0:8 offset1:12
	ds_write2_b32 v57, v5, v5 offset0:16 offset1:20
	;; [unrolled: 1-line block ×7, first 2 shown]
	s_waitcnt lgkmcnt(0)
	s_barrier
	s_and_saveexec_b64 s[88:89], vcc
	s_cbranch_execz .LBB16_15
; %bb.8:                                ;   in Loop: Header=BB16_7 Depth=1
	v_lshlrev_b64 v[46:47], 2, v[28:29]
	v_lshl_add_u64 v[44:45], s[26:27], 0, v[46:47]
	v_lshl_add_u64 v[46:47], s[28:29], 0, v[46:47]
	s_mov_b64 s[90:91], 0
	v_mov_b32_e32 v60, s20
	v_mov_b64_e32 v[48:49], v[2:3]
	s_branch .LBB16_10
.LBB16_9:                               ;   in Loop: Header=BB16_10 Depth=2
	s_or_b64 exec, exec, s[18:19]
	v_lshl_add_u64 v[28:29], v[28:29], 0, 4
	v_cmp_ge_i64_e64 s[18:19], v[28:29], v[2:3]
	s_xor_b64 s[96:97], vcc, -1
	s_or_b64 s[18:19], s[96:97], s[18:19]
	s_and_b64 s[18:19], exec, s[18:19]
	v_lshl_add_u64 v[44:45], v[44:45], 0, 16
	s_or_b64 s[90:91], s[18:19], s[90:91]
	v_lshl_add_u64 v[46:47], v[46:47], 0, 16
	s_andn2_b64 exec, exec, s[90:91]
	s_cbranch_execz .LBB16_14
.LBB16_10:                              ;   Parent Loop BB16_7 Depth=1
                                        ; =>  This Inner Loop Header: Depth=2
	global_load_dword v50, v[46:47], off
	s_waitcnt vmcnt(0)
	v_subrev_u32_e32 v61, s22, v50
	v_sub_u32_e32 v51, 0, v61
	v_max_i32_e32 v51, v61, v51
	v_mul_hi_u32 v52, v51, v58
	v_mul_lo_u32 v53, v52, s93
	v_sub_u32_e32 v51, v51, v53
	v_add_u32_e32 v62, 1, v52
	v_cmp_le_u32_e32 vcc, s93, v51
	v_subrev_u32_e32 v53, s93, v51
	v_ashrrev_i32_e32 v50, 31, v61
	v_cndmask_b32_e32 v52, v52, v62, vcc
	v_cndmask_b32_e32 v51, v51, v53, vcc
	v_add_u32_e32 v53, 1, v52
	v_cmp_le_u32_e32 vcc, s93, v51
	v_xor_b32_e32 v50, s94, v50
	s_nop 0
	v_cndmask_b32_e32 v51, v52, v53, vcc
	v_xor_b32_e32 v51, v51, v50
	v_sub_u32_e32 v50, v51, v50
	v_ashrrev_i32_e32 v51, 31, v50
	v_cmp_eq_u64_e32 vcc, v[42:43], v[50:51]
	v_cmp_ne_u64_e64 s[18:19], v[42:43], v[50:51]
	v_mov_b64_e32 v[52:53], v[48:49]
	s_and_saveexec_b64 s[96:97], s[18:19]
	s_xor_b64 s[18:19], exec, s[96:97]
; %bb.11:                               ;   in Loop: Header=BB16_10 Depth=2
	v_min_i32_e32 v60, v50, v60
                                        ; implicit-def: $vgpr50
                                        ; implicit-def: $vgpr61
                                        ; implicit-def: $vgpr52_vgpr53
; %bb.12:                               ;   in Loop: Header=BB16_10 Depth=2
	s_or_saveexec_b64 s[18:19], s[18:19]
	v_mov_b64_e32 v[48:49], v[28:29]
	s_xor_b64 exec, exec, s[18:19]
	s_cbranch_execz .LBB16_9
; %bb.13:                               ;   in Loop: Header=BB16_10 Depth=2
	global_load_dword v48, v[44:45], off
	v_mul_lo_u32 v49, v50, s21
	v_sub_u32_e32 v49, v61, v49
	v_add_lshl_u32 v49, v49, v54, 2
	ds_write_b8 v5, v59 offset:16384
	s_waitcnt vmcnt(0)
	ds_write_b32 v49, v48
	v_mov_b64_e32 v[48:49], v[52:53]
	s_branch .LBB16_9
.LBB16_14:                              ;   in Loop: Header=BB16_7 Depth=1
	s_or_b64 exec, exec, s[90:91]
.LBB16_15:                              ;   in Loop: Header=BB16_7 Depth=1
	s_or_b64 exec, exec, s[88:89]
	v_mov_b32_dpp v28, v48 row_shr:1 row_mask:0xf bank_mask:0xf
	v_mov_b32_dpp v29, v49 row_shr:1 row_mask:0xf bank_mask:0xf
	v_cmp_lt_i64_e32 vcc, v[28:29], v[48:49]
	s_waitcnt lgkmcnt(0)
	s_barrier
	v_cndmask_b32_e32 v29, v49, v29, vcc
	v_cndmask_b32_e32 v28, v48, v28, vcc
	s_nop 0
	v_mov_b32_dpp v45, v29 row_shr:2 row_mask:0xf bank_mask:0xf
	v_mov_b32_dpp v44, v28 row_shr:2 row_mask:0xf bank_mask:0xf
	v_cmp_lt_i64_e32 vcc, v[44:45], v[28:29]
	ds_read_u8 v43, v5 offset:16384
	s_mov_b64 s[18:19], 0
	v_cndmask_b32_e32 v29, v29, v45, vcc
	v_cndmask_b32_e32 v28, v28, v44, vcc
	ds_bpermute_b32 v28, v55, v28
	ds_bpermute_b32 v29, v55, v29
	s_waitcnt lgkmcnt(2)
	v_cmp_eq_u32_e32 vcc, 0, v43
	s_cbranch_vccnz .LBB16_34
; %bb.16:                               ;   in Loop: Header=BB16_7 Depth=1
	s_lshl_b64 s[18:19], s[30:31], 2
	s_add_u32 s18, s24, s18
	v_add_u32_e32 v42, s23, v42
	s_addc_u32 s19, s25, s19
	global_store_dword v5, v42, s[18:19]
	s_mul_i32 s18, s92, s31
	s_mul_hi_u32 s19, s92, s30
	s_add_i32 s18, s19, s18
	s_mul_i32 s19, s33, s30
	s_add_i32 s19, s18, s19
	s_mul_i32 s18, s92, s30
	s_lshl_b64 s[18:19], s[18:19], 2
	v_lshl_add_u64 v[42:43], v[6:7], 0, s[18:19]
	v_lshl_add_u64 v[44:45], v[8:9], 0, s[18:19]
	s_and_saveexec_b64 s[18:19], s[34:35]
	s_cbranch_execnz .LBB16_50
; %bb.17:                               ;   in Loop: Header=BB16_7 Depth=1
	s_or_b64 exec, exec, s[18:19]
	s_and_saveexec_b64 s[18:19], s[36:37]
	s_cbranch_execnz .LBB16_51
.LBB16_18:                              ;   in Loop: Header=BB16_7 Depth=1
	s_or_b64 exec, exec, s[18:19]
	s_and_saveexec_b64 s[18:19], s[38:39]
	s_cbranch_execnz .LBB16_52
.LBB16_19:                              ;   in Loop: Header=BB16_7 Depth=1
	s_or_b64 exec, exec, s[18:19]
	s_and_saveexec_b64 s[18:19], s[40:41]
	s_cbranch_execnz .LBB16_53
.LBB16_20:                              ;   in Loop: Header=BB16_7 Depth=1
	s_or_b64 exec, exec, s[18:19]
	s_and_saveexec_b64 s[18:19], s[42:43]
	s_cbranch_execnz .LBB16_54
.LBB16_21:                              ;   in Loop: Header=BB16_7 Depth=1
	s_or_b64 exec, exec, s[18:19]
	s_and_saveexec_b64 s[18:19], s[44:45]
	s_cbranch_execnz .LBB16_55
.LBB16_22:                              ;   in Loop: Header=BB16_7 Depth=1
	s_or_b64 exec, exec, s[18:19]
	s_and_saveexec_b64 s[18:19], s[46:47]
	s_cbranch_execnz .LBB16_56
.LBB16_23:                              ;   in Loop: Header=BB16_7 Depth=1
	s_or_b64 exec, exec, s[18:19]
	s_and_saveexec_b64 s[18:19], s[48:49]
	s_cbranch_execnz .LBB16_57
.LBB16_24:                              ;   in Loop: Header=BB16_7 Depth=1
	s_or_b64 exec, exec, s[18:19]
	s_and_saveexec_b64 s[18:19], s[50:51]
	s_cbranch_execnz .LBB16_58
.LBB16_25:                              ;   in Loop: Header=BB16_7 Depth=1
	s_or_b64 exec, exec, s[18:19]
	s_and_saveexec_b64 s[18:19], s[52:53]
	s_cbranch_execnz .LBB16_59
.LBB16_26:                              ;   in Loop: Header=BB16_7 Depth=1
	s_or_b64 exec, exec, s[18:19]
	s_and_saveexec_b64 s[18:19], s[54:55]
	s_cbranch_execnz .LBB16_60
.LBB16_27:                              ;   in Loop: Header=BB16_7 Depth=1
	s_or_b64 exec, exec, s[18:19]
	s_and_saveexec_b64 s[18:19], s[56:57]
	s_cbranch_execnz .LBB16_61
.LBB16_28:                              ;   in Loop: Header=BB16_7 Depth=1
	s_or_b64 exec, exec, s[18:19]
	s_and_saveexec_b64 s[18:19], s[58:59]
	s_cbranch_execnz .LBB16_62
.LBB16_29:                              ;   in Loop: Header=BB16_7 Depth=1
	s_or_b64 exec, exec, s[18:19]
	s_and_saveexec_b64 s[18:19], s[60:61]
	s_cbranch_execnz .LBB16_63
.LBB16_30:                              ;   in Loop: Header=BB16_7 Depth=1
	s_or_b64 exec, exec, s[18:19]
	s_and_saveexec_b64 s[18:19], s[62:63]
	s_cbranch_execnz .LBB16_64
.LBB16_31:                              ;   in Loop: Header=BB16_7 Depth=1
	s_or_b64 exec, exec, s[18:19]
	s_and_saveexec_b64 s[18:19], s[64:65]
	s_cbranch_execz .LBB16_33
.LBB16_32:                              ;   in Loop: Header=BB16_7 Depth=1
	ds_read_b32 v46, v57 offset:240
	v_lshl_add_u64 v[44:45], v[44:45], 0, s[86:87]
	v_lshl_add_u64 v[42:43], v[40:41], 2, v[42:43]
	v_cndmask_b32_e64 v43, v43, v45, s[0:1]
	v_cndmask_b32_e64 v42, v42, v44, s[0:1]
	s_waitcnt lgkmcnt(0)
	global_store_dword v[42:43], v46, off
.LBB16_33:                              ;   in Loop: Header=BB16_7 Depth=1
	s_or_b64 exec, exec, s[18:19]
	s_mov_b64 s[18:19], 1
.LBB16_34:                              ;   in Loop: Header=BB16_7 Depth=1
	s_waitcnt lgkmcnt(0)
	s_barrier
	ds_write_b32 v56, v60
	s_waitcnt lgkmcnt(0)
	s_barrier
	s_and_saveexec_b64 s[88:89], s[2:3]
	s_cbranch_execz .LBB16_36
; %bb.35:                               ;   in Loop: Header=BB16_7 Depth=1
	ds_read2st64_b32 v[42:43], v56 offset1:2
	s_waitcnt lgkmcnt(0)
	v_min_i32_e32 v42, v43, v42
	ds_write_b32 v56, v42
.LBB16_36:                              ;   in Loop: Header=BB16_7 Depth=1
	s_or_b64 exec, exec, s[88:89]
	s_waitcnt lgkmcnt(0)
	s_barrier
	s_and_saveexec_b64 s[88:89], s[4:5]
	s_cbranch_execz .LBB16_38
; %bb.37:                               ;   in Loop: Header=BB16_7 Depth=1
	ds_read2st64_b32 v[42:43], v56 offset1:1
	s_waitcnt lgkmcnt(0)
	v_min_i32_e32 v42, v43, v42
	ds_write_b32 v56, v42
.LBB16_38:                              ;   in Loop: Header=BB16_7 Depth=1
	s_or_b64 exec, exec, s[88:89]
	s_waitcnt lgkmcnt(0)
	s_barrier
	s_and_saveexec_b64 s[88:89], s[6:7]
	s_cbranch_execz .LBB16_40
; %bb.39:                               ;   in Loop: Header=BB16_7 Depth=1
	ds_read2_b32 v[42:43], v56 offset1:32
	s_waitcnt lgkmcnt(0)
	v_min_i32_e32 v42, v43, v42
	ds_write_b32 v56, v42
.LBB16_40:                              ;   in Loop: Header=BB16_7 Depth=1
	s_or_b64 exec, exec, s[88:89]
	s_waitcnt lgkmcnt(0)
	s_barrier
	s_and_saveexec_b64 s[88:89], s[8:9]
	s_cbranch_execz .LBB16_42
; %bb.41:                               ;   in Loop: Header=BB16_7 Depth=1
	ds_read2_b32 v[42:43], v56 offset1:16
	s_waitcnt lgkmcnt(0)
	v_min_i32_e32 v42, v43, v42
	ds_write_b32 v56, v42
.LBB16_42:                              ;   in Loop: Header=BB16_7 Depth=1
	;; [unrolled: 11-line block ×5, first 2 shown]
	s_or_b64 exec, exec, s[88:89]
	s_waitcnt lgkmcnt(0)
	s_barrier
	s_and_saveexec_b64 s[88:89], s[16:17]
	s_cbranch_execz .LBB16_6
; %bb.49:                               ;   in Loop: Header=BB16_7 Depth=1
	ds_read_b64 v[42:43], v5
	s_waitcnt lgkmcnt(0)
	v_min_i32_e32 v42, v43, v42
	ds_write_b32 v5, v42
	s_branch .LBB16_6
.LBB16_50:                              ;   in Loop: Header=BB16_7 Depth=1
	ds_read_b32 v48, v57
	v_lshl_add_u64 v[46:47], v[0:1], 2, v[42:43]
	v_cndmask_b32_e64 v47, v47, v45, s[0:1]
	v_cndmask_b32_e64 v46, v46, v44, s[0:1]
	s_waitcnt lgkmcnt(0)
	global_store_dword v[46:47], v48, off
	s_or_b64 exec, exec, s[18:19]
	s_and_saveexec_b64 s[18:19], s[36:37]
	s_cbranch_execz .LBB16_18
.LBB16_51:                              ;   in Loop: Header=BB16_7 Depth=1
	ds_read_b32 v50, v57 offset:16
	v_lshl_add_u64 v[46:47], v[44:45], 0, 16
	v_lshl_add_u64 v[48:49], v[10:11], 2, v[42:43]
	v_cndmask_b32_e64 v47, v49, v47, s[0:1]
	v_cndmask_b32_e64 v46, v48, v46, s[0:1]
	s_waitcnt lgkmcnt(0)
	global_store_dword v[46:47], v50, off
	s_or_b64 exec, exec, s[18:19]
	s_and_saveexec_b64 s[18:19], s[38:39]
	s_cbranch_execz .LBB16_19
.LBB16_52:                              ;   in Loop: Header=BB16_7 Depth=1
	ds_read_b32 v50, v57 offset:32
	v_lshl_add_u64 v[46:47], v[44:45], 0, 32
	v_lshl_add_u64 v[48:49], v[12:13], 2, v[42:43]
	v_cndmask_b32_e64 v47, v49, v47, s[0:1]
	v_cndmask_b32_e64 v46, v48, v46, s[0:1]
	s_waitcnt lgkmcnt(0)
	global_store_dword v[46:47], v50, off
	s_or_b64 exec, exec, s[18:19]
	s_and_saveexec_b64 s[18:19], s[40:41]
	s_cbranch_execz .LBB16_20
.LBB16_53:                              ;   in Loop: Header=BB16_7 Depth=1
	ds_read_b32 v50, v57 offset:48
	v_lshl_add_u64 v[46:47], v[44:45], 0, 48
	v_lshl_add_u64 v[48:49], v[14:15], 2, v[42:43]
	v_cndmask_b32_e64 v47, v49, v47, s[0:1]
	v_cndmask_b32_e64 v46, v48, v46, s[0:1]
	s_waitcnt lgkmcnt(0)
	global_store_dword v[46:47], v50, off
	s_or_b64 exec, exec, s[18:19]
	s_and_saveexec_b64 s[18:19], s[42:43]
	s_cbranch_execz .LBB16_21
.LBB16_54:                              ;   in Loop: Header=BB16_7 Depth=1
	ds_read_b32 v50, v57 offset:64
	v_lshl_add_u64 v[46:47], v[44:45], 0, 64
	v_lshl_add_u64 v[48:49], v[16:17], 2, v[42:43]
	v_cndmask_b32_e64 v47, v49, v47, s[0:1]
	v_cndmask_b32_e64 v46, v48, v46, s[0:1]
	s_waitcnt lgkmcnt(0)
	global_store_dword v[46:47], v50, off
	s_or_b64 exec, exec, s[18:19]
	s_and_saveexec_b64 s[18:19], s[44:45]
	s_cbranch_execz .LBB16_22
.LBB16_55:                              ;   in Loop: Header=BB16_7 Depth=1
	ds_read_b32 v50, v57 offset:80
	v_lshl_add_u64 v[46:47], v[44:45], 0, s[66:67]
	v_lshl_add_u64 v[48:49], v[18:19], 2, v[42:43]
	v_cndmask_b32_e64 v47, v49, v47, s[0:1]
	v_cndmask_b32_e64 v46, v48, v46, s[0:1]
	s_waitcnt lgkmcnt(0)
	global_store_dword v[46:47], v50, off
	s_or_b64 exec, exec, s[18:19]
	s_and_saveexec_b64 s[18:19], s[46:47]
	s_cbranch_execz .LBB16_23
.LBB16_56:                              ;   in Loop: Header=BB16_7 Depth=1
	ds_read_b32 v50, v57 offset:96
	v_lshl_add_u64 v[46:47], v[44:45], 0, s[68:69]
	v_lshl_add_u64 v[48:49], v[20:21], 2, v[42:43]
	v_cndmask_b32_e64 v47, v49, v47, s[0:1]
	v_cndmask_b32_e64 v46, v48, v46, s[0:1]
	s_waitcnt lgkmcnt(0)
	global_store_dword v[46:47], v50, off
	s_or_b64 exec, exec, s[18:19]
	s_and_saveexec_b64 s[18:19], s[48:49]
	s_cbranch_execz .LBB16_24
.LBB16_57:                              ;   in Loop: Header=BB16_7 Depth=1
	ds_read_b32 v50, v57 offset:112
	v_lshl_add_u64 v[46:47], v[44:45], 0, s[70:71]
	v_lshl_add_u64 v[48:49], v[22:23], 2, v[42:43]
	v_cndmask_b32_e64 v47, v49, v47, s[0:1]
	v_cndmask_b32_e64 v46, v48, v46, s[0:1]
	s_waitcnt lgkmcnt(0)
	global_store_dword v[46:47], v50, off
	s_or_b64 exec, exec, s[18:19]
	s_and_saveexec_b64 s[18:19], s[50:51]
	s_cbranch_execz .LBB16_25
.LBB16_58:                              ;   in Loop: Header=BB16_7 Depth=1
	ds_read_b32 v50, v57 offset:128
	v_lshl_add_u64 v[46:47], v[44:45], 0, s[72:73]
	v_lshl_add_u64 v[48:49], v[24:25], 2, v[42:43]
	v_cndmask_b32_e64 v47, v49, v47, s[0:1]
	v_cndmask_b32_e64 v46, v48, v46, s[0:1]
	s_waitcnt lgkmcnt(0)
	global_store_dword v[46:47], v50, off
	s_or_b64 exec, exec, s[18:19]
	s_and_saveexec_b64 s[18:19], s[52:53]
	s_cbranch_execz .LBB16_26
.LBB16_59:                              ;   in Loop: Header=BB16_7 Depth=1
	ds_read_b32 v50, v57 offset:144
	v_lshl_add_u64 v[46:47], v[44:45], 0, s[74:75]
	v_lshl_add_u64 v[48:49], v[26:27], 2, v[42:43]
	v_cndmask_b32_e64 v47, v49, v47, s[0:1]
	v_cndmask_b32_e64 v46, v48, v46, s[0:1]
	s_waitcnt lgkmcnt(0)
	global_store_dword v[46:47], v50, off
	s_or_b64 exec, exec, s[18:19]
	s_and_saveexec_b64 s[18:19], s[54:55]
	s_cbranch_execz .LBB16_27
.LBB16_60:                              ;   in Loop: Header=BB16_7 Depth=1
	ds_read_b32 v50, v57 offset:160
	v_lshl_add_u64 v[46:47], v[44:45], 0, s[76:77]
	v_lshl_add_u64 v[48:49], v[30:31], 2, v[42:43]
	v_cndmask_b32_e64 v47, v49, v47, s[0:1]
	v_cndmask_b32_e64 v46, v48, v46, s[0:1]
	s_waitcnt lgkmcnt(0)
	global_store_dword v[46:47], v50, off
	s_or_b64 exec, exec, s[18:19]
	s_and_saveexec_b64 s[18:19], s[56:57]
	s_cbranch_execz .LBB16_28
.LBB16_61:                              ;   in Loop: Header=BB16_7 Depth=1
	ds_read_b32 v50, v57 offset:176
	v_lshl_add_u64 v[46:47], v[44:45], 0, s[78:79]
	v_lshl_add_u64 v[48:49], v[32:33], 2, v[42:43]
	v_cndmask_b32_e64 v47, v49, v47, s[0:1]
	v_cndmask_b32_e64 v46, v48, v46, s[0:1]
	s_waitcnt lgkmcnt(0)
	global_store_dword v[46:47], v50, off
	s_or_b64 exec, exec, s[18:19]
	s_and_saveexec_b64 s[18:19], s[58:59]
	s_cbranch_execz .LBB16_29
.LBB16_62:                              ;   in Loop: Header=BB16_7 Depth=1
	ds_read_b32 v50, v57 offset:192
	v_lshl_add_u64 v[46:47], v[44:45], 0, s[80:81]
	v_lshl_add_u64 v[48:49], v[34:35], 2, v[42:43]
	v_cndmask_b32_e64 v47, v49, v47, s[0:1]
	v_cndmask_b32_e64 v46, v48, v46, s[0:1]
	s_waitcnt lgkmcnt(0)
	global_store_dword v[46:47], v50, off
	s_or_b64 exec, exec, s[18:19]
	s_and_saveexec_b64 s[18:19], s[60:61]
	s_cbranch_execz .LBB16_30
.LBB16_63:                              ;   in Loop: Header=BB16_7 Depth=1
	ds_read_b32 v50, v57 offset:208
	v_lshl_add_u64 v[46:47], v[44:45], 0, s[82:83]
	v_lshl_add_u64 v[48:49], v[36:37], 2, v[42:43]
	v_cndmask_b32_e64 v47, v49, v47, s[0:1]
	v_cndmask_b32_e64 v46, v48, v46, s[0:1]
	s_waitcnt lgkmcnt(0)
	global_store_dword v[46:47], v50, off
	s_or_b64 exec, exec, s[18:19]
	s_and_saveexec_b64 s[18:19], s[62:63]
	s_cbranch_execz .LBB16_31
.LBB16_64:                              ;   in Loop: Header=BB16_7 Depth=1
	ds_read_b32 v50, v57 offset:224
	v_lshl_add_u64 v[46:47], v[44:45], 0, s[84:85]
	v_lshl_add_u64 v[48:49], v[38:39], 2, v[42:43]
	v_cndmask_b32_e64 v47, v49, v47, s[0:1]
	v_cndmask_b32_e64 v46, v48, v46, s[0:1]
	s_waitcnt lgkmcnt(0)
	global_store_dword v[46:47], v50, off
	s_or_b64 exec, exec, s[18:19]
	s_and_saveexec_b64 s[18:19], s[64:65]
	s_cbranch_execnz .LBB16_32
	s_branch .LBB16_33
.LBB16_65:
	s_endpgm
	.section	.rodata,"a",@progbits
	.p2align	6, 0x0
	.amdhsa_kernel _ZN9rocsparseL38csr2bsr_block_per_row_multipass_kernelILj256ELj64EiliEEv20rocsparse_direction_T3_S2_S2_S2_S2_21rocsparse_index_base_PKT1_PKT2_PKS2_S3_PS4_PS7_PS2_
		.amdhsa_group_segment_fixed_size 16388
		.amdhsa_private_segment_fixed_size 0
		.amdhsa_kernarg_size 88
		.amdhsa_user_sgpr_count 2
		.amdhsa_user_sgpr_dispatch_ptr 0
		.amdhsa_user_sgpr_queue_ptr 0
		.amdhsa_user_sgpr_kernarg_segment_ptr 1
		.amdhsa_user_sgpr_dispatch_id 0
		.amdhsa_user_sgpr_kernarg_preload_length 0
		.amdhsa_user_sgpr_kernarg_preload_offset 0
		.amdhsa_user_sgpr_private_segment_size 0
		.amdhsa_uses_dynamic_stack 0
		.amdhsa_enable_private_segment 0
		.amdhsa_system_sgpr_workgroup_id_x 1
		.amdhsa_system_sgpr_workgroup_id_y 0
		.amdhsa_system_sgpr_workgroup_id_z 0
		.amdhsa_system_sgpr_workgroup_info 0
		.amdhsa_system_vgpr_workitem_id 0
		.amdhsa_next_free_vgpr 63
		.amdhsa_next_free_sgpr 98
		.amdhsa_accum_offset 64
		.amdhsa_reserve_vcc 1
		.amdhsa_float_round_mode_32 0
		.amdhsa_float_round_mode_16_64 0
		.amdhsa_float_denorm_mode_32 3
		.amdhsa_float_denorm_mode_16_64 3
		.amdhsa_dx10_clamp 1
		.amdhsa_ieee_mode 1
		.amdhsa_fp16_overflow 0
		.amdhsa_tg_split 0
		.amdhsa_exception_fp_ieee_invalid_op 0
		.amdhsa_exception_fp_denorm_src 0
		.amdhsa_exception_fp_ieee_div_zero 0
		.amdhsa_exception_fp_ieee_overflow 0
		.amdhsa_exception_fp_ieee_underflow 0
		.amdhsa_exception_fp_ieee_inexact 0
		.amdhsa_exception_int_div_zero 0
	.end_amdhsa_kernel
	.section	.text._ZN9rocsparseL38csr2bsr_block_per_row_multipass_kernelILj256ELj64EiliEEv20rocsparse_direction_T3_S2_S2_S2_S2_21rocsparse_index_base_PKT1_PKT2_PKS2_S3_PS4_PS7_PS2_,"axG",@progbits,_ZN9rocsparseL38csr2bsr_block_per_row_multipass_kernelILj256ELj64EiliEEv20rocsparse_direction_T3_S2_S2_S2_S2_21rocsparse_index_base_PKT1_PKT2_PKS2_S3_PS4_PS7_PS2_,comdat
.Lfunc_end16:
	.size	_ZN9rocsparseL38csr2bsr_block_per_row_multipass_kernelILj256ELj64EiliEEv20rocsparse_direction_T3_S2_S2_S2_S2_21rocsparse_index_base_PKT1_PKT2_PKS2_S3_PS4_PS7_PS2_, .Lfunc_end16-_ZN9rocsparseL38csr2bsr_block_per_row_multipass_kernelILj256ELj64EiliEEv20rocsparse_direction_T3_S2_S2_S2_S2_21rocsparse_index_base_PKT1_PKT2_PKS2_S3_PS4_PS7_PS2_
                                        ; -- End function
	.section	.AMDGPU.csdata,"",@progbits
; Kernel info:
; codeLenInByte = 3228
; NumSgprs: 104
; NumVgprs: 63
; NumAgprs: 0
; TotalNumVgprs: 63
; ScratchSize: 0
; MemoryBound: 0
; FloatMode: 240
; IeeeMode: 1
; LDSByteSize: 16388 bytes/workgroup (compile time only)
; SGPRBlocks: 12
; VGPRBlocks: 7
; NumSGPRsForWavesPerEU: 104
; NumVGPRsForWavesPerEU: 63
; AccumOffset: 64
; Occupancy: 3
; WaveLimiterHint : 0
; COMPUTE_PGM_RSRC2:SCRATCH_EN: 0
; COMPUTE_PGM_RSRC2:USER_SGPR: 2
; COMPUTE_PGM_RSRC2:TRAP_HANDLER: 0
; COMPUTE_PGM_RSRC2:TGID_X_EN: 1
; COMPUTE_PGM_RSRC2:TGID_Y_EN: 0
; COMPUTE_PGM_RSRC2:TGID_Z_EN: 0
; COMPUTE_PGM_RSRC2:TIDIG_COMP_CNT: 0
; COMPUTE_PGM_RSRC3_GFX90A:ACCUM_OFFSET: 15
; COMPUTE_PGM_RSRC3_GFX90A:TG_SPLIT: 0
	.section	.text._ZN9rocsparseL21csr2bsr_65_inf_kernelILj32EiliEEv20rocsparse_direction_T2_S2_S2_S2_S2_S2_21rocsparse_index_base_PKT0_PKT1_PKS2_S3_PS4_PS7_PS2_SD_SE_SC_,"axG",@progbits,_ZN9rocsparseL21csr2bsr_65_inf_kernelILj32EiliEEv20rocsparse_direction_T2_S2_S2_S2_S2_S2_21rocsparse_index_base_PKT0_PKT1_PKS2_S3_PS4_PS7_PS2_SD_SE_SC_,comdat
	.globl	_ZN9rocsparseL21csr2bsr_65_inf_kernelILj32EiliEEv20rocsparse_direction_T2_S2_S2_S2_S2_S2_21rocsparse_index_base_PKT0_PKT1_PKS2_S3_PS4_PS7_PS2_SD_SE_SC_ ; -- Begin function _ZN9rocsparseL21csr2bsr_65_inf_kernelILj32EiliEEv20rocsparse_direction_T2_S2_S2_S2_S2_S2_21rocsparse_index_base_PKT0_PKT1_PKS2_S3_PS4_PS7_PS2_SD_SE_SC_
	.p2align	8
	.type	_ZN9rocsparseL21csr2bsr_65_inf_kernelILj32EiliEEv20rocsparse_direction_T2_S2_S2_S2_S2_S2_21rocsparse_index_base_PKT0_PKT1_PKS2_S3_PS4_PS7_PS2_SD_SE_SC_,@function
_ZN9rocsparseL21csr2bsr_65_inf_kernelILj32EiliEEv20rocsparse_direction_T2_S2_S2_S2_S2_S2_21rocsparse_index_base_PKT0_PKT1_PKS2_S3_PS4_PS7_PS2_SD_SE_SC_: ; @_ZN9rocsparseL21csr2bsr_65_inf_kernelILj32EiliEEv20rocsparse_direction_T2_S2_S2_S2_S2_S2_21rocsparse_index_base_PKT0_PKT1_PKS2_S3_PS4_PS7_PS2_SD_SE_SC_
; %bb.0:
	s_load_dwordx4 s[8:11], s[0:1], 0x0
	s_load_dwordx2 s[4:5], s[0:1], 0x58
	s_load_dword s33, s[0:1], 0x38
	s_mov_b32 s21, 0
	s_waitcnt lgkmcnt(0)
	s_cmp_ge_i32 s2, s11
	s_mov_b32 s11, 0
	s_cbranch_scc1 .LBB17_2
; %bb.1:
	s_load_dwordx2 s[6:7], s[0:1], 0x48
	s_ashr_i32 s3, s2, 31
	s_lshl_b64 s[12:13], s[2:3], 3
	s_waitcnt lgkmcnt(0)
	s_add_u32 s6, s6, s12
	s_addc_u32 s7, s7, s13
	s_load_dword s3, s[6:7], 0x0
	s_waitcnt lgkmcnt(0)
	s_sub_i32 s11, s3, s33
.LBB17_2:
	s_load_dwordx4 s[12:15], s[0:1], 0x14
	s_waitcnt lgkmcnt(0)
	s_mul_i32 s3, s2, s13
	s_lshl_b32 s20, s3, 6
	s_lshl_b64 s[6:7], s[20:21], 3
	s_add_u32 s22, s4, s6
	v_mul_lo_u32 v6, v0, s13
	s_addc_u32 s23, s5, s7
	s_lshl_b32 s20, s13, 5
	v_ashrrev_i32_e32 v7, 31, v6
	s_cmp_gt_i32 s13, 0
	s_cselect_b64 s[24:25], -1, 0
	s_cmp_lt_i32 s13, 1
	v_lshl_add_u64 v[2:3], v[6:7], 3, s[22:23]
	s_cbranch_scc1 .LBB17_7
; %bb.3:
	s_load_dwordx2 s[6:7], s[0:1], 0x28
	s_mov_b32 s15, 0
	s_mov_b32 s4, s15
	;; [unrolled: 1-line block ×3, first 2 shown]
	s_mul_i32 s3, s2, s12
	s_lshl_b64 s[16:17], s[20:21], 3
	v_mov_b64_e32 v[4:5], s[4:5]
	v_mov_b32_e32 v1, v0
	v_mov_b64_e32 v[8:9], v[2:3]
	s_mov_b32 s18, s13
	s_branch .LBB17_5
.LBB17_4:                               ;   in Loop: Header=BB17_5 Depth=1
	s_or_b64 exec, exec, s[4:5]
	s_add_i32 s18, s18, -1
	v_lshl_add_u64 v[8:9], v[8:9], 0, 8
	s_cmp_eq_u32 s18, 0
	v_add_u32_e32 v1, 32, v1
	s_cbranch_scc1 .LBB17_7
.LBB17_5:                               ; =>This Inner Loop Header: Depth=1
	v_add_u32_e32 v12, s3, v1
	v_cmp_gt_i32_e32 vcc, s9, v12
	v_cmp_gt_u32_e64 s[4:5], s12, v1
	v_lshl_add_u64 v[10:11], v[8:9], 0, s[16:17]
	s_and_b64 s[26:27], s[4:5], vcc
	global_store_dwordx2 v[8:9], v[4:5], off
	global_store_dwordx2 v[10:11], v[4:5], off
	s_and_saveexec_b64 s[4:5], s[26:27]
	s_cbranch_execz .LBB17_4
; %bb.6:                                ;   in Loop: Header=BB17_5 Depth=1
	v_ashrrev_i32_e32 v13, 31, v12
	s_waitcnt lgkmcnt(0)
	v_lshl_add_u64 v[12:13], v[12:13], 3, s[6:7]
	global_load_dwordx4 v[12:15], v[12:13], off
	v_mov_b32_e32 v16, s15
	s_waitcnt vmcnt(0)
	v_subrev_co_u32_e32 v12, vcc, s14, v12
	s_nop 1
	v_subb_co_u32_e32 v13, vcc, v13, v16, vcc
	v_subrev_co_u32_e32 v14, vcc, s14, v14
	s_nop 1
	v_subb_co_u32_e32 v15, vcc, v15, v16, vcc
	global_store_dwordx2 v[8:9], v[12:13], off
	global_store_dwordx2 v[10:11], v[14:15], off
	s_branch .LBB17_4
.LBB17_7:
	s_cmp_lt_i32 s10, 1
	s_cbranch_scc1 .LBB17_37
; %bb.8:
	s_load_dwordx4 s[28:31], s[0:1], 0x60
	s_load_dwordx2 s[4:5], s[0:1], 0x20
	s_waitcnt lgkmcnt(0)
	s_load_dwordx2 s[6:7], s[0:1], 0x50
	s_load_dwordx2 s[16:17], s[0:1], 0x40
	;; [unrolled: 1-line block ×3, first 2 shown]
	s_lshl_b64 s[0:1], s[20:21], 3
	s_add_u32 s0, s22, s0
	s_addc_u32 s1, s23, s1
	s_mul_i32 s20, s20, s2
	s_mov_b32 s21, 0
	v_lshl_add_u64 v[4:5], v[6:7], 3, s[0:1]
	s_lshl_b64 s[0:1], s[20:21], 2
	s_add_u32 s2, s28, s0
	s_addc_u32 s3, s29, s1
	s_add_u32 s0, s30, s0
	s_addc_u32 s1, s31, s1
	s_cmp_lg_u32 s8, 0
	s_cselect_b64 s[8:9], -1, 0
	s_abs_i32 s15, s12
	v_cvt_f32_u32_e32 v1, s15
	v_mbcnt_lo_u32_b32 v11, -1, 0
	v_mbcnt_hi_u32_b32 v11, -1, v11
	v_mov_b32_e32 v12, 0x7c
	v_rcp_iflag_f32_e32 v13, v1
	v_lshl_or_b32 v1, v11, 2, v12
	v_lshlrev_b64 v[8:9], 2, v[6:7]
	v_lshl_add_u64 v[6:7], s[2:3], 0, v[8:9]
	v_mul_f32_e32 v11, 0x4f7ffffe, v13
	v_cvt_u32_f32_e32 v11, v11
	s_sub_i32 s2, 0, s15
	v_lshl_add_u64 v[8:9], s[0:1], 0, v[8:9]
	v_cmp_eq_u32_e64 s[0:1], 31, v0
	v_mul_lo_u32 v12, s2, v11
	v_mul_hi_u32 v12, v11, v12
	v_add_u32_e32 v26, v11, v12
	v_cndmask_b32_e64 v11, 0, 1, s[24:25]
	v_mov_b32_e32 v10, 0
	s_add_i32 s38, s11, -1
	s_mul_hi_i32 s39, s12, s12
	s_mul_i32 s40, s12, s12
	s_ashr_i32 s41, s12, 31
	v_mul_lo_u32 v27, v0, s12
	s_lshl_b32 s42, s12, 5
	s_mov_b64 s[22:23], 0
	v_cmp_ne_u32_e64 s[2:3], 1, v11
	v_mov_b32_e32 v11, 0
	v_mov_b32_e32 v28, 0
	;; [unrolled: 1-line block ×3, first 2 shown]
	s_branch .LBB17_10
.LBB17_9:                               ;   in Loop: Header=BB17_10 Depth=1
	s_waitcnt lgkmcnt(0)
	v_add_u32_e32 v10, 1, v24
	v_cmp_le_i32_e32 vcc, s10, v10
	s_or_b64 s[22:23], vcc, s[22:23]
	s_andn2_b64 exec, exec, s[22:23]
	s_cbranch_execz .LBB17_37
.LBB17_10:                              ; =>This Loop Header: Depth=1
                                        ;     Child Loop BB17_14 Depth 2
                                        ;       Child Loop BB17_17 Depth 3
                                        ;     Child Loop BB17_31 Depth 2
	s_and_b64 vcc, exec, s[2:3]
	v_mov_b32_e32 v30, s10
	s_cbranch_vccnz .LBB17_23
; %bb.11:                               ;   in Loop: Header=BB17_10 Depth=1
	s_mov_b32 s20, 0
	v_mov_b32_e32 v30, s10
	s_branch .LBB17_14
.LBB17_12:                              ;   in Loop: Header=BB17_14 Depth=2
	s_or_b64 exec, exec, s[26:27]
.LBB17_13:                              ;   in Loop: Header=BB17_14 Depth=2
	s_or_b64 exec, exec, s[24:25]
	s_add_i32 s20, s20, 1
	s_cmp_eq_u32 s20, s13
	s_cbranch_scc1 .LBB17_23
.LBB17_14:                              ;   Parent Loop BB17_10 Depth=1
                                        ; =>  This Loop Header: Depth=2
                                        ;       Child Loop BB17_17 Depth 3
	s_lshl_b64 s[24:25], s[20:21], 3
	v_lshl_add_u64 v[12:13], v[2:3], 0, s[24:25]
	v_lshl_add_u64 v[14:15], v[4:5], 0, s[24:25]
	global_load_dwordx2 v[22:23], v[12:13], off
	global_load_dwordx2 v[20:21], v[14:15], off
	s_lshl_b64 s[24:25], s[20:21], 2
	v_lshl_add_u64 v[14:15], v[8:9], 0, s[24:25]
	v_lshl_add_u64 v[16:17], v[6:7], 0, s[24:25]
	v_mov_b32_e32 v18, s10
	global_store_dword v[14:15], v11, off
	global_store_dword v[16:17], v18, off
	s_waitcnt vmcnt(2)
	v_cmp_lt_i64_e32 vcc, v[22:23], v[20:21]
	s_and_saveexec_b64 s[24:25], vcc
	s_cbranch_execz .LBB17_13
; %bb.15:                               ;   in Loop: Header=BB17_14 Depth=2
	s_waitcnt lgkmcnt(0)
	v_lshl_add_u64 v[24:25], v[22:23], 2, s[18:19]
	s_mov_b64 s[26:27], 0
                                        ; implicit-def: $sgpr28_sgpr29
                                        ; implicit-def: $sgpr34_sgpr35
                                        ; implicit-def: $sgpr30_sgpr31
	s_branch .LBB17_17
.LBB17_16:                              ;   in Loop: Header=BB17_17 Depth=3
	s_or_b64 exec, exec, s[36:37]
	s_and_b64 s[36:37], exec, s[34:35]
	s_or_b64 s[26:27], s[36:37], s[26:27]
	s_andn2_b64 s[28:29], s[28:29], exec
	s_and_b64 s[36:37], s[30:31], exec
	s_or_b64 s[28:29], s[28:29], s[36:37]
	s_andn2_b64 exec, exec, s[26:27]
	s_cbranch_execz .LBB17_19
.LBB17_17:                              ;   Parent Loop BB17_10 Depth=1
                                        ;     Parent Loop BB17_14 Depth=2
                                        ; =>    This Inner Loop Header: Depth=3
	global_load_dword v31, v[24:25], off
	v_mov_b64_e32 v[18:19], v[22:23]
	s_or_b64 s[30:31], s[30:31], exec
	s_or_b64 s[34:35], s[34:35], exec
                                        ; implicit-def: $vgpr22_vgpr23
	s_waitcnt vmcnt(0)
	v_subrev_u32_e32 v31, s14, v31
	v_cmp_lt_i32_e32 vcc, v31, v10
	s_and_saveexec_b64 s[36:37], vcc
	s_cbranch_execz .LBB17_16
; %bb.18:                               ;   in Loop: Header=BB17_17 Depth=3
	v_lshl_add_u64 v[22:23], v[18:19], 0, 1
	v_cmp_ge_i64_e32 vcc, v[22:23], v[20:21]
	s_andn2_b64 s[34:35], s[34:35], exec
	s_and_b64 s[44:45], vcc, exec
	v_lshl_add_u64 v[24:25], v[24:25], 0, 4
	s_andn2_b64 s[30:31], s[30:31], exec
	s_or_b64 s[34:35], s[34:35], s[44:45]
	s_branch .LBB17_16
.LBB17_19:                              ;   in Loop: Header=BB17_14 Depth=2
	s_or_b64 exec, exec, s[26:27]
	s_xor_b64 s[26:27], s[28:29], -1
	v_lshl_add_u64 v[20:21], v[18:19], 2, s[4:5]
	s_and_saveexec_b64 s[28:29], s[26:27]
	s_xor_b64 s[26:27], exec, s[28:29]
	s_cbranch_execz .LBB17_21
; %bb.20:                               ;   in Loop: Header=BB17_14 Depth=2
	global_load_dword v12, v[20:21], off
                                        ; implicit-def: $vgpr20_vgpr21
	s_waitcnt vmcnt(0)
	global_store_dword v[14:15], v12, off
	global_store_dword v[16:17], v31, off
                                        ; implicit-def: $vgpr14_vgpr15
                                        ; implicit-def: $vgpr16_vgpr17
                                        ; implicit-def: $vgpr12_vgpr13
.LBB17_21:                              ;   in Loop: Header=BB17_14 Depth=2
	s_andn2_saveexec_b64 s[26:27], s[26:27]
	s_cbranch_execz .LBB17_12
; %bb.22:                               ;   in Loop: Header=BB17_14 Depth=2
	global_load_dword v20, v[20:21], off
	v_min_i32_e32 v30, v31, v30
	global_store_dword v[16:17], v31, off
	s_waitcnt vmcnt(1)
	global_store_dword v[14:15], v20, off
	global_store_dwordx2 v[12:13], v[18:19], off
	s_branch .LBB17_12
.LBB17_23:                              ;   in Loop: Header=BB17_10 Depth=1
	s_nop 0
	v_mov_b32_dpp v10, v30 row_shr:1 row_mask:0xf bank_mask:0xf
	v_min_i32_e32 v10, v10, v30
	s_nop 1
	v_mov_b32_dpp v12, v10 row_shr:2 row_mask:0xf bank_mask:0xf
	v_min_i32_e32 v10, v12, v10
	;; [unrolled: 3-line block ×4, first 2 shown]
	s_nop 1
	v_mov_b32_dpp v12, v10 row_bcast:15 row_mask:0xa bank_mask:0xf
	v_min_i32_e32 v10, v12, v10
	v_cmp_gt_i32_e32 vcc, s10, v10
	s_and_b64 s[26:27], s[0:1], vcc
	s_and_saveexec_b64 s[24:25], s[26:27]
	s_cbranch_execz .LBB17_27
; %bb.24:                               ;   in Loop: Header=BB17_10 Depth=1
	v_sub_u32_e32 v13, 0, v10
	v_max_i32_e32 v13, v10, v13
	v_mul_hi_u32 v14, v13, v26
	v_mul_lo_u32 v15, v14, s15
	v_sub_u32_e32 v13, v13, v15
	v_add_u32_e32 v15, 1, v14
	v_cmp_le_u32_e32 vcc, s15, v13
	v_ashrrev_i32_e32 v12, 31, v10
	v_xor_b32_e32 v12, s41, v12
	v_cndmask_b32_e32 v14, v14, v15, vcc
	v_subrev_u32_e32 v15, s15, v13
	v_cndmask_b32_e32 v13, v13, v15, vcc
	v_add_u32_e32 v15, 1, v14
	v_cmp_le_u32_e32 vcc, s15, v13
	s_nop 1
	v_cndmask_b32_e32 v13, v14, v15, vcc
	v_xor_b32_e32 v13, v13, v12
	v_sub_u32_e32 v12, v13, v12
	v_cmp_ge_i32_e32 vcc, v12, v28
	s_and_saveexec_b64 s[26:27], vcc
	s_cbranch_execz .LBB17_26
; %bb.25:                               ;   in Loop: Header=BB17_10 Depth=1
	v_add_u32_e32 v14, s11, v29
	v_add_u32_e32 v13, 1, v29
	v_ashrrev_i32_e32 v15, 31, v14
	v_add_u32_e32 v28, 1, v12
	s_waitcnt lgkmcnt(0)
	v_lshl_add_u64 v[14:15], v[14:15], 2, s[6:7]
	v_add_u32_e32 v12, s33, v12
	v_mov_b32_e32 v29, v13
	global_store_dword v[14:15], v12, off
.LBB17_26:                              ;   in Loop: Header=BB17_10 Depth=1
	s_or_b64 exec, exec, s[26:27]
.LBB17_27:                              ;   in Loop: Header=BB17_10 Depth=1
	s_or_b64 exec, exec, s[24:25]
	ds_bpermute_b32 v24, v1, v10
	ds_bpermute_b32 v29, v1, v29
	s_and_b64 vcc, exec, s[2:3]
	s_cbranch_vccnz .LBB17_9
; %bb.28:                               ;   in Loop: Header=BB17_10 Depth=1
	s_waitcnt lgkmcnt(0)
	v_add_u32_e32 v10, s38, v29
	v_ashrrev_i32_e32 v12, 31, v10
	v_mul_lo_u32 v14, s40, v12
	v_mul_lo_u32 v15, s39, v10
	v_mad_u64_u32 v[12:13], s[24:25], s40, v10, 0
	v_add3_u32 v13, v13, v14, v15
	v_sub_u32_e32 v14, 0, v24
	v_max_i32_e32 v14, v24, v14
	v_mul_hi_u32 v15, v14, v26
	v_mul_lo_u32 v16, v15, s15
	v_sub_u32_e32 v14, v14, v16
	v_add_u32_e32 v16, 1, v15
	v_cmp_le_u32_e32 vcc, s15, v14
	v_ashrrev_i32_e32 v10, 31, v24
	v_xor_b32_e32 v10, s41, v10
	v_cndmask_b32_e32 v15, v15, v16, vcc
	v_subrev_u32_e32 v16, s15, v14
	v_cndmask_b32_e32 v14, v14, v16, vcc
	v_add_u32_e32 v16, 1, v15
	v_cmp_le_u32_e32 vcc, s15, v14
	v_lshl_add_u64 v[12:13], v[12:13], 2, s[16:17]
	s_mov_b32 s20, s13
	v_cndmask_b32_e32 v14, v15, v16, vcc
	v_xor_b32_e32 v14, v14, v10
	v_sub_u32_e32 v25, v14, v10
	v_mov_b64_e32 v[14:15], v[8:9]
	v_mov_b64_e32 v[16:17], v[6:7]
	v_mov_b32_e32 v18, v0
	v_mov_b32_e32 v10, v27
	s_branch .LBB17_31
.LBB17_29:                              ;   in Loop: Header=BB17_31 Depth=2
	v_lshl_add_u64 v[20:21], v[20:21], 2, v[12:13]
	v_lshl_add_u64 v[20:21], v[22:23], 2, v[20:21]
	s_waitcnt vmcnt(0)
	global_store_dword v[20:21], v32, off
.LBB17_30:                              ;   in Loop: Header=BB17_31 Depth=2
	s_or_b64 exec, exec, s[24:25]
	s_add_i32 s20, s20, -1
	v_add_u32_e32 v10, s42, v10
	v_add_u32_e32 v18, 32, v18
	v_lshl_add_u64 v[16:17], v[16:17], 0, 4
	s_cmp_eq_u32 s20, 0
	v_lshl_add_u64 v[14:15], v[14:15], 0, 4
	s_cbranch_scc1 .LBB17_9
.LBB17_31:                              ;   Parent Loop BB17_10 Depth=1
                                        ; =>  This Inner Loop Header: Depth=2
	global_load_dword v19, v[16:17], off
	s_waitcnt vmcnt(0)
	v_cmp_gt_i32_e32 vcc, s10, v19
	s_and_saveexec_b64 s[24:25], vcc
	s_cbranch_execz .LBB17_30
; %bb.32:                               ;   in Loop: Header=BB17_31 Depth=2
	v_sub_u32_e32 v21, 0, v19
	v_max_i32_e32 v21, v19, v21
	v_mul_hi_u32 v22, v21, v26
	v_mul_lo_u32 v23, v22, s15
	v_sub_u32_e32 v31, v21, v23
	v_add_u32_e32 v21, 1, v22
	v_cmp_le_u32_e32 vcc, s15, v31
	v_subrev_u32_e32 v33, s15, v31
	v_ashrrev_i32_e32 v30, 31, v19
	v_cndmask_b32_e32 v21, v22, v21, vcc
	v_cndmask_b32_e32 v22, v31, v33, vcc
	v_add_u32_e32 v23, 1, v21
	v_cmp_le_u32_e32 vcc, s15, v22
	v_xor_b32_e32 v20, s41, v30
	s_nop 0
	v_cndmask_b32_e32 v21, v21, v23, vcc
	v_xor_b32_e32 v21, v21, v20
	v_sub_u32_e32 v20, v21, v20
	v_cmp_eq_u32_e32 vcc, v20, v25
	s_and_b64 exec, exec, vcc
	s_cbranch_execz .LBB17_30
; %bb.33:                               ;   in Loop: Header=BB17_31 Depth=2
	global_load_dword v32, v[14:15], off
	s_and_b64 vcc, exec, s[8:9]
	s_cbranch_vccz .LBB17_35
; %bb.34:                               ;   in Loop: Header=BB17_31 Depth=2
	v_mul_lo_u32 v20, v25, s12
	v_sub_u32_e32 v19, v19, v20
	v_mul_lo_u32 v20, v19, s12
	v_mov_b32_e32 v19, v11
	v_ashrrev_i32_e32 v21, 31, v20
	v_mov_b64_e32 v[22:23], v[18:19]
	s_cbranch_execnz .LBB17_29
	s_branch .LBB17_36
.LBB17_35:                              ;   in Loop: Header=BB17_31 Depth=2
                                        ; implicit-def: $vgpr22_vgpr23
                                        ; implicit-def: $vgpr20_vgpr21
.LBB17_36:                              ;   in Loop: Header=BB17_31 Depth=2
	v_cmp_le_u32_e32 vcc, s15, v31
	s_nop 1
	v_cndmask_b32_e32 v19, v31, v33, vcc
	v_subrev_u32_e32 v20, s15, v19
	v_cmp_le_u32_e32 vcc, s15, v19
	s_nop 1
	v_cndmask_b32_e32 v19, v19, v20, vcc
	v_xor_b32_e32 v19, v19, v30
	v_sub_u32_e32 v22, v19, v30
	v_ashrrev_i32_e32 v23, 31, v22
	v_mov_b64_e32 v[20:21], v[10:11]
	s_branch .LBB17_29
.LBB17_37:
	s_endpgm
	.section	.rodata,"a",@progbits
	.p2align	6, 0x0
	.amdhsa_kernel _ZN9rocsparseL21csr2bsr_65_inf_kernelILj32EiliEEv20rocsparse_direction_T2_S2_S2_S2_S2_S2_21rocsparse_index_base_PKT0_PKT1_PKS2_S3_PS4_PS7_PS2_SD_SE_SC_
		.amdhsa_group_segment_fixed_size 0
		.amdhsa_private_segment_fixed_size 0
		.amdhsa_kernarg_size 112
		.amdhsa_user_sgpr_count 2
		.amdhsa_user_sgpr_dispatch_ptr 0
		.amdhsa_user_sgpr_queue_ptr 0
		.amdhsa_user_sgpr_kernarg_segment_ptr 1
		.amdhsa_user_sgpr_dispatch_id 0
		.amdhsa_user_sgpr_kernarg_preload_length 0
		.amdhsa_user_sgpr_kernarg_preload_offset 0
		.amdhsa_user_sgpr_private_segment_size 0
		.amdhsa_uses_dynamic_stack 0
		.amdhsa_enable_private_segment 0
		.amdhsa_system_sgpr_workgroup_id_x 1
		.amdhsa_system_sgpr_workgroup_id_y 0
		.amdhsa_system_sgpr_workgroup_id_z 0
		.amdhsa_system_sgpr_workgroup_info 0
		.amdhsa_system_vgpr_workitem_id 0
		.amdhsa_next_free_vgpr 34
		.amdhsa_next_free_sgpr 46
		.amdhsa_accum_offset 36
		.amdhsa_reserve_vcc 1
		.amdhsa_float_round_mode_32 0
		.amdhsa_float_round_mode_16_64 0
		.amdhsa_float_denorm_mode_32 3
		.amdhsa_float_denorm_mode_16_64 3
		.amdhsa_dx10_clamp 1
		.amdhsa_ieee_mode 1
		.amdhsa_fp16_overflow 0
		.amdhsa_tg_split 0
		.amdhsa_exception_fp_ieee_invalid_op 0
		.amdhsa_exception_fp_denorm_src 0
		.amdhsa_exception_fp_ieee_div_zero 0
		.amdhsa_exception_fp_ieee_overflow 0
		.amdhsa_exception_fp_ieee_underflow 0
		.amdhsa_exception_fp_ieee_inexact 0
		.amdhsa_exception_int_div_zero 0
	.end_amdhsa_kernel
	.section	.text._ZN9rocsparseL21csr2bsr_65_inf_kernelILj32EiliEEv20rocsparse_direction_T2_S2_S2_S2_S2_S2_21rocsparse_index_base_PKT0_PKT1_PKS2_S3_PS4_PS7_PS2_SD_SE_SC_,"axG",@progbits,_ZN9rocsparseL21csr2bsr_65_inf_kernelILj32EiliEEv20rocsparse_direction_T2_S2_S2_S2_S2_S2_21rocsparse_index_base_PKT0_PKT1_PKS2_S3_PS4_PS7_PS2_SD_SE_SC_,comdat
.Lfunc_end17:
	.size	_ZN9rocsparseL21csr2bsr_65_inf_kernelILj32EiliEEv20rocsparse_direction_T2_S2_S2_S2_S2_S2_21rocsparse_index_base_PKT0_PKT1_PKS2_S3_PS4_PS7_PS2_SD_SE_SC_, .Lfunc_end17-_ZN9rocsparseL21csr2bsr_65_inf_kernelILj32EiliEEv20rocsparse_direction_T2_S2_S2_S2_S2_S2_21rocsparse_index_base_PKT0_PKT1_PKS2_S3_PS4_PS7_PS2_SD_SE_SC_
                                        ; -- End function
	.section	.AMDGPU.csdata,"",@progbits
; Kernel info:
; codeLenInByte = 1760
; NumSgprs: 52
; NumVgprs: 34
; NumAgprs: 0
; TotalNumVgprs: 34
; ScratchSize: 0
; MemoryBound: 0
; FloatMode: 240
; IeeeMode: 1
; LDSByteSize: 0 bytes/workgroup (compile time only)
; SGPRBlocks: 6
; VGPRBlocks: 4
; NumSGPRsForWavesPerEU: 52
; NumVGPRsForWavesPerEU: 34
; AccumOffset: 36
; Occupancy: 8
; WaveLimiterHint : 0
; COMPUTE_PGM_RSRC2:SCRATCH_EN: 0
; COMPUTE_PGM_RSRC2:USER_SGPR: 2
; COMPUTE_PGM_RSRC2:TRAP_HANDLER: 0
; COMPUTE_PGM_RSRC2:TGID_X_EN: 1
; COMPUTE_PGM_RSRC2:TGID_Y_EN: 0
; COMPUTE_PGM_RSRC2:TGID_Z_EN: 0
; COMPUTE_PGM_RSRC2:TIDIG_COMP_CNT: 0
; COMPUTE_PGM_RSRC3_GFX90A:ACCUM_OFFSET: 8
; COMPUTE_PGM_RSRC3_GFX90A:TG_SPLIT: 0
	.section	.text._ZN9rocsparseL35csr2bsr_block_dim_equals_one_kernelILj256EiilEEvT2_S1_S1_S1_21rocsparse_index_base_PKT0_PKT1_PKS1_S2_PS3_PS6_PS1_,"axG",@progbits,_ZN9rocsparseL35csr2bsr_block_dim_equals_one_kernelILj256EiilEEvT2_S1_S1_S1_21rocsparse_index_base_PKT0_PKT1_PKS1_S2_PS3_PS6_PS1_,comdat
	.globl	_ZN9rocsparseL35csr2bsr_block_dim_equals_one_kernelILj256EiilEEvT2_S1_S1_S1_21rocsparse_index_base_PKT0_PKT1_PKS1_S2_PS3_PS6_PS1_ ; -- Begin function _ZN9rocsparseL35csr2bsr_block_dim_equals_one_kernelILj256EiilEEvT2_S1_S1_S1_21rocsparse_index_base_PKT0_PKT1_PKS1_S2_PS3_PS6_PS1_
	.p2align	8
	.type	_ZN9rocsparseL35csr2bsr_block_dim_equals_one_kernelILj256EiilEEvT2_S1_S1_S1_21rocsparse_index_base_PKT0_PKT1_PKS1_S2_PS3_PS6_PS1_,@function
_ZN9rocsparseL35csr2bsr_block_dim_equals_one_kernelILj256EiilEEvT2_S1_S1_S1_21rocsparse_index_base_PKT0_PKT1_PKS1_S2_PS3_PS6_PS1_: ; @_ZN9rocsparseL35csr2bsr_block_dim_equals_one_kernelILj256EiilEEvT2_S1_S1_S1_21rocsparse_index_base_PKT0_PKT1_PKS1_S2_PS3_PS6_PS1_
; %bb.0:
	s_load_dwordx2 s[8:9], s[0:1], 0x0
	s_load_dwordx4 s[4:7], s[0:1], 0x28
	v_lshl_or_b32 v0, s2, 8, v0
	s_waitcnt lgkmcnt(0)
	s_lshl_b64 s[8:9], s[8:9], 2
	s_add_u32 s8, s6, s8
	s_addc_u32 s9, s7, s9
	s_load_dword s3, s[8:9], 0x0
	s_load_dword s10, s[6:7], 0x0
	s_waitcnt lgkmcnt(0)
	s_sub_i32 s12, s3, s10
	v_cmp_gt_i32_e32 vcc, s12, v0
	s_and_saveexec_b64 s[2:3], vcc
	s_cbranch_execz .LBB18_3
; %bb.1:
	s_load_dword s10, s[0:1], 0x40
	s_load_dwordx2 s[2:3], s[0:1], 0x48
	s_load_dword s11, s[0:1], 0x20
	s_load_dword s13, s[0:1], 0x60
	s_load_dwordx2 s[6:7], s[0:1], 0x38
	s_load_dwordx2 s[8:9], s[0:1], 0x58
	s_waitcnt lgkmcnt(0)
	s_sub_u32 s0, s10, s11
	s_subb_u32 s1, 0, 0
	s_lshl_b32 s13, s13, 8
	s_mov_b64 s[10:11], 0
.LBB18_2:                               ; =>This Inner Loop Header: Depth=1
	v_ashrrev_i32_e32 v1, 31, v0
	v_lshlrev_b64 v[2:3], 3, v[0:1]
	v_lshl_add_u64 v[4:5], s[6:7], 0, v[2:3]
	global_load_dwordx2 v[4:5], v[4:5], off
	v_lshlrev_b64 v[6:7], 2, v[0:1]
	v_lshl_add_u64 v[8:9], s[4:5], 0, v[6:7]
	global_load_dword v1, v[8:9], off
	v_add_u32_e32 v0, s13, v0
	v_cmp_le_i32_e32 vcc, s12, v0
	v_lshl_add_u64 v[2:3], s[8:9], 0, v[2:3]
	s_or_b64 s[10:11], vcc, s[10:11]
	v_lshl_add_u64 v[6:7], s[2:3], 0, v[6:7]
	s_waitcnt vmcnt(1)
	v_lshl_add_u64 v[4:5], s[0:1], 0, v[4:5]
	global_store_dwordx2 v[2:3], v[4:5], off
	s_waitcnt vmcnt(1)
	global_store_dword v[6:7], v1, off
	s_andn2_b64 exec, exec, s[10:11]
	s_cbranch_execnz .LBB18_2
.LBB18_3:
	s_endpgm
	.section	.rodata,"a",@progbits
	.p2align	6, 0x0
	.amdhsa_kernel _ZN9rocsparseL35csr2bsr_block_dim_equals_one_kernelILj256EiilEEvT2_S1_S1_S1_21rocsparse_index_base_PKT0_PKT1_PKS1_S2_PS3_PS6_PS1_
		.amdhsa_group_segment_fixed_size 0
		.amdhsa_private_segment_fixed_size 0
		.amdhsa_kernarg_size 352
		.amdhsa_user_sgpr_count 2
		.amdhsa_user_sgpr_dispatch_ptr 0
		.amdhsa_user_sgpr_queue_ptr 0
		.amdhsa_user_sgpr_kernarg_segment_ptr 1
		.amdhsa_user_sgpr_dispatch_id 0
		.amdhsa_user_sgpr_kernarg_preload_length 0
		.amdhsa_user_sgpr_kernarg_preload_offset 0
		.amdhsa_user_sgpr_private_segment_size 0
		.amdhsa_uses_dynamic_stack 0
		.amdhsa_enable_private_segment 0
		.amdhsa_system_sgpr_workgroup_id_x 1
		.amdhsa_system_sgpr_workgroup_id_y 0
		.amdhsa_system_sgpr_workgroup_id_z 0
		.amdhsa_system_sgpr_workgroup_info 0
		.amdhsa_system_vgpr_workitem_id 0
		.amdhsa_next_free_vgpr 10
		.amdhsa_next_free_sgpr 14
		.amdhsa_accum_offset 12
		.amdhsa_reserve_vcc 1
		.amdhsa_float_round_mode_32 0
		.amdhsa_float_round_mode_16_64 0
		.amdhsa_float_denorm_mode_32 3
		.amdhsa_float_denorm_mode_16_64 3
		.amdhsa_dx10_clamp 1
		.amdhsa_ieee_mode 1
		.amdhsa_fp16_overflow 0
		.amdhsa_tg_split 0
		.amdhsa_exception_fp_ieee_invalid_op 0
		.amdhsa_exception_fp_denorm_src 0
		.amdhsa_exception_fp_ieee_div_zero 0
		.amdhsa_exception_fp_ieee_overflow 0
		.amdhsa_exception_fp_ieee_underflow 0
		.amdhsa_exception_fp_ieee_inexact 0
		.amdhsa_exception_int_div_zero 0
	.end_amdhsa_kernel
	.section	.text._ZN9rocsparseL35csr2bsr_block_dim_equals_one_kernelILj256EiilEEvT2_S1_S1_S1_21rocsparse_index_base_PKT0_PKT1_PKS1_S2_PS3_PS6_PS1_,"axG",@progbits,_ZN9rocsparseL35csr2bsr_block_dim_equals_one_kernelILj256EiilEEvT2_S1_S1_S1_21rocsparse_index_base_PKT0_PKT1_PKS1_S2_PS3_PS6_PS1_,comdat
.Lfunc_end18:
	.size	_ZN9rocsparseL35csr2bsr_block_dim_equals_one_kernelILj256EiilEEvT2_S1_S1_S1_21rocsparse_index_base_PKT0_PKT1_PKS1_S2_PS3_PS6_PS1_, .Lfunc_end18-_ZN9rocsparseL35csr2bsr_block_dim_equals_one_kernelILj256EiilEEvT2_S1_S1_S1_21rocsparse_index_base_PKT0_PKT1_PKS1_S2_PS3_PS6_PS1_
                                        ; -- End function
	.section	.AMDGPU.csdata,"",@progbits
; Kernel info:
; codeLenInByte = 268
; NumSgprs: 20
; NumVgprs: 10
; NumAgprs: 0
; TotalNumVgprs: 10
; ScratchSize: 0
; MemoryBound: 0
; FloatMode: 240
; IeeeMode: 1
; LDSByteSize: 0 bytes/workgroup (compile time only)
; SGPRBlocks: 2
; VGPRBlocks: 1
; NumSGPRsForWavesPerEU: 20
; NumVGPRsForWavesPerEU: 10
; AccumOffset: 12
; Occupancy: 8
; WaveLimiterHint : 0
; COMPUTE_PGM_RSRC2:SCRATCH_EN: 0
; COMPUTE_PGM_RSRC2:USER_SGPR: 2
; COMPUTE_PGM_RSRC2:TRAP_HANDLER: 0
; COMPUTE_PGM_RSRC2:TGID_X_EN: 1
; COMPUTE_PGM_RSRC2:TGID_Y_EN: 0
; COMPUTE_PGM_RSRC2:TGID_Z_EN: 0
; COMPUTE_PGM_RSRC2:TIDIG_COMP_CNT: 0
; COMPUTE_PGM_RSRC3_GFX90A:ACCUM_OFFSET: 2
; COMPUTE_PGM_RSRC3_GFX90A:TG_SPLIT: 0
	.section	.text._ZN9rocsparseL42csr2bsr_wavefront_per_row_multipass_kernelILj256ELj16ELj4EiilEEv20rocsparse_direction_T4_S2_S2_S2_S2_21rocsparse_index_base_PKT2_PKT3_PKS2_S3_PS4_PS7_PS2_,"axG",@progbits,_ZN9rocsparseL42csr2bsr_wavefront_per_row_multipass_kernelILj256ELj16ELj4EiilEEv20rocsparse_direction_T4_S2_S2_S2_S2_21rocsparse_index_base_PKT2_PKT3_PKS2_S3_PS4_PS7_PS2_,comdat
	.globl	_ZN9rocsparseL42csr2bsr_wavefront_per_row_multipass_kernelILj256ELj16ELj4EiilEEv20rocsparse_direction_T4_S2_S2_S2_S2_21rocsparse_index_base_PKT2_PKT3_PKS2_S3_PS4_PS7_PS2_ ; -- Begin function _ZN9rocsparseL42csr2bsr_wavefront_per_row_multipass_kernelILj256ELj16ELj4EiilEEv20rocsparse_direction_T4_S2_S2_S2_S2_21rocsparse_index_base_PKT2_PKT3_PKS2_S3_PS4_PS7_PS2_
	.p2align	8
	.type	_ZN9rocsparseL42csr2bsr_wavefront_per_row_multipass_kernelILj256ELj16ELj4EiilEEv20rocsparse_direction_T4_S2_S2_S2_S2_21rocsparse_index_base_PKT2_PKT3_PKS2_S3_PS4_PS7_PS2_,@function
_ZN9rocsparseL42csr2bsr_wavefront_per_row_multipass_kernelILj256ELj16ELj4EiilEEv20rocsparse_direction_T4_S2_S2_S2_S2_21rocsparse_index_base_PKT2_PKT3_PKS2_S3_PS4_PS7_PS2_: ; @_ZN9rocsparseL42csr2bsr_wavefront_per_row_multipass_kernelILj256ELj16ELj4EiilEEv20rocsparse_direction_T4_S2_S2_S2_S2_21rocsparse_index_base_PKT2_PKT3_PKS2_S3_PS4_PS7_PS2_
; %bb.0:
	s_load_dwordx2 s[4:5], s[0:1], 0x8
	s_load_dwordx4 s[8:11], s[0:1], 0x18
	s_load_dwordx2 s[6:7], s[0:1], 0x28
	s_load_dword s26, s[0:1], 0x30
	s_load_dwordx2 s[12:13], s[0:1], 0x40
	s_ashr_i32 s3, s2, 31
	v_lshrrev_b32_e32 v22, 4, v0
	s_lshl_b64 s[14:15], s[2:3], 4
	v_bfe_u32 v2, v0, 2, 2
	v_mov_b32_e32 v3, 0
	v_or_b32_e32 v1, s14, v22
	s_waitcnt lgkmcnt(0)
	v_mul_lo_u32 v6, v1, s7
	v_mad_u64_u32 v[4:5], s[16:17], v1, s6, v[2:3]
	s_mul_i32 s3, s15, s6
	v_add3_u32 v5, s3, v5, v6
	v_cmp_gt_i64_e32 vcc, s[4:5], v[4:5]
	v_cmp_gt_i64_e64 s[4:5], s[6:7], v[2:3]
	s_and_b64 s[14:15], s[4:5], vcc
	v_mov_b32_e32 v1, v3
	s_and_saveexec_b64 s[16:17], s[14:15]
	s_cbranch_execz .LBB19_2
; %bb.1:
	v_lshl_add_u64 v[6:7], v[4:5], 2, s[12:13]
	global_load_dword v1, v[6:7], off
	s_waitcnt vmcnt(0)
	v_subrev_u32_e32 v1, s26, v1
.LBB19_2:
	s_or_b64 exec, exec, s[16:17]
	s_and_saveexec_b64 s[16:17], s[14:15]
	s_cbranch_execz .LBB19_4
; %bb.3:
	v_lshl_add_u64 v[4:5], v[4:5], 2, s[12:13]
	global_load_dword v3, v[4:5], off offset:4
	s_waitcnt vmcnt(0)
	v_subrev_u32_e32 v3, s26, v3
.LBB19_4:
	s_or_b64 exec, exec, s[16:17]
	s_load_dword s27, s[0:1], 0x50
	v_lshl_or_b32 v6, s2, 4, v22
	v_mov_b32_e32 v7, 0
	v_cmp_gt_i64_e32 vcc, s[8:9], v[6:7]
	v_mov_b32_e32 v4, v7
	s_and_saveexec_b64 s[2:3], vcc
	s_cbranch_execz .LBB19_6
; %bb.5:
	s_load_dwordx2 s[8:9], s[0:1], 0x60
	s_waitcnt lgkmcnt(0)
	v_lshl_add_u64 v[4:5], v[6:7], 2, s[8:9]
	global_load_dword v4, v[4:5], off
	s_waitcnt vmcnt(0)
	v_subrev_u32_e32 v4, s27, v4
.LBB19_6:
	s_or_b64 exec, exec, s[2:3]
	v_cmp_lt_i64_e64 s[2:3], s[10:11], 1
	s_and_b64 vcc, exec, s[2:3]
	s_cbranch_vccnz .LBB19_25
; %bb.7:
	s_load_dwordx2 s[2:3], s[0:1], 0x68
	s_load_dwordx2 s[14:15], s[0:1], 0x58
	;; [unrolled: 1-line block ×4, first 2 shown]
	s_load_dword s16, s[0:1], 0x0
	v_and_b32_e32 v6, 3, v0
	v_lshlrev_b32_e32 v8, 2, v2
	s_movk_i32 s0, 0x3f0
	v_and_or_b32 v23, v0, s0, v8
	v_mad_u64_u32 v[10:11], s[0:1], v6, s6, 0
	v_mov_b32_e32 v12, v11
	v_or_b32_e32 v0, v23, v6
	v_mad_u64_u32 v[12:13], s[0:1], v6, s7, v[12:13]
	v_lshlrev_b32_e32 v24, 2, v0
	v_mov_b32_e32 v0, 0
	v_mov_b32_e32 v11, v12
	s_waitcnt lgkmcnt(0)
	v_lshl_add_u64 v[10:11], v[10:11], 2, s[14:15]
	v_mov_b32_e32 v9, v0
	v_lshl_add_u64 v[8:9], v[10:11], 0, v[8:9]
	v_mad_u64_u32 v[10:11], s[0:1], v2, s6, 0
	v_mov_b32_e32 v12, v11
	v_mad_u64_u32 v[12:13], s[0:1], v2, s7, v[12:13]
	v_mbcnt_lo_u32_b32 v5, -1, 0
	v_mov_b32_e32 v11, v12
	v_mbcnt_hi_u32_b32 v5, -1, v5
	v_mov_b32_e32 v7, v0
	s_cmp_eq_u32 s16, 0
	s_mul_i32 s16, s6, s7
	s_mul_hi_u32 s17, s6, s6
	v_lshl_add_u64 v[10:11], v[10:11], 2, s[14:15]
	v_lshlrev_b32_e32 v12, 2, v6
	v_mov_b32_e32 v13, v0
	v_lshlrev_b32_e32 v5, 2, v5
	v_cmp_gt_u64_e32 vcc, s[6:7], v[6:7]
	v_lshl_add_u64 v[10:11], v[10:11], 0, v[12:13]
	s_cselect_b64 s[0:1], -1, 0
	s_add_i32 s14, s17, s16
	s_mov_b32 s28, 0
	v_or_b32_e32 v25, 12, v5
	s_add_i32 s29, s14, s16
	s_mul_i32 s30, s6, s6
	v_or_b32_e32 v2, 60, v5
	s_and_b64 s[4:5], s[4:5], vcc
	v_cndmask_b32_e64 v9, v9, v11, s[0:1]
	v_cndmask_b32_e64 v8, v8, v10, s[0:1]
	s_mov_b64 s[14:15], 0
	v_mov_b64_e32 v[12:13], 0
	s_ashr_i32 s16, s7, 31
	v_mov_b32_e32 v7, 1
	v_mov_b32_e32 v5, 0
	s_branch .LBB19_10
.LBB19_8:                               ;   in Loop: Header=BB19_10 Depth=1
	s_or_b64 exec, exec, s[18:19]
	v_mov_b32_e32 v13, 1
.LBB19_9:                               ;   in Loop: Header=BB19_10 Depth=1
	s_or_b64 exec, exec, s[0:1]
	v_mov_b32_dpp v14, v10 row_shr:1 row_mask:0xf bank_mask:0xf
	v_mov_b32_dpp v15, v11 row_shr:1 row_mask:0xf bank_mask:0xf
	v_cmp_lt_i64_e32 vcc, v[14:15], v[10:11]
	v_add_u32_e32 v4, v13, v4
	s_waitcnt lgkmcnt(0)
	v_cndmask_b32_e32 v11, v11, v15, vcc
	v_cndmask_b32_e32 v10, v10, v14, vcc
	s_nop 0
	v_mov_b32_dpp v15, v11 row_shr:2 row_mask:0xf bank_mask:0xf
	v_mov_b32_dpp v14, v10 row_shr:2 row_mask:0xf bank_mask:0xf
	v_cmp_lt_i64_e32 vcc, v[14:15], v[10:11]
	s_nop 1
	v_cndmask_b32_e32 v11, v11, v15, vcc
	v_cndmask_b32_e32 v10, v10, v14, vcc
	s_nop 0
	v_mov_b32_dpp v15, v11 row_shr:4 row_mask:0xf bank_mask:0xe
	v_mov_b32_dpp v14, v10 row_shr:4 row_mask:0xf bank_mask:0xe
	v_cmp_lt_i64_e32 vcc, v[14:15], v[10:11]
	s_nop 1
	;; [unrolled: 7-line block ×3, first 2 shown]
	v_cndmask_b32_e32 v5, v10, v14, vcc
	ds_bpermute_b32 v12, v2, v5
	s_waitcnt lgkmcnt(0)
	v_ashrrev_i32_e32 v13, 31, v12
	v_cmp_le_i64_e32 vcc, s[10:11], v[12:13]
	s_or_b64 s[14:15], vcc, s[14:15]
	v_mov_b32_e32 v5, v12
	s_andn2_b64 exec, exec, s[14:15]
	s_cbranch_execz .LBB19_25
.LBB19_10:                              ; =>This Loop Header: Depth=1
                                        ;     Child Loop BB19_13 Depth 2
	v_add_u32_e32 v14, v1, v6
	v_cmp_lt_i32_e32 vcc, v14, v3
	v_mov_b64_e32 v[10:11], s[10:11]
	v_mov_b32_e32 v1, v3
	ds_write_b8 v22, v0 offset:1024
	ds_write_b32 v24, v0
	s_waitcnt lgkmcnt(0)
	s_and_saveexec_b64 s[18:19], vcc
	s_cbranch_execz .LBB19_22
; %bb.11:                               ;   in Loop: Header=BB19_10 Depth=1
	v_mad_u64_u32 v[16:17], s[0:1], v12, s6, 0
	s_mov_b64 s[20:21], 0
	v_mov_b64_e32 v[10:11], s[10:11]
	v_mov_b32_e32 v17, v3
	s_branch .LBB19_13
.LBB19_12:                              ;   in Loop: Header=BB19_13 Depth=2
	s_or_b64 exec, exec, s[0:1]
	v_add_u32_e32 v14, 4, v14
	v_cmp_ge_i32_e64 s[0:1], v14, v3
	s_xor_b64 s[22:23], vcc, -1
	s_or_b64 s[0:1], s[22:23], s[0:1]
	s_and_b64 s[0:1], exec, s[0:1]
	s_or_b64 s[20:21], s[0:1], s[20:21]
	v_mov_b32_e32 v17, v1
	s_andn2_b64 exec, exec, s[20:21]
	s_cbranch_execz .LBB19_21
.LBB19_13:                              ;   Parent Loop BB19_10 Depth=1
                                        ; =>  This Inner Loop Header: Depth=2
	v_ashrrev_i32_e32 v15, 31, v14
	v_lshl_add_u64 v[18:19], v[14:15], 3, s[8:9]
	global_load_dwordx2 v[18:19], v[18:19], off
	v_mov_b32_e32 v1, s28
                                        ; implicit-def: $vgpr20_vgpr21
	s_waitcnt vmcnt(0)
	v_subrev_co_u32_e32 v18, vcc, s26, v18
	s_nop 1
	v_subb_co_u32_e32 v19, vcc, v19, v1, vcc
	v_or_b32_e32 v1, s7, v19
	v_cmp_ne_u64_e32 vcc, 0, v[0:1]
	s_and_saveexec_b64 s[0:1], vcc
	s_xor_b64 s[22:23], exec, s[0:1]
	s_cbranch_execz .LBB19_15
; %bb.14:                               ;   in Loop: Header=BB19_13 Depth=2
	s_add_u32 s0, s6, s16
	s_mov_b32 s17, s16
	s_addc_u32 s1, s7, s16
	s_xor_b64 s[24:25], s[0:1], s[16:17]
	v_cvt_f32_u32_e32 v1, s24
	v_cvt_f32_u32_e32 v20, s25
	s_sub_u32 s0, 0, s24
	s_subb_u32 s1, 0, s25
	v_mov_b32_e32 v27, v0
	v_fmac_f32_e32 v1, 0x4f800000, v20
	v_rcp_f32_e32 v1, v1
	s_nop 0
	v_mul_f32_e32 v1, 0x5f7ffffc, v1
	v_mul_f32_e32 v20, 0x2f800000, v1
	v_trunc_f32_e32 v20, v20
	v_fmac_f32_e32 v1, 0xcf800000, v20
	v_cvt_u32_f32_e32 v28, v20
	v_cvt_u32_f32_e32 v1, v1
	v_mul_lo_u32 v20, s0, v28
	v_mul_hi_u32 v26, s0, v1
	v_mul_lo_u32 v21, s1, v1
	v_add_u32_e32 v20, v26, v20
	v_mul_lo_u32 v29, s0, v1
	v_add_u32_e32 v30, v20, v21
	v_mul_hi_u32 v21, v1, v30
	v_mul_lo_u32 v20, v1, v30
	v_mul_hi_u32 v26, v1, v29
	v_lshl_add_u64 v[20:21], v[26:27], 0, v[20:21]
	v_mul_hi_u32 v27, v28, v29
	v_mul_lo_u32 v29, v28, v29
	v_add_co_u32_e32 v20, vcc, v20, v29
	v_mul_hi_u32 v26, v28, v30
	s_nop 0
	v_addc_co_u32_e32 v20, vcc, v21, v27, vcc
	v_mov_b32_e32 v21, v0
	s_nop 0
	v_addc_co_u32_e32 v27, vcc, 0, v26, vcc
	v_mul_lo_u32 v26, v28, v30
	v_lshl_add_u64 v[20:21], v[20:21], 0, v[26:27]
	v_add_co_u32_e32 v1, vcc, v1, v20
	v_mul_lo_u32 v26, s0, v1
	s_nop 0
	v_addc_co_u32_e32 v28, vcc, v28, v21, vcc
	v_mul_lo_u32 v20, s0, v28
	v_mul_hi_u32 v21, s0, v1
	v_add_u32_e32 v20, v21, v20
	v_mul_lo_u32 v21, s1, v1
	v_add_u32_e32 v29, v20, v21
	v_mul_hi_u32 v31, v28, v26
	v_mul_lo_u32 v32, v28, v26
	v_mul_hi_u32 v21, v1, v29
	v_mul_lo_u32 v20, v1, v29
	v_mul_hi_u32 v26, v1, v26
	v_mov_b32_e32 v27, v0
	v_lshl_add_u64 v[20:21], v[26:27], 0, v[20:21]
	v_add_co_u32_e32 v20, vcc, v20, v32
	v_mul_hi_u32 v30, v28, v29
	s_nop 0
	v_addc_co_u32_e32 v20, vcc, v21, v31, vcc
	v_mul_lo_u32 v26, v28, v29
	s_nop 0
	v_addc_co_u32_e32 v27, vcc, 0, v30, vcc
	v_mov_b32_e32 v21, v0
	v_lshl_add_u64 v[20:21], v[20:21], 0, v[26:27]
	v_add_co_u32_e32 v1, vcc, v1, v20
	v_ashrrev_i32_e32 v20, 31, v19
	s_nop 0
	v_addc_co_u32_e32 v30, vcc, v28, v21, vcc
	v_mov_b32_e32 v21, v20
	v_lshl_add_u64 v[26:27], v[18:19], 0, v[20:21]
	v_xor_b32_e32 v21, v26, v20
	v_xor_b32_e32 v19, v27, v20
	v_mad_u64_u32 v[26:27], s[0:1], v21, v30, 0
	v_mul_hi_u32 v28, v21, v1
	v_mov_b32_e32 v29, v0
	v_lshl_add_u64 v[26:27], v[28:29], 0, v[26:27]
	v_mad_u64_u32 v[28:29], s[0:1], v19, v30, 0
	v_mad_u64_u32 v[30:31], s[0:1], v19, v1, 0
	v_add_co_u32_e32 v1, vcc, v26, v30
	s_nop 1
	v_addc_co_u32_e32 v26, vcc, v27, v31, vcc
	v_mov_b32_e32 v27, v0
	s_nop 0
	v_addc_co_u32_e32 v29, vcc, 0, v29, vcc
	v_lshl_add_u64 v[26:27], v[26:27], 0, v[28:29]
	v_mul_lo_u32 v1, s25, v26
	v_mul_lo_u32 v30, s24, v27
	v_mad_u64_u32 v[28:29], s[0:1], s24, v26, 0
	v_add3_u32 v1, v29, v30, v1
	v_sub_u32_e32 v29, v19, v1
	v_mov_b32_e32 v30, s25
	v_sub_co_u32_e32 v21, vcc, v21, v28
	s_nop 1
	v_subb_co_u32_e64 v28, s[0:1], v29, v30, vcc
	v_subrev_co_u32_e64 v29, s[0:1], s24, v21
	v_subb_co_u32_e32 v1, vcc, v19, v1, vcc
	s_nop 0
	v_subbrev_co_u32_e64 v28, s[0:1], 0, v28, s[0:1]
	v_cmp_le_u32_e64 s[0:1], s25, v28
	v_cmp_le_u32_e32 vcc, s25, v1
	s_nop 0
	v_cndmask_b32_e64 v30, 0, -1, s[0:1]
	v_cmp_le_u32_e64 s[0:1], s24, v29
	v_cndmask_b32_e64 v19, 0, -1, vcc
	v_cmp_le_u32_e32 vcc, s24, v21
	v_cndmask_b32_e64 v29, 0, -1, s[0:1]
	v_cmp_eq_u32_e64 s[0:1], s25, v28
	v_cndmask_b32_e64 v21, 0, -1, vcc
	v_cmp_eq_u32_e32 vcc, s25, v1
	v_cndmask_b32_e64 v32, v30, v29, s[0:1]
	v_lshl_add_u64 v[28:29], v[26:27], 0, 2
	v_lshl_add_u64 v[30:31], v[26:27], 0, 1
	v_cmp_ne_u32_e64 s[0:1], 0, v32
	v_cndmask_b32_e32 v1, v19, v21, vcc
	v_cmp_ne_u32_e32 vcc, 0, v1
	v_cndmask_b32_e64 v19, v30, v28, s[0:1]
	v_cndmask_b32_e64 v29, v31, v29, s[0:1]
	v_cndmask_b32_e32 v19, v26, v19, vcc
	v_xor_b32_e32 v21, s16, v20
	v_cndmask_b32_e32 v1, v27, v29, vcc
	v_xor_b32_e32 v19, v19, v21
	v_xor_b32_e32 v1, v1, v21
	v_sub_co_u32_e32 v20, vcc, v19, v21
	s_nop 1
	v_subb_co_u32_e32 v21, vcc, v1, v21, vcc
.LBB19_15:                              ;   in Loop: Header=BB19_13 Depth=2
	s_andn2_saveexec_b64 s[0:1], s[22:23]
	s_cbranch_execz .LBB19_17
; %bb.16:                               ;   in Loop: Header=BB19_13 Depth=2
	v_cvt_f32_u32_e32 v1, s6
	s_sub_i32 s17, 0, s6
	v_rcp_iflag_f32_e32 v1, v1
	s_nop 0
	v_mul_f32_e32 v1, 0x4f7ffffe, v1
	v_cvt_u32_f32_e32 v1, v1
	v_mul_lo_u32 v19, s17, v1
	v_mul_hi_u32 v19, v1, v19
	v_add_u32_e32 v1, v1, v19
	v_mul_hi_u32 v1, v18, v1
	v_mul_lo_u32 v19, v1, s6
	v_sub_u32_e32 v19, v18, v19
	v_add_u32_e32 v20, 1, v1
	v_subrev_u32_e32 v21, s6, v19
	v_cmp_le_u32_e32 vcc, s6, v19
	s_nop 1
	v_cndmask_b32_e32 v19, v19, v21, vcc
	v_cndmask_b32_e32 v1, v1, v20, vcc
	v_add_u32_e32 v20, 1, v1
	v_cmp_le_u32_e32 vcc, s6, v19
	v_mov_b32_e32 v21, v0
	s_nop 0
	v_cndmask_b32_e32 v20, v1, v20, vcc
.LBB19_17:                              ;   in Loop: Header=BB19_13 Depth=2
	s_or_b64 exec, exec, s[0:1]
	v_cmp_eq_u64_e32 vcc, v[20:21], v[12:13]
	v_cmp_ne_u64_e64 s[0:1], v[20:21], v[12:13]
	s_and_saveexec_b64 s[22:23], s[0:1]
	s_xor_b64 s[22:23], exec, s[22:23]
; %bb.18:                               ;   in Loop: Header=BB19_13 Depth=2
	v_cmp_lt_i64_e64 s[0:1], v[20:21], v[10:11]
                                        ; implicit-def: $vgpr18_vgpr19
                                        ; implicit-def: $vgpr17
	s_nop 1
	v_cndmask_b32_e64 v11, v11, v21, s[0:1]
	v_cndmask_b32_e64 v10, v10, v20, s[0:1]
; %bb.19:                               ;   in Loop: Header=BB19_13 Depth=2
	s_or_saveexec_b64 s[0:1], s[22:23]
	v_mov_b32_e32 v1, v14
	s_xor_b64 exec, exec, s[0:1]
	s_cbranch_execz .LBB19_12
; %bb.20:                               ;   in Loop: Header=BB19_13 Depth=2
	v_lshl_add_u64 v[20:21], v[14:15], 2, s[12:13]
	global_load_dword v1, v[20:21], off
	v_sub_u32_e32 v15, v18, v16
	v_add_lshl_u32 v15, v23, v15, 2
	ds_write_b8 v22, v7 offset:1024
	s_waitcnt vmcnt(0)
	ds_write_b32 v15, v1
	v_mov_b32_e32 v1, v17
	s_branch .LBB19_12
.LBB19_21:                              ;   in Loop: Header=BB19_10 Depth=1
	s_or_b64 exec, exec, s[20:21]
.LBB19_22:                              ;   in Loop: Header=BB19_10 Depth=1
	s_or_b64 exec, exec, s[18:19]
	v_mov_b32_dpp v12, v1 row_shr:1 row_mask:0xf bank_mask:0xf
	v_min_i32_e32 v1, v12, v1
	s_waitcnt lgkmcnt(0)
	ds_read_u8 v12, v22 offset:1024
	v_mov_b32_dpp v13, v1 row_shr:2 row_mask:0xf bank_mask:0xf
	v_min_i32_e32 v1, v13, v1
	ds_bpermute_b32 v1, v25, v1
	v_mov_b32_e32 v13, 0
	s_waitcnt lgkmcnt(1)
	v_and_b32_e32 v12, 1, v12
	v_cmp_eq_u32_e32 vcc, 1, v12
	s_and_saveexec_b64 s[0:1], vcc
	s_cbranch_execz .LBB19_9
; %bb.23:                               ;   in Loop: Header=BB19_10 Depth=1
	v_add_u32_e32 v12, s27, v5
	v_ashrrev_i32_e32 v5, 31, v4
	v_ashrrev_i32_e32 v13, 31, v12
	v_lshl_add_u64 v[14:15], v[4:5], 3, s[2:3]
	global_store_dwordx2 v[14:15], v[12:13], off
	s_and_saveexec_b64 s[18:19], s[4:5]
	s_cbranch_execz .LBB19_8
; %bb.24:                               ;   in Loop: Header=BB19_10 Depth=1
	ds_read_b32 v14, v24
	v_mul_lo_u32 v15, s29, v4
	v_mul_lo_u32 v5, s30, v5
	v_mad_u64_u32 v[12:13], s[20:21], s30, v4, 0
	v_add3_u32 v13, v13, v5, v15
	v_lshl_add_u64 v[12:13], v[12:13], 2, v[8:9]
	s_waitcnt lgkmcnt(0)
	global_store_dword v[12:13], v14, off
	s_branch .LBB19_8
.LBB19_25:
	s_endpgm
	.section	.rodata,"a",@progbits
	.p2align	6, 0x0
	.amdhsa_kernel _ZN9rocsparseL42csr2bsr_wavefront_per_row_multipass_kernelILj256ELj16ELj4EiilEEv20rocsparse_direction_T4_S2_S2_S2_S2_21rocsparse_index_base_PKT2_PKT3_PKS2_S3_PS4_PS7_PS2_
		.amdhsa_group_segment_fixed_size 1040
		.amdhsa_private_segment_fixed_size 0
		.amdhsa_kernarg_size 112
		.amdhsa_user_sgpr_count 2
		.amdhsa_user_sgpr_dispatch_ptr 0
		.amdhsa_user_sgpr_queue_ptr 0
		.amdhsa_user_sgpr_kernarg_segment_ptr 1
		.amdhsa_user_sgpr_dispatch_id 0
		.amdhsa_user_sgpr_kernarg_preload_length 0
		.amdhsa_user_sgpr_kernarg_preload_offset 0
		.amdhsa_user_sgpr_private_segment_size 0
		.amdhsa_uses_dynamic_stack 0
		.amdhsa_enable_private_segment 0
		.amdhsa_system_sgpr_workgroup_id_x 1
		.amdhsa_system_sgpr_workgroup_id_y 0
		.amdhsa_system_sgpr_workgroup_id_z 0
		.amdhsa_system_sgpr_workgroup_info 0
		.amdhsa_system_vgpr_workitem_id 0
		.amdhsa_next_free_vgpr 33
		.amdhsa_next_free_sgpr 31
		.amdhsa_accum_offset 36
		.amdhsa_reserve_vcc 1
		.amdhsa_float_round_mode_32 0
		.amdhsa_float_round_mode_16_64 0
		.amdhsa_float_denorm_mode_32 3
		.amdhsa_float_denorm_mode_16_64 3
		.amdhsa_dx10_clamp 1
		.amdhsa_ieee_mode 1
		.amdhsa_fp16_overflow 0
		.amdhsa_tg_split 0
		.amdhsa_exception_fp_ieee_invalid_op 0
		.amdhsa_exception_fp_denorm_src 0
		.amdhsa_exception_fp_ieee_div_zero 0
		.amdhsa_exception_fp_ieee_overflow 0
		.amdhsa_exception_fp_ieee_underflow 0
		.amdhsa_exception_fp_ieee_inexact 0
		.amdhsa_exception_int_div_zero 0
	.end_amdhsa_kernel
	.section	.text._ZN9rocsparseL42csr2bsr_wavefront_per_row_multipass_kernelILj256ELj16ELj4EiilEEv20rocsparse_direction_T4_S2_S2_S2_S2_21rocsparse_index_base_PKT2_PKT3_PKS2_S3_PS4_PS7_PS2_,"axG",@progbits,_ZN9rocsparseL42csr2bsr_wavefront_per_row_multipass_kernelILj256ELj16ELj4EiilEEv20rocsparse_direction_T4_S2_S2_S2_S2_21rocsparse_index_base_PKT2_PKT3_PKS2_S3_PS4_PS7_PS2_,comdat
.Lfunc_end19:
	.size	_ZN9rocsparseL42csr2bsr_wavefront_per_row_multipass_kernelILj256ELj16ELj4EiilEEv20rocsparse_direction_T4_S2_S2_S2_S2_21rocsparse_index_base_PKT2_PKT3_PKS2_S3_PS4_PS7_PS2_, .Lfunc_end19-_ZN9rocsparseL42csr2bsr_wavefront_per_row_multipass_kernelILj256ELj16ELj4EiilEEv20rocsparse_direction_T4_S2_S2_S2_S2_21rocsparse_index_base_PKT2_PKT3_PKS2_S3_PS4_PS7_PS2_
                                        ; -- End function
	.section	.AMDGPU.csdata,"",@progbits
; Kernel info:
; codeLenInByte = 2076
; NumSgprs: 37
; NumVgprs: 33
; NumAgprs: 0
; TotalNumVgprs: 33
; ScratchSize: 0
; MemoryBound: 0
; FloatMode: 240
; IeeeMode: 1
; LDSByteSize: 1040 bytes/workgroup (compile time only)
; SGPRBlocks: 4
; VGPRBlocks: 4
; NumSGPRsForWavesPerEU: 37
; NumVGPRsForWavesPerEU: 33
; AccumOffset: 36
; Occupancy: 8
; WaveLimiterHint : 0
; COMPUTE_PGM_RSRC2:SCRATCH_EN: 0
; COMPUTE_PGM_RSRC2:USER_SGPR: 2
; COMPUTE_PGM_RSRC2:TRAP_HANDLER: 0
; COMPUTE_PGM_RSRC2:TGID_X_EN: 1
; COMPUTE_PGM_RSRC2:TGID_Y_EN: 0
; COMPUTE_PGM_RSRC2:TGID_Z_EN: 0
; COMPUTE_PGM_RSRC2:TIDIG_COMP_CNT: 0
; COMPUTE_PGM_RSRC3_GFX90A:ACCUM_OFFSET: 8
; COMPUTE_PGM_RSRC3_GFX90A:TG_SPLIT: 0
	.section	.text._ZN9rocsparseL42csr2bsr_wavefront_per_row_multipass_kernelILj256ELj64ELj8EiilEEv20rocsparse_direction_T4_S2_S2_S2_S2_21rocsparse_index_base_PKT2_PKT3_PKS2_S3_PS4_PS7_PS2_,"axG",@progbits,_ZN9rocsparseL42csr2bsr_wavefront_per_row_multipass_kernelILj256ELj64ELj8EiilEEv20rocsparse_direction_T4_S2_S2_S2_S2_21rocsparse_index_base_PKT2_PKT3_PKS2_S3_PS4_PS7_PS2_,comdat
	.globl	_ZN9rocsparseL42csr2bsr_wavefront_per_row_multipass_kernelILj256ELj64ELj8EiilEEv20rocsparse_direction_T4_S2_S2_S2_S2_21rocsparse_index_base_PKT2_PKT3_PKS2_S3_PS4_PS7_PS2_ ; -- Begin function _ZN9rocsparseL42csr2bsr_wavefront_per_row_multipass_kernelILj256ELj64ELj8EiilEEv20rocsparse_direction_T4_S2_S2_S2_S2_21rocsparse_index_base_PKT2_PKT3_PKS2_S3_PS4_PS7_PS2_
	.p2align	8
	.type	_ZN9rocsparseL42csr2bsr_wavefront_per_row_multipass_kernelILj256ELj64ELj8EiilEEv20rocsparse_direction_T4_S2_S2_S2_S2_21rocsparse_index_base_PKT2_PKT3_PKS2_S3_PS4_PS7_PS2_,@function
_ZN9rocsparseL42csr2bsr_wavefront_per_row_multipass_kernelILj256ELj64ELj8EiilEEv20rocsparse_direction_T4_S2_S2_S2_S2_21rocsparse_index_base_PKT2_PKT3_PKS2_S3_PS4_PS7_PS2_: ; @_ZN9rocsparseL42csr2bsr_wavefront_per_row_multipass_kernelILj256ELj64ELj8EiilEEv20rocsparse_direction_T4_S2_S2_S2_S2_21rocsparse_index_base_PKT2_PKT3_PKS2_S3_PS4_PS7_PS2_
; %bb.0:
	s_load_dwordx2 s[4:5], s[0:1], 0x8
	s_load_dwordx4 s[8:11], s[0:1], 0x18
	s_load_dwordx2 s[6:7], s[0:1], 0x28
	s_load_dword s26, s[0:1], 0x30
	s_load_dwordx2 s[12:13], s[0:1], 0x40
	s_ashr_i32 s3, s2, 31
	v_lshrrev_b32_e32 v22, 6, v0
	s_lshl_b64 s[14:15], s[2:3], 2
	v_bfe_u32 v2, v0, 3, 3
	v_mov_b32_e32 v3, 0
	v_or_b32_e32 v1, s14, v22
	s_waitcnt lgkmcnt(0)
	v_mul_lo_u32 v6, v1, s7
	v_mad_u64_u32 v[4:5], s[16:17], v1, s6, v[2:3]
	s_mul_i32 s3, s15, s6
	v_add3_u32 v5, s3, v5, v6
	v_cmp_gt_i64_e32 vcc, s[4:5], v[4:5]
	v_cmp_gt_i64_e64 s[4:5], s[6:7], v[2:3]
	s_and_b64 s[14:15], s[4:5], vcc
	v_mov_b32_e32 v1, v3
	s_and_saveexec_b64 s[16:17], s[14:15]
	s_cbranch_execz .LBB20_2
; %bb.1:
	v_lshl_add_u64 v[6:7], v[4:5], 2, s[12:13]
	global_load_dword v1, v[6:7], off
	s_waitcnt vmcnt(0)
	v_subrev_u32_e32 v1, s26, v1
.LBB20_2:
	s_or_b64 exec, exec, s[16:17]
	s_and_saveexec_b64 s[16:17], s[14:15]
	s_cbranch_execz .LBB20_4
; %bb.3:
	v_lshl_add_u64 v[4:5], v[4:5], 2, s[12:13]
	global_load_dword v3, v[4:5], off offset:4
	s_waitcnt vmcnt(0)
	v_subrev_u32_e32 v3, s26, v3
.LBB20_4:
	s_or_b64 exec, exec, s[16:17]
	s_load_dword s27, s[0:1], 0x50
	v_lshl_or_b32 v6, s2, 2, v22
	v_mov_b32_e32 v7, 0
	v_cmp_gt_i64_e32 vcc, s[8:9], v[6:7]
	v_mov_b32_e32 v4, v7
	s_and_saveexec_b64 s[2:3], vcc
	s_cbranch_execz .LBB20_6
; %bb.5:
	s_load_dwordx2 s[8:9], s[0:1], 0x60
	s_waitcnt lgkmcnt(0)
	v_lshl_add_u64 v[4:5], v[6:7], 2, s[8:9]
	global_load_dword v4, v[4:5], off
	s_waitcnt vmcnt(0)
	v_subrev_u32_e32 v4, s27, v4
.LBB20_6:
	s_or_b64 exec, exec, s[2:3]
	v_cmp_lt_i64_e64 s[2:3], s[10:11], 1
	s_and_b64 vcc, exec, s[2:3]
	s_cbranch_vccnz .LBB20_25
; %bb.7:
	v_and_b32_e32 v6, 7, v0
	s_load_dwordx2 s[2:3], s[0:1], 0x68
	s_load_dwordx2 s[14:15], s[0:1], 0x58
	;; [unrolled: 1-line block ×4, first 2 shown]
	s_load_dword s16, s[0:1], 0x0
	v_and_b32_e32 v0, 0x3c0, v0
	v_mad_u64_u32 v[8:9], s[0:1], v6, s6, 0
	v_lshl_or_b32 v23, v2, 3, v0
	v_mov_b32_e32 v10, v9
	v_or_b32_e32 v0, v23, v6
	v_mad_u64_u32 v[10:11], s[0:1], v6, s7, v[10:11]
	v_lshlrev_b32_e32 v24, 2, v0
	v_mov_b32_e32 v0, 0
	v_mov_b32_e32 v9, v10
	s_waitcnt lgkmcnt(0)
	v_lshl_add_u64 v[8:9], v[8:9], 2, s[14:15]
	v_lshlrev_b32_e32 v10, 2, v2
	v_mov_b32_e32 v11, v0
	v_lshl_add_u64 v[8:9], v[8:9], 0, v[10:11]
	v_mad_u64_u32 v[10:11], s[0:1], v2, s6, 0
	v_mov_b32_e32 v12, v11
	v_mad_u64_u32 v[12:13], s[0:1], v2, s7, v[12:13]
	v_mbcnt_lo_u32_b32 v5, -1, 0
	v_mov_b32_e32 v11, v12
	v_mbcnt_hi_u32_b32 v5, -1, v5
	v_mov_b32_e32 v7, v0
	s_cmp_eq_u32 s16, 0
	s_mul_i32 s16, s6, s7
	s_mul_hi_u32 s17, s6, s6
	v_lshl_add_u64 v[10:11], v[10:11], 2, s[14:15]
	v_lshlrev_b32_e32 v12, 2, v6
	v_mov_b32_e32 v13, v0
	v_lshlrev_b32_e32 v5, 2, v5
	v_cmp_gt_u64_e32 vcc, s[6:7], v[6:7]
	v_lshl_add_u64 v[10:11], v[10:11], 0, v[12:13]
	s_cselect_b64 s[0:1], -1, 0
	s_add_i32 s14, s17, s16
	s_mov_b32 s28, 0
	v_or_b32_e32 v25, 28, v5
	s_add_i32 s29, s14, s16
	s_mul_i32 s30, s6, s6
	v_or_b32_e32 v2, 0xfc, v5
	s_and_b64 s[4:5], s[4:5], vcc
	v_cndmask_b32_e64 v9, v9, v11, s[0:1]
	v_cndmask_b32_e64 v8, v8, v10, s[0:1]
	s_mov_b64 s[14:15], 0
	v_mov_b64_e32 v[12:13], 0
	s_ashr_i32 s16, s7, 31
	v_mov_b32_e32 v7, 1
	v_mov_b32_e32 v5, 0
	s_branch .LBB20_10
.LBB20_8:                               ;   in Loop: Header=BB20_10 Depth=1
	s_or_b64 exec, exec, s[18:19]
	v_mov_b32_e32 v13, 1
.LBB20_9:                               ;   in Loop: Header=BB20_10 Depth=1
	s_or_b64 exec, exec, s[0:1]
	v_mov_b32_dpp v14, v10 row_shr:1 row_mask:0xf bank_mask:0xf
	v_mov_b32_dpp v15, v11 row_shr:1 row_mask:0xf bank_mask:0xf
	v_cmp_lt_i64_e32 vcc, v[14:15], v[10:11]
	v_add_u32_e32 v4, v13, v4
	s_waitcnt lgkmcnt(0)
	v_cndmask_b32_e32 v11, v11, v15, vcc
	v_cndmask_b32_e32 v10, v10, v14, vcc
	s_nop 0
	v_mov_b32_dpp v15, v11 row_shr:2 row_mask:0xf bank_mask:0xf
	v_mov_b32_dpp v14, v10 row_shr:2 row_mask:0xf bank_mask:0xf
	v_cmp_lt_i64_e32 vcc, v[14:15], v[10:11]
	s_nop 1
	v_cndmask_b32_e32 v11, v11, v15, vcc
	v_cndmask_b32_e32 v10, v10, v14, vcc
	s_nop 0
	v_mov_b32_dpp v15, v11 row_shr:4 row_mask:0xf bank_mask:0xe
	v_mov_b32_dpp v14, v10 row_shr:4 row_mask:0xf bank_mask:0xe
	v_cmp_lt_i64_e32 vcc, v[14:15], v[10:11]
	s_nop 1
	;; [unrolled: 7-line block ×3, first 2 shown]
	v_cndmask_b32_e32 v11, v11, v15, vcc
	v_cndmask_b32_e32 v10, v10, v14, vcc
	s_nop 0
	v_mov_b32_dpp v15, v11 row_bcast:15 row_mask:0xa bank_mask:0xf
	v_mov_b32_dpp v14, v10 row_bcast:15 row_mask:0xa bank_mask:0xf
	v_cmp_lt_i64_e32 vcc, v[14:15], v[10:11]
	s_nop 1
	v_cndmask_b32_e32 v11, v11, v15, vcc
	v_cndmask_b32_e32 v10, v10, v14, vcc
	s_nop 0
	v_mov_b32_dpp v15, v11 row_bcast:31 row_mask:0xc bank_mask:0xf
	v_mov_b32_dpp v14, v10 row_bcast:31 row_mask:0xc bank_mask:0xf
	v_cmp_lt_i64_e32 vcc, v[14:15], v[10:11]
	s_nop 1
	v_cndmask_b32_e32 v5, v10, v14, vcc
	ds_bpermute_b32 v12, v2, v5
	s_waitcnt lgkmcnt(0)
	v_ashrrev_i32_e32 v13, 31, v12
	v_cmp_le_i64_e32 vcc, s[10:11], v[12:13]
	s_or_b64 s[14:15], vcc, s[14:15]
	v_mov_b32_e32 v5, v12
	s_andn2_b64 exec, exec, s[14:15]
	s_cbranch_execz .LBB20_25
.LBB20_10:                              ; =>This Loop Header: Depth=1
                                        ;     Child Loop BB20_13 Depth 2
	v_add_u32_e32 v14, v1, v6
	v_cmp_lt_i32_e32 vcc, v14, v3
	v_mov_b64_e32 v[10:11], s[10:11]
	v_mov_b32_e32 v1, v3
	ds_write_b8 v22, v0 offset:1024
	ds_write_b32 v24, v0
	s_waitcnt lgkmcnt(0)
	s_and_saveexec_b64 s[18:19], vcc
	s_cbranch_execz .LBB20_22
; %bb.11:                               ;   in Loop: Header=BB20_10 Depth=1
	v_mad_u64_u32 v[16:17], s[0:1], v12, s6, 0
	s_mov_b64 s[20:21], 0
	v_mov_b64_e32 v[10:11], s[10:11]
	v_mov_b32_e32 v17, v3
	s_branch .LBB20_13
.LBB20_12:                              ;   in Loop: Header=BB20_13 Depth=2
	s_or_b64 exec, exec, s[0:1]
	v_add_u32_e32 v14, 8, v14
	v_cmp_ge_i32_e64 s[0:1], v14, v3
	s_xor_b64 s[22:23], vcc, -1
	s_or_b64 s[0:1], s[22:23], s[0:1]
	s_and_b64 s[0:1], exec, s[0:1]
	s_or_b64 s[20:21], s[0:1], s[20:21]
	v_mov_b32_e32 v17, v1
	s_andn2_b64 exec, exec, s[20:21]
	s_cbranch_execz .LBB20_21
.LBB20_13:                              ;   Parent Loop BB20_10 Depth=1
                                        ; =>  This Inner Loop Header: Depth=2
	v_ashrrev_i32_e32 v15, 31, v14
	v_lshl_add_u64 v[18:19], v[14:15], 3, s[8:9]
	global_load_dwordx2 v[18:19], v[18:19], off
	v_mov_b32_e32 v1, s28
                                        ; implicit-def: $vgpr20_vgpr21
	s_waitcnt vmcnt(0)
	v_subrev_co_u32_e32 v18, vcc, s26, v18
	s_nop 1
	v_subb_co_u32_e32 v19, vcc, v19, v1, vcc
	v_or_b32_e32 v1, s7, v19
	v_cmp_ne_u64_e32 vcc, 0, v[0:1]
	s_and_saveexec_b64 s[0:1], vcc
	s_xor_b64 s[22:23], exec, s[0:1]
	s_cbranch_execz .LBB20_15
; %bb.14:                               ;   in Loop: Header=BB20_13 Depth=2
	s_add_u32 s0, s6, s16
	s_mov_b32 s17, s16
	s_addc_u32 s1, s7, s16
	s_xor_b64 s[24:25], s[0:1], s[16:17]
	v_cvt_f32_u32_e32 v1, s24
	v_cvt_f32_u32_e32 v20, s25
	s_sub_u32 s0, 0, s24
	s_subb_u32 s1, 0, s25
	v_mov_b32_e32 v27, v0
	v_fmac_f32_e32 v1, 0x4f800000, v20
	v_rcp_f32_e32 v1, v1
	s_nop 0
	v_mul_f32_e32 v1, 0x5f7ffffc, v1
	v_mul_f32_e32 v20, 0x2f800000, v1
	v_trunc_f32_e32 v20, v20
	v_fmac_f32_e32 v1, 0xcf800000, v20
	v_cvt_u32_f32_e32 v28, v20
	v_cvt_u32_f32_e32 v1, v1
	v_mul_lo_u32 v20, s0, v28
	v_mul_hi_u32 v26, s0, v1
	v_mul_lo_u32 v21, s1, v1
	v_add_u32_e32 v20, v26, v20
	v_mul_lo_u32 v29, s0, v1
	v_add_u32_e32 v30, v20, v21
	v_mul_hi_u32 v21, v1, v30
	v_mul_lo_u32 v20, v1, v30
	v_mul_hi_u32 v26, v1, v29
	v_lshl_add_u64 v[20:21], v[26:27], 0, v[20:21]
	v_mul_hi_u32 v27, v28, v29
	v_mul_lo_u32 v29, v28, v29
	v_add_co_u32_e32 v20, vcc, v20, v29
	v_mul_hi_u32 v26, v28, v30
	s_nop 0
	v_addc_co_u32_e32 v20, vcc, v21, v27, vcc
	v_mov_b32_e32 v21, v0
	s_nop 0
	v_addc_co_u32_e32 v27, vcc, 0, v26, vcc
	v_mul_lo_u32 v26, v28, v30
	v_lshl_add_u64 v[20:21], v[20:21], 0, v[26:27]
	v_add_co_u32_e32 v1, vcc, v1, v20
	v_mul_lo_u32 v26, s0, v1
	s_nop 0
	v_addc_co_u32_e32 v28, vcc, v28, v21, vcc
	v_mul_lo_u32 v20, s0, v28
	v_mul_hi_u32 v21, s0, v1
	v_add_u32_e32 v20, v21, v20
	v_mul_lo_u32 v21, s1, v1
	v_add_u32_e32 v29, v20, v21
	v_mul_hi_u32 v31, v28, v26
	v_mul_lo_u32 v32, v28, v26
	v_mul_hi_u32 v21, v1, v29
	v_mul_lo_u32 v20, v1, v29
	v_mul_hi_u32 v26, v1, v26
	v_mov_b32_e32 v27, v0
	v_lshl_add_u64 v[20:21], v[26:27], 0, v[20:21]
	v_add_co_u32_e32 v20, vcc, v20, v32
	v_mul_hi_u32 v30, v28, v29
	s_nop 0
	v_addc_co_u32_e32 v20, vcc, v21, v31, vcc
	v_mul_lo_u32 v26, v28, v29
	s_nop 0
	v_addc_co_u32_e32 v27, vcc, 0, v30, vcc
	v_mov_b32_e32 v21, v0
	v_lshl_add_u64 v[20:21], v[20:21], 0, v[26:27]
	v_add_co_u32_e32 v1, vcc, v1, v20
	v_ashrrev_i32_e32 v20, 31, v19
	s_nop 0
	v_addc_co_u32_e32 v30, vcc, v28, v21, vcc
	v_mov_b32_e32 v21, v20
	v_lshl_add_u64 v[26:27], v[18:19], 0, v[20:21]
	v_xor_b32_e32 v21, v26, v20
	v_xor_b32_e32 v19, v27, v20
	v_mad_u64_u32 v[26:27], s[0:1], v21, v30, 0
	v_mul_hi_u32 v28, v21, v1
	v_mov_b32_e32 v29, v0
	v_lshl_add_u64 v[26:27], v[28:29], 0, v[26:27]
	v_mad_u64_u32 v[28:29], s[0:1], v19, v30, 0
	v_mad_u64_u32 v[30:31], s[0:1], v19, v1, 0
	v_add_co_u32_e32 v1, vcc, v26, v30
	s_nop 1
	v_addc_co_u32_e32 v26, vcc, v27, v31, vcc
	v_mov_b32_e32 v27, v0
	s_nop 0
	v_addc_co_u32_e32 v29, vcc, 0, v29, vcc
	v_lshl_add_u64 v[26:27], v[26:27], 0, v[28:29]
	v_mul_lo_u32 v1, s25, v26
	v_mul_lo_u32 v30, s24, v27
	v_mad_u64_u32 v[28:29], s[0:1], s24, v26, 0
	v_add3_u32 v1, v29, v30, v1
	v_sub_u32_e32 v29, v19, v1
	v_mov_b32_e32 v30, s25
	v_sub_co_u32_e32 v21, vcc, v21, v28
	s_nop 1
	v_subb_co_u32_e64 v28, s[0:1], v29, v30, vcc
	v_subrev_co_u32_e64 v29, s[0:1], s24, v21
	v_subb_co_u32_e32 v1, vcc, v19, v1, vcc
	s_nop 0
	v_subbrev_co_u32_e64 v28, s[0:1], 0, v28, s[0:1]
	v_cmp_le_u32_e64 s[0:1], s25, v28
	v_cmp_le_u32_e32 vcc, s25, v1
	s_nop 0
	v_cndmask_b32_e64 v30, 0, -1, s[0:1]
	v_cmp_le_u32_e64 s[0:1], s24, v29
	v_cndmask_b32_e64 v19, 0, -1, vcc
	v_cmp_le_u32_e32 vcc, s24, v21
	v_cndmask_b32_e64 v29, 0, -1, s[0:1]
	v_cmp_eq_u32_e64 s[0:1], s25, v28
	v_cndmask_b32_e64 v21, 0, -1, vcc
	v_cmp_eq_u32_e32 vcc, s25, v1
	v_cndmask_b32_e64 v32, v30, v29, s[0:1]
	v_lshl_add_u64 v[28:29], v[26:27], 0, 2
	v_lshl_add_u64 v[30:31], v[26:27], 0, 1
	v_cmp_ne_u32_e64 s[0:1], 0, v32
	v_cndmask_b32_e32 v1, v19, v21, vcc
	v_cmp_ne_u32_e32 vcc, 0, v1
	v_cndmask_b32_e64 v19, v30, v28, s[0:1]
	v_cndmask_b32_e64 v29, v31, v29, s[0:1]
	v_cndmask_b32_e32 v19, v26, v19, vcc
	v_xor_b32_e32 v21, s16, v20
	v_cndmask_b32_e32 v1, v27, v29, vcc
	v_xor_b32_e32 v19, v19, v21
	v_xor_b32_e32 v1, v1, v21
	v_sub_co_u32_e32 v20, vcc, v19, v21
	s_nop 1
	v_subb_co_u32_e32 v21, vcc, v1, v21, vcc
.LBB20_15:                              ;   in Loop: Header=BB20_13 Depth=2
	s_andn2_saveexec_b64 s[0:1], s[22:23]
	s_cbranch_execz .LBB20_17
; %bb.16:                               ;   in Loop: Header=BB20_13 Depth=2
	v_cvt_f32_u32_e32 v1, s6
	s_sub_i32 s17, 0, s6
	v_rcp_iflag_f32_e32 v1, v1
	s_nop 0
	v_mul_f32_e32 v1, 0x4f7ffffe, v1
	v_cvt_u32_f32_e32 v1, v1
	v_mul_lo_u32 v19, s17, v1
	v_mul_hi_u32 v19, v1, v19
	v_add_u32_e32 v1, v1, v19
	v_mul_hi_u32 v1, v18, v1
	v_mul_lo_u32 v19, v1, s6
	v_sub_u32_e32 v19, v18, v19
	v_add_u32_e32 v20, 1, v1
	v_subrev_u32_e32 v21, s6, v19
	v_cmp_le_u32_e32 vcc, s6, v19
	s_nop 1
	v_cndmask_b32_e32 v19, v19, v21, vcc
	v_cndmask_b32_e32 v1, v1, v20, vcc
	v_add_u32_e32 v20, 1, v1
	v_cmp_le_u32_e32 vcc, s6, v19
	v_mov_b32_e32 v21, v0
	s_nop 0
	v_cndmask_b32_e32 v20, v1, v20, vcc
.LBB20_17:                              ;   in Loop: Header=BB20_13 Depth=2
	s_or_b64 exec, exec, s[0:1]
	v_cmp_eq_u64_e32 vcc, v[20:21], v[12:13]
	v_cmp_ne_u64_e64 s[0:1], v[20:21], v[12:13]
	s_and_saveexec_b64 s[22:23], s[0:1]
	s_xor_b64 s[22:23], exec, s[22:23]
; %bb.18:                               ;   in Loop: Header=BB20_13 Depth=2
	v_cmp_lt_i64_e64 s[0:1], v[20:21], v[10:11]
                                        ; implicit-def: $vgpr18_vgpr19
                                        ; implicit-def: $vgpr17
	s_nop 1
	v_cndmask_b32_e64 v11, v11, v21, s[0:1]
	v_cndmask_b32_e64 v10, v10, v20, s[0:1]
; %bb.19:                               ;   in Loop: Header=BB20_13 Depth=2
	s_or_saveexec_b64 s[0:1], s[22:23]
	v_mov_b32_e32 v1, v14
	s_xor_b64 exec, exec, s[0:1]
	s_cbranch_execz .LBB20_12
; %bb.20:                               ;   in Loop: Header=BB20_13 Depth=2
	v_lshl_add_u64 v[20:21], v[14:15], 2, s[12:13]
	global_load_dword v1, v[20:21], off
	v_sub_u32_e32 v15, v18, v16
	v_add_lshl_u32 v15, v23, v15, 2
	ds_write_b8 v22, v7 offset:1024
	s_waitcnt vmcnt(0)
	ds_write_b32 v15, v1
	v_mov_b32_e32 v1, v17
	s_branch .LBB20_12
.LBB20_21:                              ;   in Loop: Header=BB20_10 Depth=1
	s_or_b64 exec, exec, s[20:21]
.LBB20_22:                              ;   in Loop: Header=BB20_10 Depth=1
	s_or_b64 exec, exec, s[18:19]
	v_mov_b32_dpp v12, v1 row_shr:1 row_mask:0xf bank_mask:0xf
	v_min_i32_e32 v1, v12, v1
	s_waitcnt lgkmcnt(0)
	s_nop 0
	v_mov_b32_dpp v12, v1 row_shr:2 row_mask:0xf bank_mask:0xf
	v_min_i32_e32 v1, v12, v1
	ds_read_u8 v12, v22 offset:1024
	s_waitcnt lgkmcnt(0)
	v_and_b32_e32 v12, 1, v12
	v_mov_b32_dpp v13, v1 row_shr:4 row_mask:0xf bank_mask:0xe
	v_min_i32_e32 v1, v13, v1
	ds_bpermute_b32 v1, v25, v1
	v_cmp_eq_u32_e32 vcc, 1, v12
	v_mov_b32_e32 v13, 0
	s_and_saveexec_b64 s[0:1], vcc
	s_cbranch_execz .LBB20_9
; %bb.23:                               ;   in Loop: Header=BB20_10 Depth=1
	v_add_u32_e32 v12, s27, v5
	v_ashrrev_i32_e32 v5, 31, v4
	v_ashrrev_i32_e32 v13, 31, v12
	v_lshl_add_u64 v[14:15], v[4:5], 3, s[2:3]
	global_store_dwordx2 v[14:15], v[12:13], off
	s_and_saveexec_b64 s[18:19], s[4:5]
	s_cbranch_execz .LBB20_8
; %bb.24:                               ;   in Loop: Header=BB20_10 Depth=1
	ds_read_b32 v14, v24
	v_mul_lo_u32 v15, s29, v4
	v_mul_lo_u32 v5, s30, v5
	v_mad_u64_u32 v[12:13], s[20:21], s30, v4, 0
	v_add3_u32 v13, v13, v5, v15
	v_lshl_add_u64 v[12:13], v[12:13], 2, v[8:9]
	s_waitcnt lgkmcnt(0)
	global_store_dword v[12:13], v14, off
	s_branch .LBB20_8
.LBB20_25:
	s_endpgm
	.section	.rodata,"a",@progbits
	.p2align	6, 0x0
	.amdhsa_kernel _ZN9rocsparseL42csr2bsr_wavefront_per_row_multipass_kernelILj256ELj64ELj8EiilEEv20rocsparse_direction_T4_S2_S2_S2_S2_21rocsparse_index_base_PKT2_PKT3_PKS2_S3_PS4_PS7_PS2_
		.amdhsa_group_segment_fixed_size 1028
		.amdhsa_private_segment_fixed_size 0
		.amdhsa_kernarg_size 112
		.amdhsa_user_sgpr_count 2
		.amdhsa_user_sgpr_dispatch_ptr 0
		.amdhsa_user_sgpr_queue_ptr 0
		.amdhsa_user_sgpr_kernarg_segment_ptr 1
		.amdhsa_user_sgpr_dispatch_id 0
		.amdhsa_user_sgpr_kernarg_preload_length 0
		.amdhsa_user_sgpr_kernarg_preload_offset 0
		.amdhsa_user_sgpr_private_segment_size 0
		.amdhsa_uses_dynamic_stack 0
		.amdhsa_enable_private_segment 0
		.amdhsa_system_sgpr_workgroup_id_x 1
		.amdhsa_system_sgpr_workgroup_id_y 0
		.amdhsa_system_sgpr_workgroup_id_z 0
		.amdhsa_system_sgpr_workgroup_info 0
		.amdhsa_system_vgpr_workitem_id 0
		.amdhsa_next_free_vgpr 33
		.amdhsa_next_free_sgpr 31
		.amdhsa_accum_offset 36
		.amdhsa_reserve_vcc 1
		.amdhsa_float_round_mode_32 0
		.amdhsa_float_round_mode_16_64 0
		.amdhsa_float_denorm_mode_32 3
		.amdhsa_float_denorm_mode_16_64 3
		.amdhsa_dx10_clamp 1
		.amdhsa_ieee_mode 1
		.amdhsa_fp16_overflow 0
		.amdhsa_tg_split 0
		.amdhsa_exception_fp_ieee_invalid_op 0
		.amdhsa_exception_fp_denorm_src 0
		.amdhsa_exception_fp_ieee_div_zero 0
		.amdhsa_exception_fp_ieee_overflow 0
		.amdhsa_exception_fp_ieee_underflow 0
		.amdhsa_exception_fp_ieee_inexact 0
		.amdhsa_exception_int_div_zero 0
	.end_amdhsa_kernel
	.section	.text._ZN9rocsparseL42csr2bsr_wavefront_per_row_multipass_kernelILj256ELj64ELj8EiilEEv20rocsparse_direction_T4_S2_S2_S2_S2_21rocsparse_index_base_PKT2_PKT3_PKS2_S3_PS4_PS7_PS2_,"axG",@progbits,_ZN9rocsparseL42csr2bsr_wavefront_per_row_multipass_kernelILj256ELj64ELj8EiilEEv20rocsparse_direction_T4_S2_S2_S2_S2_21rocsparse_index_base_PKT2_PKT3_PKS2_S3_PS4_PS7_PS2_,comdat
.Lfunc_end20:
	.size	_ZN9rocsparseL42csr2bsr_wavefront_per_row_multipass_kernelILj256ELj64ELj8EiilEEv20rocsparse_direction_T4_S2_S2_S2_S2_21rocsparse_index_base_PKT2_PKT3_PKS2_S3_PS4_PS7_PS2_, .Lfunc_end20-_ZN9rocsparseL42csr2bsr_wavefront_per_row_multipass_kernelILj256ELj64ELj8EiilEEv20rocsparse_direction_T4_S2_S2_S2_S2_21rocsparse_index_base_PKT2_PKT3_PKS2_S3_PS4_PS7_PS2_
                                        ; -- End function
	.section	.AMDGPU.csdata,"",@progbits
; Kernel info:
; codeLenInByte = 2172
; NumSgprs: 37
; NumVgprs: 33
; NumAgprs: 0
; TotalNumVgprs: 33
; ScratchSize: 0
; MemoryBound: 0
; FloatMode: 240
; IeeeMode: 1
; LDSByteSize: 1028 bytes/workgroup (compile time only)
; SGPRBlocks: 4
; VGPRBlocks: 4
; NumSGPRsForWavesPerEU: 37
; NumVGPRsForWavesPerEU: 33
; AccumOffset: 36
; Occupancy: 8
; WaveLimiterHint : 0
; COMPUTE_PGM_RSRC2:SCRATCH_EN: 0
; COMPUTE_PGM_RSRC2:USER_SGPR: 2
; COMPUTE_PGM_RSRC2:TRAP_HANDLER: 0
; COMPUTE_PGM_RSRC2:TGID_X_EN: 1
; COMPUTE_PGM_RSRC2:TGID_Y_EN: 0
; COMPUTE_PGM_RSRC2:TGID_Z_EN: 0
; COMPUTE_PGM_RSRC2:TIDIG_COMP_CNT: 0
; COMPUTE_PGM_RSRC3_GFX90A:ACCUM_OFFSET: 8
; COMPUTE_PGM_RSRC3_GFX90A:TG_SPLIT: 0
	.section	.text._ZN9rocsparseL42csr2bsr_wavefront_per_row_multipass_kernelILj256ELj32ELj8EiilEEv20rocsparse_direction_T4_S2_S2_S2_S2_21rocsparse_index_base_PKT2_PKT3_PKS2_S3_PS4_PS7_PS2_,"axG",@progbits,_ZN9rocsparseL42csr2bsr_wavefront_per_row_multipass_kernelILj256ELj32ELj8EiilEEv20rocsparse_direction_T4_S2_S2_S2_S2_21rocsparse_index_base_PKT2_PKT3_PKS2_S3_PS4_PS7_PS2_,comdat
	.globl	_ZN9rocsparseL42csr2bsr_wavefront_per_row_multipass_kernelILj256ELj32ELj8EiilEEv20rocsparse_direction_T4_S2_S2_S2_S2_21rocsparse_index_base_PKT2_PKT3_PKS2_S3_PS4_PS7_PS2_ ; -- Begin function _ZN9rocsparseL42csr2bsr_wavefront_per_row_multipass_kernelILj256ELj32ELj8EiilEEv20rocsparse_direction_T4_S2_S2_S2_S2_21rocsparse_index_base_PKT2_PKT3_PKS2_S3_PS4_PS7_PS2_
	.p2align	8
	.type	_ZN9rocsparseL42csr2bsr_wavefront_per_row_multipass_kernelILj256ELj32ELj8EiilEEv20rocsparse_direction_T4_S2_S2_S2_S2_21rocsparse_index_base_PKT2_PKT3_PKS2_S3_PS4_PS7_PS2_,@function
_ZN9rocsparseL42csr2bsr_wavefront_per_row_multipass_kernelILj256ELj32ELj8EiilEEv20rocsparse_direction_T4_S2_S2_S2_S2_21rocsparse_index_base_PKT2_PKT3_PKS2_S3_PS4_PS7_PS2_: ; @_ZN9rocsparseL42csr2bsr_wavefront_per_row_multipass_kernelILj256ELj32ELj8EiilEEv20rocsparse_direction_T4_S2_S2_S2_S2_21rocsparse_index_base_PKT2_PKT3_PKS2_S3_PS4_PS7_PS2_
; %bb.0:
	s_load_dwordx2 s[4:5], s[0:1], 0x8
	s_load_dwordx4 s[8:11], s[0:1], 0x18
	s_load_dwordx2 s[6:7], s[0:1], 0x28
	s_load_dword s30, s[0:1], 0x30
	s_load_dwordx2 s[12:13], s[0:1], 0x40
	s_ashr_i32 s3, s2, 31
	v_lshrrev_b32_e32 v28, 5, v0
	s_lshl_b64 s[14:15], s[2:3], 3
	v_bfe_u32 v2, v0, 2, 3
	v_mov_b32_e32 v3, 0
	v_or_b32_e32 v1, s14, v28
	s_waitcnt lgkmcnt(0)
	v_mul_lo_u32 v6, v1, s7
	v_mad_u64_u32 v[4:5], s[16:17], v1, s6, v[2:3]
	s_mul_i32 s3, s15, s6
	v_add3_u32 v5, s3, v5, v6
	v_cmp_gt_i64_e32 vcc, s[4:5], v[4:5]
	v_cmp_gt_i64_e64 s[4:5], s[6:7], v[2:3]
	s_and_b64 s[14:15], s[4:5], vcc
	v_mov_b32_e32 v22, v3
	s_and_saveexec_b64 s[16:17], s[14:15]
	s_cbranch_execz .LBB21_2
; %bb.1:
	v_lshl_add_u64 v[6:7], v[4:5], 2, s[12:13]
	global_load_dword v1, v[6:7], off
	s_waitcnt vmcnt(0)
	v_subrev_u32_e32 v22, s30, v1
.LBB21_2:
	s_or_b64 exec, exec, s[16:17]
	s_and_saveexec_b64 s[16:17], s[14:15]
	s_cbranch_execz .LBB21_4
; %bb.3:
	v_lshl_add_u64 v[4:5], v[4:5], 2, s[12:13]
	global_load_dword v1, v[4:5], off offset:4
	s_waitcnt vmcnt(0)
	v_subrev_u32_e32 v3, s30, v1
.LBB21_4:
	s_or_b64 exec, exec, s[16:17]
	s_load_dword s31, s[0:1], 0x50
	v_lshl_or_b32 v6, s2, 3, v28
	v_mov_b32_e32 v7, 0
	v_cmp_gt_i64_e32 vcc, s[8:9], v[6:7]
	v_mov_b32_e32 v4, v7
	s_and_saveexec_b64 s[2:3], vcc
	s_cbranch_execz .LBB21_6
; %bb.5:
	s_load_dwordx2 s[8:9], s[0:1], 0x60
	s_waitcnt lgkmcnt(0)
	v_lshl_add_u64 v[4:5], v[6:7], 2, s[8:9]
	global_load_dword v1, v[4:5], off
	s_waitcnt vmcnt(0)
	v_subrev_u32_e32 v4, s31, v1
.LBB21_6:
	s_or_b64 exec, exec, s[2:3]
	v_cmp_lt_i64_e64 s[2:3], s[10:11], 1
	s_and_b64 vcc, exec, s[2:3]
	s_cbranch_vccnz .LBB21_34
; %bb.7:
	s_mul_i32 s8, s6, s7
	s_mul_hi_u32 s9, s6, s6
	s_add_i32 s9, s9, s8
	s_load_dwordx2 s[2:3], s[0:1], 0x68
	s_load_dwordx2 s[16:17], s[0:1], 0x58
	s_add_i32 s33, s9, s8
	s_load_dwordx2 s[8:9], s[0:1], 0x48
	s_load_dwordx2 s[12:13], s[0:1], 0x38
	s_load_dword s14, s[0:1], 0x0
	v_mad_u64_u32 v[10:11], s[0:1], v2, s6, 0
	v_mov_b32_e32 v12, v11
	v_and_b32_e32 v0, 3, v0
	v_lshlrev_b32_e32 v1, 6, v28
	v_mad_u64_u32 v[12:13], s[0:1], v2, s7, v[12:13]
	v_lshl_or_b32 v29, v2, 3, v1
	v_mbcnt_lo_u32_b32 v1, -1, 0
	v_mov_b32_e32 v11, v12
	v_mad_u64_u32 v[12:13], s[0:1], v0, s6, 0
	v_mov_b32_e32 v6, 0
	v_mbcnt_hi_u32_b32 v1, -1, v1
	v_mov_b32_e32 v14, v13
	v_lshlrev_b32_e32 v8, 2, v2
	v_mov_b32_e32 v9, v6
	v_lshlrev_b32_e32 v1, 2, v1
	v_mad_u64_u32 v[14:15], s[0:1], v0, s7, v[14:15]
	v_or_b32_e32 v16, 4, v0
	s_waitcnt lgkmcnt(0)
	v_lshl_add_u64 v[8:9], s[16:17], 0, v[8:9]
	v_or_b32_e32 v30, 12, v1
	v_lshl_add_u64 v[10:11], v[10:11], 2, s[16:17]
	v_or_b32_e32 v2, 0x7c, v1
	v_or_b32_e32 v1, v29, v0
	v_mov_b32_e32 v13, v14
	v_mad_u64_u32 v[14:15], s[16:17], v16, s6, 0
	v_lshlrev_b32_e32 v31, 2, v1
	v_mov_b32_e32 v1, v6
	v_mov_b32_e32 v17, v6
	;; [unrolled: 1-line block ×3, first 2 shown]
	s_cmp_lg_u32 s14, 0
	v_cmp_gt_u64_e32 vcc, s[6:7], v[0:1]
	v_cmp_gt_u64_e64 s[0:1], s[6:7], v[16:17]
	v_mad_u64_u32 v[16:17], s[16:17], v16, s7, v[18:19]
	s_mul_i32 s34, s6, s6
	s_mov_b32 s35, 0
	s_cselect_b64 s[14:15], -1, 0
	v_mov_b32_e32 v15, v16
	s_and_b64 s[16:17], s[4:5], vcc
	s_and_b64 s[4:5], s[4:5], s[0:1]
	s_mov_b64 s[18:19], 0
	v_mov_b64_e32 v[18:19], 0
	s_ashr_i32 s20, s7, 31
	v_mov_b32_e32 v1, 1
	v_mov_b32_e32 v5, 0
	s_branch .LBB21_11
.LBB21_8:                               ;   in Loop: Header=BB21_11 Depth=1
	v_mov_b32_e32 v7, s21
.LBB21_9:                               ;   in Loop: Header=BB21_11 Depth=1
	s_or_b64 exec, exec, s[22:23]
.LBB21_10:                              ;   in Loop: Header=BB21_11 Depth=1
	s_or_b64 exec, exec, s[0:1]
	v_mov_b32_dpp v18, v16 row_shr:1 row_mask:0xf bank_mask:0xf
	v_mov_b32_dpp v19, v17 row_shr:1 row_mask:0xf bank_mask:0xf
	v_cmp_lt_i64_e32 vcc, v[18:19], v[16:17]
	v_add_u32_e32 v4, v7, v4
	s_waitcnt lgkmcnt(0)
	v_cndmask_b32_e32 v17, v17, v19, vcc
	v_cndmask_b32_e32 v16, v16, v18, vcc
	s_nop 0
	v_mov_b32_dpp v19, v17 row_shr:2 row_mask:0xf bank_mask:0xf
	v_mov_b32_dpp v18, v16 row_shr:2 row_mask:0xf bank_mask:0xf
	v_cmp_lt_i64_e32 vcc, v[18:19], v[16:17]
	s_nop 1
	v_cndmask_b32_e32 v17, v17, v19, vcc
	v_cndmask_b32_e32 v16, v16, v18, vcc
	s_nop 0
	v_mov_b32_dpp v19, v17 row_shr:4 row_mask:0xf bank_mask:0xe
	v_mov_b32_dpp v18, v16 row_shr:4 row_mask:0xf bank_mask:0xe
	v_cmp_lt_i64_e32 vcc, v[18:19], v[16:17]
	s_nop 1
	;; [unrolled: 7-line block ×3, first 2 shown]
	v_cndmask_b32_e32 v17, v17, v19, vcc
	v_cndmask_b32_e32 v16, v16, v18, vcc
	s_nop 0
	v_mov_b32_dpp v19, v17 row_bcast:15 row_mask:0xa bank_mask:0xf
	v_mov_b32_dpp v18, v16 row_bcast:15 row_mask:0xa bank_mask:0xf
	v_cmp_lt_i64_e32 vcc, v[18:19], v[16:17]
	s_nop 1
	v_cndmask_b32_e32 v5, v16, v18, vcc
	ds_bpermute_b32 v18, v2, v5
	s_waitcnt lgkmcnt(0)
	v_ashrrev_i32_e32 v19, 31, v18
	v_cmp_le_i64_e32 vcc, s[10:11], v[18:19]
	s_or_b64 s[18:19], vcc, s[18:19]
	v_mov_b32_e32 v5, v18
	s_andn2_b64 exec, exec, s[18:19]
	s_cbranch_execz .LBB21_34
.LBB21_11:                              ; =>This Loop Header: Depth=1
                                        ;     Child Loop BB21_14 Depth 2
	v_add_u32_e32 v20, v22, v0
	v_cmp_lt_i32_e32 vcc, v20, v3
	v_mov_b64_e32 v[16:17], s[10:11]
	v_mov_b32_e32 v7, v3
	ds_write_b8 v28, v6 offset:2048
	ds_write2_b32 v31, v6, v6 offset1:4
	s_waitcnt lgkmcnt(0)
	s_and_saveexec_b64 s[22:23], vcc
	s_cbranch_execz .LBB21_23
; %bb.12:                               ;   in Loop: Header=BB21_11 Depth=1
	v_mad_u64_u32 v[22:23], s[0:1], v18, s6, 0
	s_mov_b64 s[24:25], 0
	v_mov_b64_e32 v[16:17], s[10:11]
	v_mov_b32_e32 v23, v3
	s_branch .LBB21_14
.LBB21_13:                              ;   in Loop: Header=BB21_14 Depth=2
	s_or_b64 exec, exec, s[0:1]
	v_add_u32_e32 v20, 4, v20
	v_cmp_ge_i32_e64 s[0:1], v20, v3
	s_xor_b64 s[26:27], vcc, -1
	s_or_b64 s[0:1], s[26:27], s[0:1]
	s_and_b64 s[0:1], exec, s[0:1]
	s_or_b64 s[24:25], s[0:1], s[24:25]
	v_mov_b32_e32 v23, v7
	s_andn2_b64 exec, exec, s[24:25]
	s_cbranch_execz .LBB21_22
.LBB21_14:                              ;   Parent Loop BB21_11 Depth=1
                                        ; =>  This Inner Loop Header: Depth=2
	v_ashrrev_i32_e32 v21, 31, v20
	v_lshl_add_u64 v[24:25], v[20:21], 3, s[8:9]
	global_load_dwordx2 v[24:25], v[24:25], off
	v_mov_b32_e32 v7, s35
                                        ; implicit-def: $vgpr26_vgpr27
	s_waitcnt vmcnt(0)
	v_subrev_co_u32_e32 v24, vcc, s30, v24
	s_nop 1
	v_subb_co_u32_e32 v25, vcc, v25, v7, vcc
	v_or_b32_e32 v7, s7, v25
	v_cmp_ne_u64_e32 vcc, 0, v[6:7]
	s_and_saveexec_b64 s[0:1], vcc
	s_xor_b64 s[26:27], exec, s[0:1]
	s_cbranch_execz .LBB21_16
; %bb.15:                               ;   in Loop: Header=BB21_14 Depth=2
	s_add_u32 s0, s6, s20
	s_mov_b32 s21, s20
	s_addc_u32 s1, s7, s20
	s_xor_b64 s[28:29], s[0:1], s[20:21]
	v_cvt_f32_u32_e32 v7, s28
	v_cvt_f32_u32_e32 v26, s29
	s_sub_u32 s0, 0, s28
	s_subb_u32 s1, 0, s29
	v_mov_b32_e32 v33, v6
	v_fmac_f32_e32 v7, 0x4f800000, v26
	v_rcp_f32_e32 v7, v7
	s_nop 0
	v_mul_f32_e32 v7, 0x5f7ffffc, v7
	v_mul_f32_e32 v26, 0x2f800000, v7
	v_trunc_f32_e32 v26, v26
	v_fmac_f32_e32 v7, 0xcf800000, v26
	v_cvt_u32_f32_e32 v34, v26
	v_cvt_u32_f32_e32 v7, v7
	v_mul_lo_u32 v26, s0, v34
	v_mul_hi_u32 v32, s0, v7
	v_mul_lo_u32 v27, s1, v7
	v_add_u32_e32 v26, v32, v26
	v_mul_lo_u32 v35, s0, v7
	v_add_u32_e32 v36, v26, v27
	v_mul_hi_u32 v27, v7, v36
	v_mul_lo_u32 v26, v7, v36
	v_mul_hi_u32 v32, v7, v35
	v_lshl_add_u64 v[26:27], v[32:33], 0, v[26:27]
	v_mul_hi_u32 v33, v34, v35
	v_mul_lo_u32 v35, v34, v35
	v_add_co_u32_e32 v26, vcc, v26, v35
	v_mul_hi_u32 v32, v34, v36
	s_nop 0
	v_addc_co_u32_e32 v26, vcc, v27, v33, vcc
	v_mov_b32_e32 v27, v6
	s_nop 0
	v_addc_co_u32_e32 v33, vcc, 0, v32, vcc
	v_mul_lo_u32 v32, v34, v36
	v_lshl_add_u64 v[26:27], v[26:27], 0, v[32:33]
	v_add_co_u32_e32 v7, vcc, v7, v26
	v_mul_lo_u32 v32, s0, v7
	s_nop 0
	v_addc_co_u32_e32 v34, vcc, v34, v27, vcc
	v_mul_lo_u32 v26, s0, v34
	v_mul_hi_u32 v27, s0, v7
	v_add_u32_e32 v26, v27, v26
	v_mul_lo_u32 v27, s1, v7
	v_add_u32_e32 v35, v26, v27
	v_mul_hi_u32 v37, v34, v32
	v_mul_lo_u32 v38, v34, v32
	v_mul_hi_u32 v27, v7, v35
	v_mul_lo_u32 v26, v7, v35
	v_mul_hi_u32 v32, v7, v32
	v_mov_b32_e32 v33, v6
	v_lshl_add_u64 v[26:27], v[32:33], 0, v[26:27]
	v_add_co_u32_e32 v26, vcc, v26, v38
	v_mul_hi_u32 v36, v34, v35
	s_nop 0
	v_addc_co_u32_e32 v26, vcc, v27, v37, vcc
	v_mul_lo_u32 v32, v34, v35
	s_nop 0
	v_addc_co_u32_e32 v33, vcc, 0, v36, vcc
	v_mov_b32_e32 v27, v6
	v_lshl_add_u64 v[26:27], v[26:27], 0, v[32:33]
	v_add_co_u32_e32 v7, vcc, v7, v26
	v_ashrrev_i32_e32 v26, 31, v25
	s_nop 0
	v_addc_co_u32_e32 v36, vcc, v34, v27, vcc
	v_mov_b32_e32 v27, v26
	v_lshl_add_u64 v[32:33], v[24:25], 0, v[26:27]
	v_xor_b32_e32 v27, v32, v26
	v_xor_b32_e32 v25, v33, v26
	v_mad_u64_u32 v[32:33], s[0:1], v27, v36, 0
	v_mul_hi_u32 v34, v27, v7
	v_mov_b32_e32 v35, v6
	v_lshl_add_u64 v[32:33], v[34:35], 0, v[32:33]
	v_mad_u64_u32 v[34:35], s[0:1], v25, v36, 0
	v_mad_u64_u32 v[36:37], s[0:1], v25, v7, 0
	v_add_co_u32_e32 v7, vcc, v32, v36
	s_nop 1
	v_addc_co_u32_e32 v32, vcc, v33, v37, vcc
	v_mov_b32_e32 v33, v6
	s_nop 0
	v_addc_co_u32_e32 v35, vcc, 0, v35, vcc
	v_lshl_add_u64 v[32:33], v[32:33], 0, v[34:35]
	v_mul_lo_u32 v7, s29, v32
	v_mul_lo_u32 v36, s28, v33
	v_mad_u64_u32 v[34:35], s[0:1], s28, v32, 0
	v_add3_u32 v7, v35, v36, v7
	v_sub_u32_e32 v35, v25, v7
	v_mov_b32_e32 v36, s29
	v_sub_co_u32_e32 v27, vcc, v27, v34
	s_nop 1
	v_subb_co_u32_e64 v34, s[0:1], v35, v36, vcc
	v_subrev_co_u32_e64 v35, s[0:1], s28, v27
	v_subb_co_u32_e32 v7, vcc, v25, v7, vcc
	s_nop 0
	v_subbrev_co_u32_e64 v34, s[0:1], 0, v34, s[0:1]
	v_cmp_le_u32_e64 s[0:1], s29, v34
	v_cmp_le_u32_e32 vcc, s29, v7
	s_nop 0
	v_cndmask_b32_e64 v36, 0, -1, s[0:1]
	v_cmp_le_u32_e64 s[0:1], s28, v35
	v_cndmask_b32_e64 v25, 0, -1, vcc
	v_cmp_le_u32_e32 vcc, s28, v27
	v_cndmask_b32_e64 v35, 0, -1, s[0:1]
	v_cmp_eq_u32_e64 s[0:1], s29, v34
	v_cndmask_b32_e64 v27, 0, -1, vcc
	v_cmp_eq_u32_e32 vcc, s29, v7
	v_cndmask_b32_e64 v38, v36, v35, s[0:1]
	v_lshl_add_u64 v[34:35], v[32:33], 0, 2
	v_lshl_add_u64 v[36:37], v[32:33], 0, 1
	v_cmp_ne_u32_e64 s[0:1], 0, v38
	v_cndmask_b32_e32 v7, v25, v27, vcc
	v_cmp_ne_u32_e32 vcc, 0, v7
	v_cndmask_b32_e64 v25, v36, v34, s[0:1]
	v_cndmask_b32_e64 v35, v37, v35, s[0:1]
	v_cndmask_b32_e32 v25, v32, v25, vcc
	v_xor_b32_e32 v27, s20, v26
	v_cndmask_b32_e32 v7, v33, v35, vcc
	v_xor_b32_e32 v25, v25, v27
	v_xor_b32_e32 v7, v7, v27
	v_sub_co_u32_e32 v26, vcc, v25, v27
	s_nop 1
	v_subb_co_u32_e32 v27, vcc, v7, v27, vcc
.LBB21_16:                              ;   in Loop: Header=BB21_14 Depth=2
	s_andn2_saveexec_b64 s[0:1], s[26:27]
	s_cbranch_execz .LBB21_18
; %bb.17:                               ;   in Loop: Header=BB21_14 Depth=2
	v_cvt_f32_u32_e32 v7, s6
	s_sub_i32 s21, 0, s6
	v_rcp_iflag_f32_e32 v7, v7
	s_nop 0
	v_mul_f32_e32 v7, 0x4f7ffffe, v7
	v_cvt_u32_f32_e32 v7, v7
	v_mul_lo_u32 v25, s21, v7
	v_mul_hi_u32 v25, v7, v25
	v_add_u32_e32 v7, v7, v25
	v_mul_hi_u32 v7, v24, v7
	v_mul_lo_u32 v25, v7, s6
	v_sub_u32_e32 v25, v24, v25
	v_add_u32_e32 v26, 1, v7
	v_subrev_u32_e32 v27, s6, v25
	v_cmp_le_u32_e32 vcc, s6, v25
	s_nop 1
	v_cndmask_b32_e32 v25, v25, v27, vcc
	v_cndmask_b32_e32 v7, v7, v26, vcc
	v_add_u32_e32 v26, 1, v7
	v_cmp_le_u32_e32 vcc, s6, v25
	v_mov_b32_e32 v27, v6
	s_nop 0
	v_cndmask_b32_e32 v26, v7, v26, vcc
.LBB21_18:                              ;   in Loop: Header=BB21_14 Depth=2
	s_or_b64 exec, exec, s[0:1]
	v_cmp_eq_u64_e32 vcc, v[26:27], v[18:19]
	v_cmp_ne_u64_e64 s[0:1], v[26:27], v[18:19]
	s_and_saveexec_b64 s[26:27], s[0:1]
	s_xor_b64 s[26:27], exec, s[26:27]
; %bb.19:                               ;   in Loop: Header=BB21_14 Depth=2
	v_cmp_lt_i64_e64 s[0:1], v[26:27], v[16:17]
                                        ; implicit-def: $vgpr24_vgpr25
                                        ; implicit-def: $vgpr23
	s_nop 1
	v_cndmask_b32_e64 v17, v17, v27, s[0:1]
	v_cndmask_b32_e64 v16, v16, v26, s[0:1]
; %bb.20:                               ;   in Loop: Header=BB21_14 Depth=2
	s_or_saveexec_b64 s[0:1], s[26:27]
	v_mov_b32_e32 v7, v20
	s_xor_b64 exec, exec, s[0:1]
	s_cbranch_execz .LBB21_13
; %bb.21:                               ;   in Loop: Header=BB21_14 Depth=2
	v_lshl_add_u64 v[26:27], v[20:21], 2, s[12:13]
	global_load_dword v7, v[26:27], off
	v_sub_u32_e32 v21, v24, v22
	v_add_lshl_u32 v21, v29, v21, 2
	ds_write_b8 v28, v1 offset:2048
	s_waitcnt vmcnt(0)
	ds_write_b32 v21, v7
	v_mov_b32_e32 v7, v23
	s_branch .LBB21_13
.LBB21_22:                              ;   in Loop: Header=BB21_11 Depth=1
	s_or_b64 exec, exec, s[24:25]
.LBB21_23:                              ;   in Loop: Header=BB21_11 Depth=1
	s_or_b64 exec, exec, s[22:23]
	v_mov_b32_dpp v18, v7 row_shr:1 row_mask:0xf bank_mask:0xf
	v_min_i32_e32 v7, v18, v7
	s_waitcnt lgkmcnt(0)
	ds_read_u8 v18, v28 offset:2048
	v_mov_b32_dpp v19, v7 row_shr:2 row_mask:0xf bank_mask:0xf
	v_min_i32_e32 v7, v19, v7
	ds_bpermute_b32 v22, v30, v7
	s_waitcnt lgkmcnt(1)
	v_and_b32_e32 v7, 1, v18
	v_cmp_eq_u32_e32 vcc, 1, v7
	v_mov_b32_e32 v7, 0
	s_and_saveexec_b64 s[0:1], vcc
	s_cbranch_execz .LBB21_10
; %bb.24:                               ;   in Loop: Header=BB21_11 Depth=1
	v_add_u32_e32 v18, s31, v5
	v_ashrrev_i32_e32 v5, 31, v4
	v_ashrrev_i32_e32 v19, 31, v18
	v_lshl_add_u64 v[20:21], v[4:5], 3, s[2:3]
	global_store_dwordx2 v[20:21], v[18:19], off
	v_mul_lo_u32 v7, s33, v4
	v_mul_lo_u32 v5, s34, v5
	v_mad_u64_u32 v[18:19], s[22:23], s34, v4, 0
	v_add3_u32 v19, v19, v5, v7
	v_lshlrev_b64 v[18:19], 2, v[18:19]
	v_lshl_add_u64 v[20:21], v[8:9], 0, v[18:19]
	v_lshl_add_u64 v[18:19], v[10:11], 0, v[18:19]
	s_and_saveexec_b64 s[22:23], s[16:17]
	s_cbranch_execz .LBB21_28
; %bb.25:                               ;   in Loop: Header=BB21_11 Depth=1
	s_and_b64 vcc, exec, s[14:15]
	s_cbranch_vccz .LBB21_31
; %bb.26:                               ;   in Loop: Header=BB21_11 Depth=1
	ds_read_b32 v5, v31
	v_lshl_add_u64 v[24:25], v[12:13], 2, v[20:21]
	s_waitcnt lgkmcnt(0)
	global_store_dword v[24:25], v5, off
	s_cbranch_execnz .LBB21_28
.LBB21_27:                              ;   in Loop: Header=BB21_11 Depth=1
	ds_read_b32 v5, v31
	v_lshlrev_b32_e32 v24, 2, v0
	v_mov_b32_e32 v25, v6
	v_lshl_add_u64 v[24:25], v[18:19], 0, v[24:25]
	s_waitcnt lgkmcnt(0)
	global_store_dword v[24:25], v5, off
.LBB21_28:                              ;   in Loop: Header=BB21_11 Depth=1
	s_or_b64 exec, exec, s[22:23]
	v_mov_b32_e32 v7, 1
	s_and_saveexec_b64 s[22:23], s[4:5]
	s_cbranch_execz .LBB21_9
; %bb.29:                               ;   in Loop: Header=BB21_11 Depth=1
	s_andn2_b64 vcc, exec, s[14:15]
	s_cbranch_vccnz .LBB21_32
; %bb.30:                               ;   in Loop: Header=BB21_11 Depth=1
	ds_read_b32 v5, v31 offset:16
	v_lshl_add_u64 v[20:21], v[14:15], 2, v[20:21]
	s_mov_b32 s21, 1
	s_waitcnt lgkmcnt(0)
	global_store_dword v[20:21], v5, off
	s_cbranch_execnz .LBB21_8
	s_branch .LBB21_33
.LBB21_31:                              ;   in Loop: Header=BB21_11 Depth=1
	s_branch .LBB21_27
.LBB21_32:                              ;   in Loop: Header=BB21_11 Depth=1
                                        ; implicit-def: $sgpr21
.LBB21_33:                              ;   in Loop: Header=BB21_11 Depth=1
	ds_read_b32 v5, v31 offset:16
	v_lshlrev_b32_e32 v20, 2, v0
	v_mov_b32_e32 v21, v6
	v_lshl_add_u64 v[18:19], v[18:19], 0, v[20:21]
	s_mov_b32 s21, 1
	s_waitcnt lgkmcnt(0)
	global_store_dword v[18:19], v5, off offset:16
	s_branch .LBB21_8
.LBB21_34:
	s_endpgm
	.section	.rodata,"a",@progbits
	.p2align	6, 0x0
	.amdhsa_kernel _ZN9rocsparseL42csr2bsr_wavefront_per_row_multipass_kernelILj256ELj32ELj8EiilEEv20rocsparse_direction_T4_S2_S2_S2_S2_21rocsparse_index_base_PKT2_PKT3_PKS2_S3_PS4_PS7_PS2_
		.amdhsa_group_segment_fixed_size 2056
		.amdhsa_private_segment_fixed_size 0
		.amdhsa_kernarg_size 112
		.amdhsa_user_sgpr_count 2
		.amdhsa_user_sgpr_dispatch_ptr 0
		.amdhsa_user_sgpr_queue_ptr 0
		.amdhsa_user_sgpr_kernarg_segment_ptr 1
		.amdhsa_user_sgpr_dispatch_id 0
		.amdhsa_user_sgpr_kernarg_preload_length 0
		.amdhsa_user_sgpr_kernarg_preload_offset 0
		.amdhsa_user_sgpr_private_segment_size 0
		.amdhsa_uses_dynamic_stack 0
		.amdhsa_enable_private_segment 0
		.amdhsa_system_sgpr_workgroup_id_x 1
		.amdhsa_system_sgpr_workgroup_id_y 0
		.amdhsa_system_sgpr_workgroup_id_z 0
		.amdhsa_system_sgpr_workgroup_info 0
		.amdhsa_system_vgpr_workitem_id 0
		.amdhsa_next_free_vgpr 39
		.amdhsa_next_free_sgpr 36
		.amdhsa_accum_offset 40
		.amdhsa_reserve_vcc 1
		.amdhsa_float_round_mode_32 0
		.amdhsa_float_round_mode_16_64 0
		.amdhsa_float_denorm_mode_32 3
		.amdhsa_float_denorm_mode_16_64 3
		.amdhsa_dx10_clamp 1
		.amdhsa_ieee_mode 1
		.amdhsa_fp16_overflow 0
		.amdhsa_tg_split 0
		.amdhsa_exception_fp_ieee_invalid_op 0
		.amdhsa_exception_fp_denorm_src 0
		.amdhsa_exception_fp_ieee_div_zero 0
		.amdhsa_exception_fp_ieee_overflow 0
		.amdhsa_exception_fp_ieee_underflow 0
		.amdhsa_exception_fp_ieee_inexact 0
		.amdhsa_exception_int_div_zero 0
	.end_amdhsa_kernel
	.section	.text._ZN9rocsparseL42csr2bsr_wavefront_per_row_multipass_kernelILj256ELj32ELj8EiilEEv20rocsparse_direction_T4_S2_S2_S2_S2_21rocsparse_index_base_PKT2_PKT3_PKS2_S3_PS4_PS7_PS2_,"axG",@progbits,_ZN9rocsparseL42csr2bsr_wavefront_per_row_multipass_kernelILj256ELj32ELj8EiilEEv20rocsparse_direction_T4_S2_S2_S2_S2_21rocsparse_index_base_PKT2_PKT3_PKS2_S3_PS4_PS7_PS2_,comdat
.Lfunc_end21:
	.size	_ZN9rocsparseL42csr2bsr_wavefront_per_row_multipass_kernelILj256ELj32ELj8EiilEEv20rocsparse_direction_T4_S2_S2_S2_S2_21rocsparse_index_base_PKT2_PKT3_PKS2_S3_PS4_PS7_PS2_, .Lfunc_end21-_ZN9rocsparseL42csr2bsr_wavefront_per_row_multipass_kernelILj256ELj32ELj8EiilEEv20rocsparse_direction_T4_S2_S2_S2_S2_21rocsparse_index_base_PKT2_PKT3_PKS2_S3_PS4_PS7_PS2_
                                        ; -- End function
	.section	.AMDGPU.csdata,"",@progbits
; Kernel info:
; codeLenInByte = 2300
; NumSgprs: 42
; NumVgprs: 39
; NumAgprs: 0
; TotalNumVgprs: 39
; ScratchSize: 0
; MemoryBound: 0
; FloatMode: 240
; IeeeMode: 1
; LDSByteSize: 2056 bytes/workgroup (compile time only)
; SGPRBlocks: 5
; VGPRBlocks: 4
; NumSGPRsForWavesPerEU: 42
; NumVGPRsForWavesPerEU: 39
; AccumOffset: 40
; Occupancy: 8
; WaveLimiterHint : 0
; COMPUTE_PGM_RSRC2:SCRATCH_EN: 0
; COMPUTE_PGM_RSRC2:USER_SGPR: 2
; COMPUTE_PGM_RSRC2:TRAP_HANDLER: 0
; COMPUTE_PGM_RSRC2:TGID_X_EN: 1
; COMPUTE_PGM_RSRC2:TGID_Y_EN: 0
; COMPUTE_PGM_RSRC2:TGID_Z_EN: 0
; COMPUTE_PGM_RSRC2:TIDIG_COMP_CNT: 0
; COMPUTE_PGM_RSRC3_GFX90A:ACCUM_OFFSET: 9
; COMPUTE_PGM_RSRC3_GFX90A:TG_SPLIT: 0
	.section	.text._ZN9rocsparseL42csr2bsr_wavefront_per_row_multipass_kernelILj256ELj64ELj16EiilEEv20rocsparse_direction_T4_S2_S2_S2_S2_21rocsparse_index_base_PKT2_PKT3_PKS2_S3_PS4_PS7_PS2_,"axG",@progbits,_ZN9rocsparseL42csr2bsr_wavefront_per_row_multipass_kernelILj256ELj64ELj16EiilEEv20rocsparse_direction_T4_S2_S2_S2_S2_21rocsparse_index_base_PKT2_PKT3_PKS2_S3_PS4_PS7_PS2_,comdat
	.globl	_ZN9rocsparseL42csr2bsr_wavefront_per_row_multipass_kernelILj256ELj64ELj16EiilEEv20rocsparse_direction_T4_S2_S2_S2_S2_21rocsparse_index_base_PKT2_PKT3_PKS2_S3_PS4_PS7_PS2_ ; -- Begin function _ZN9rocsparseL42csr2bsr_wavefront_per_row_multipass_kernelILj256ELj64ELj16EiilEEv20rocsparse_direction_T4_S2_S2_S2_S2_21rocsparse_index_base_PKT2_PKT3_PKS2_S3_PS4_PS7_PS2_
	.p2align	8
	.type	_ZN9rocsparseL42csr2bsr_wavefront_per_row_multipass_kernelILj256ELj64ELj16EiilEEv20rocsparse_direction_T4_S2_S2_S2_S2_21rocsparse_index_base_PKT2_PKT3_PKS2_S3_PS4_PS7_PS2_,@function
_ZN9rocsparseL42csr2bsr_wavefront_per_row_multipass_kernelILj256ELj64ELj16EiilEEv20rocsparse_direction_T4_S2_S2_S2_S2_21rocsparse_index_base_PKT2_PKT3_PKS2_S3_PS4_PS7_PS2_: ; @_ZN9rocsparseL42csr2bsr_wavefront_per_row_multipass_kernelILj256ELj64ELj16EiilEEv20rocsparse_direction_T4_S2_S2_S2_S2_21rocsparse_index_base_PKT2_PKT3_PKS2_S3_PS4_PS7_PS2_
; %bb.0:
	s_load_dwordx2 s[4:5], s[0:1], 0x8
	s_load_dwordx4 s[8:11], s[0:1], 0x18
	s_load_dwordx2 s[12:13], s[0:1], 0x28
	s_load_dword s33, s[0:1], 0x30
	s_load_dwordx2 s[6:7], s[0:1], 0x40
	s_ashr_i32 s3, s2, 31
	v_lshrrev_b32_e32 v32, 6, v0
	s_lshl_b64 s[14:15], s[2:3], 2
	v_bfe_u32 v2, v0, 2, 4
	v_mov_b32_e32 v3, 0
	v_or_b32_e32 v1, s14, v32
	s_waitcnt lgkmcnt(0)
	v_mul_lo_u32 v6, v1, s13
	v_mad_u64_u32 v[4:5], s[16:17], v1, s12, v[2:3]
	s_mul_i32 s3, s15, s12
	v_add3_u32 v5, s3, v5, v6
	v_cmp_gt_i64_e32 vcc, s[4:5], v[4:5]
	v_cmp_gt_i64_e64 s[4:5], s[12:13], v[2:3]
	s_and_b64 s[14:15], s[4:5], vcc
	v_mov_b32_e32 v26, v3
	s_and_saveexec_b64 s[16:17], s[14:15]
	s_cbranch_execz .LBB22_2
; %bb.1:
	v_lshl_add_u64 v[6:7], v[4:5], 2, s[6:7]
	global_load_dword v1, v[6:7], off
	s_waitcnt vmcnt(0)
	v_subrev_u32_e32 v26, s33, v1
.LBB22_2:
	s_or_b64 exec, exec, s[16:17]
	s_and_saveexec_b64 s[16:17], s[14:15]
	s_cbranch_execz .LBB22_4
; %bb.3:
	v_lshl_add_u64 v[4:5], v[4:5], 2, s[6:7]
	global_load_dword v1, v[4:5], off offset:4
	s_waitcnt vmcnt(0)
	v_subrev_u32_e32 v3, s33, v1
.LBB22_4:
	s_or_b64 exec, exec, s[16:17]
	s_load_dword s36, s[0:1], 0x50
	v_lshl_or_b32 v6, s2, 2, v32
	v_mov_b32_e32 v7, 0
	v_cmp_gt_i64_e32 vcc, s[8:9], v[6:7]
	v_mov_b32_e32 v4, v7
	s_and_saveexec_b64 s[2:3], vcc
	s_cbranch_execz .LBB22_6
; %bb.5:
	s_load_dwordx2 s[6:7], s[0:1], 0x60
	s_waitcnt lgkmcnt(0)
	v_lshl_add_u64 v[4:5], v[6:7], 2, s[6:7]
	global_load_dword v1, v[4:5], off
	s_waitcnt vmcnt(0)
	v_subrev_u32_e32 v4, s36, v1
.LBB22_6:
	s_or_b64 exec, exec, s[2:3]
	v_cmp_lt_i64_e64 s[2:3], s[10:11], 1
	s_and_b64 vcc, exec, s[2:3]
	s_cbranch_vccnz .LBB22_44
; %bb.7:
	s_mul_i32 s2, s12, s13
	s_mul_hi_u32 s3, s12, s12
	s_add_i32 s3, s3, s2
	s_load_dwordx2 s[8:9], s[0:1], 0x68
	s_add_i32 s37, s3, s2
	s_load_dwordx2 s[2:3], s[0:1], 0x58
	s_load_dwordx2 s[14:15], s[0:1], 0x48
	;; [unrolled: 1-line block ×3, first 2 shown]
	s_load_dword s6, s[0:1], 0x0
	v_mad_u64_u32 v[10:11], s[0:1], v2, s12, 0
	v_mov_b32_e32 v12, v11
	v_and_b32_e32 v0, 3, v0
	v_mad_u64_u32 v[12:13], s[0:1], v2, s13, v[12:13]
	v_mov_b32_e32 v11, v12
	v_mad_u64_u32 v[12:13], s[0:1], v0, s12, 0
	v_mov_b32_e32 v6, 0
	v_mov_b32_e32 v14, v13
	v_lshlrev_b32_e32 v8, 2, v2
	v_mov_b32_e32 v9, v6
	v_mad_u64_u32 v[14:15], s[0:1], v0, s13, v[14:15]
	v_or_b32_e32 v16, 4, v0
	s_waitcnt lgkmcnt(0)
	v_lshl_add_u64 v[8:9], s[2:3], 0, v[8:9]
	v_lshl_add_u64 v[10:11], v[10:11], 2, s[2:3]
	v_mov_b32_e32 v13, v14
	v_mad_u64_u32 v[14:15], s[2:3], v16, s12, 0
	v_mov_b32_e32 v17, v6
	v_mov_b32_e32 v18, v15
	v_lshlrev_b32_e32 v1, 8, v32
	v_cmp_gt_u64_e64 s[0:1], s[12:13], v[16:17]
	v_mad_u64_u32 v[16:17], s[2:3], v16, s13, v[18:19]
	v_or_b32_e32 v18, 8, v0
	v_lshl_or_b32 v33, v2, 4, v1
	v_mbcnt_lo_u32_b32 v1, -1, 0
	s_cmp_lg_u32 s6, 0
	v_mov_b32_e32 v15, v16
	v_mad_u64_u32 v[16:17], s[6:7], v18, s12, 0
	v_mbcnt_hi_u32_b32 v1, -1, v1
	v_mov_b32_e32 v19, v6
	v_mov_b32_e32 v20, v17
	v_lshlrev_b32_e32 v1, 2, v1
	v_cmp_gt_u64_e64 s[2:3], s[12:13], v[18:19]
	v_mad_u64_u32 v[18:19], s[6:7], v18, s13, v[20:21]
	v_or_b32_e32 v20, 12, v0
	v_or_b32_e32 v34, 12, v1
	;; [unrolled: 1-line block ×4, first 2 shown]
	v_mov_b32_e32 v17, v18
	v_mad_u64_u32 v[18:19], s[20:21], v20, s12, 0
	v_lshlrev_b32_e32 v35, 2, v1
	v_mov_b32_e32 v1, v6
	v_mov_b32_e32 v21, v6
	v_mov_b32_e32 v22, v19
	v_cmp_gt_u64_e32 vcc, s[12:13], v[0:1]
	v_cmp_gt_u64_e64 s[6:7], s[12:13], v[20:21]
	v_mad_u64_u32 v[20:21], s[20:21], v20, s13, v[22:23]
	s_mul_i32 s38, s12, s12
	s_mov_b32 s39, 0
	s_cselect_b64 s[18:19], -1, 0
	v_mov_b32_e32 v19, v20
	s_and_b64 s[20:21], s[4:5], vcc
	s_and_b64 s[22:23], s[4:5], s[0:1]
	s_and_b64 s[2:3], s[4:5], s[2:3]
	;; [unrolled: 1-line block ×3, first 2 shown]
	s_mov_b64 s[6:7], 0
	v_mov_b64_e32 v[22:23], 0
	v_mov_b32_e32 v1, 1
	v_mov_b32_e32 v5, 0
	s_branch .LBB22_11
.LBB22_8:                               ;   in Loop: Header=BB22_11 Depth=1
	v_mov_b32_e32 v7, s28
.LBB22_9:                               ;   in Loop: Header=BB22_11 Depth=1
	s_or_b64 exec, exec, s[26:27]
.LBB22_10:                              ;   in Loop: Header=BB22_11 Depth=1
	s_or_b64 exec, exec, s[24:25]
	v_mov_b32_dpp v22, v20 row_shr:1 row_mask:0xf bank_mask:0xf
	v_mov_b32_dpp v23, v21 row_shr:1 row_mask:0xf bank_mask:0xf
	v_cmp_lt_i64_e32 vcc, v[22:23], v[20:21]
	v_add_u32_e32 v4, v7, v4
	s_waitcnt lgkmcnt(0)
	v_cndmask_b32_e32 v21, v21, v23, vcc
	v_cndmask_b32_e32 v20, v20, v22, vcc
	s_nop 0
	v_mov_b32_dpp v23, v21 row_shr:2 row_mask:0xf bank_mask:0xf
	v_mov_b32_dpp v22, v20 row_shr:2 row_mask:0xf bank_mask:0xf
	v_cmp_lt_i64_e32 vcc, v[22:23], v[20:21]
	s_nop 1
	v_cndmask_b32_e32 v21, v21, v23, vcc
	v_cndmask_b32_e32 v20, v20, v22, vcc
	s_nop 0
	v_mov_b32_dpp v23, v21 row_shr:4 row_mask:0xf bank_mask:0xe
	v_mov_b32_dpp v22, v20 row_shr:4 row_mask:0xf bank_mask:0xe
	v_cmp_lt_i64_e32 vcc, v[22:23], v[20:21]
	s_nop 1
	;; [unrolled: 7-line block ×3, first 2 shown]
	v_cndmask_b32_e32 v21, v21, v23, vcc
	v_cndmask_b32_e32 v20, v20, v22, vcc
	s_nop 0
	v_mov_b32_dpp v23, v21 row_bcast:15 row_mask:0xa bank_mask:0xf
	v_mov_b32_dpp v22, v20 row_bcast:15 row_mask:0xa bank_mask:0xf
	v_cmp_lt_i64_e32 vcc, v[22:23], v[20:21]
	s_nop 1
	v_cndmask_b32_e32 v21, v21, v23, vcc
	v_cndmask_b32_e32 v20, v20, v22, vcc
	s_nop 0
	v_mov_b32_dpp v23, v21 row_bcast:31 row_mask:0xc bank_mask:0xf
	v_mov_b32_dpp v22, v20 row_bcast:31 row_mask:0xc bank_mask:0xf
	v_cmp_lt_i64_e32 vcc, v[22:23], v[20:21]
	s_nop 1
	v_cndmask_b32_e32 v5, v20, v22, vcc
	ds_bpermute_b32 v22, v2, v5
	s_waitcnt lgkmcnt(0)
	v_ashrrev_i32_e32 v23, 31, v22
	v_cmp_le_i64_e32 vcc, s[10:11], v[22:23]
	s_or_b64 s[6:7], vcc, s[6:7]
	v_mov_b32_e32 v5, v22
	s_andn2_b64 exec, exec, s[6:7]
	s_cbranch_execz .LBB22_44
.LBB22_11:                              ; =>This Loop Header: Depth=1
                                        ;     Child Loop BB22_14 Depth 2
	v_add_u32_e32 v24, v26, v0
	v_cmp_lt_i32_e32 vcc, v24, v3
	v_mov_b64_e32 v[20:21], s[10:11]
	v_mov_b32_e32 v7, v3
	ds_write_b8 v32, v6 offset:4096
	ds_write2_b32 v35, v6, v6 offset1:4
	ds_write2_b32 v35, v6, v6 offset0:8 offset1:12
	s_waitcnt lgkmcnt(0)
	s_and_saveexec_b64 s[24:25], vcc
	s_cbranch_execz .LBB22_23
; %bb.12:                               ;   in Loop: Header=BB22_11 Depth=1
	v_mad_u64_u32 v[26:27], s[0:1], v22, s12, 0
	s_mov_b64 s[26:27], 0
	v_mov_b64_e32 v[20:21], s[10:11]
	v_mov_b32_e32 v27, v3
	s_branch .LBB22_14
.LBB22_13:                              ;   in Loop: Header=BB22_14 Depth=2
	s_or_b64 exec, exec, s[0:1]
	v_add_u32_e32 v24, 4, v24
	v_cmp_ge_i32_e64 s[0:1], v24, v3
	s_xor_b64 s[28:29], vcc, -1
	s_or_b64 s[0:1], s[28:29], s[0:1]
	s_and_b64 s[0:1], exec, s[0:1]
	s_or_b64 s[26:27], s[0:1], s[26:27]
	v_mov_b32_e32 v27, v7
	s_andn2_b64 exec, exec, s[26:27]
	s_cbranch_execz .LBB22_22
.LBB22_14:                              ;   Parent Loop BB22_11 Depth=1
                                        ; =>  This Inner Loop Header: Depth=2
	v_ashrrev_i32_e32 v25, 31, v24
	v_lshl_add_u64 v[28:29], v[24:25], 3, s[14:15]
	global_load_dwordx2 v[28:29], v[28:29], off
	v_mov_b32_e32 v7, s39
                                        ; implicit-def: $vgpr30_vgpr31
	s_waitcnt vmcnt(0)
	v_subrev_co_u32_e32 v28, vcc, s33, v28
	s_nop 1
	v_subb_co_u32_e32 v29, vcc, v29, v7, vcc
	v_or_b32_e32 v7, s13, v29
	v_cmp_ne_u64_e32 vcc, 0, v[6:7]
	s_and_saveexec_b64 s[0:1], vcc
	s_xor_b64 s[28:29], exec, s[0:1]
	s_cbranch_execz .LBB22_16
; %bb.15:                               ;   in Loop: Header=BB22_14 Depth=2
	s_ashr_i32 s30, s13, 31
	s_add_u32 s0, s12, s30
	s_mov_b32 s31, s30
	s_addc_u32 s1, s13, s30
	s_xor_b64 s[34:35], s[0:1], s[30:31]
	v_cvt_f32_u32_e32 v7, s34
	v_cvt_f32_u32_e32 v30, s35
	s_sub_u32 s0, 0, s34
	s_subb_u32 s1, 0, s35
	v_mov_b32_e32 v37, v6
	v_fmac_f32_e32 v7, 0x4f800000, v30
	v_rcp_f32_e32 v7, v7
	s_nop 0
	v_mul_f32_e32 v7, 0x5f7ffffc, v7
	v_mul_f32_e32 v30, 0x2f800000, v7
	v_trunc_f32_e32 v30, v30
	v_fmac_f32_e32 v7, 0xcf800000, v30
	v_cvt_u32_f32_e32 v38, v30
	v_cvt_u32_f32_e32 v7, v7
	v_mul_lo_u32 v30, s0, v38
	v_mul_hi_u32 v36, s0, v7
	v_mul_lo_u32 v31, s1, v7
	v_add_u32_e32 v30, v36, v30
	v_mul_lo_u32 v39, s0, v7
	v_add_u32_e32 v40, v30, v31
	v_mul_hi_u32 v31, v7, v40
	v_mul_lo_u32 v30, v7, v40
	v_mul_hi_u32 v36, v7, v39
	v_lshl_add_u64 v[30:31], v[36:37], 0, v[30:31]
	v_mul_hi_u32 v37, v38, v39
	v_mul_lo_u32 v39, v38, v39
	v_add_co_u32_e32 v30, vcc, v30, v39
	v_mul_hi_u32 v36, v38, v40
	s_nop 0
	v_addc_co_u32_e32 v30, vcc, v31, v37, vcc
	v_mov_b32_e32 v31, v6
	s_nop 0
	v_addc_co_u32_e32 v37, vcc, 0, v36, vcc
	v_mul_lo_u32 v36, v38, v40
	v_lshl_add_u64 v[30:31], v[30:31], 0, v[36:37]
	v_add_co_u32_e32 v7, vcc, v7, v30
	v_mul_lo_u32 v36, s0, v7
	s_nop 0
	v_addc_co_u32_e32 v38, vcc, v38, v31, vcc
	v_mul_lo_u32 v30, s0, v38
	v_mul_hi_u32 v31, s0, v7
	v_add_u32_e32 v30, v31, v30
	v_mul_lo_u32 v31, s1, v7
	v_add_u32_e32 v39, v30, v31
	v_mul_hi_u32 v41, v38, v36
	v_mul_lo_u32 v42, v38, v36
	v_mul_hi_u32 v31, v7, v39
	v_mul_lo_u32 v30, v7, v39
	v_mul_hi_u32 v36, v7, v36
	v_mov_b32_e32 v37, v6
	v_lshl_add_u64 v[30:31], v[36:37], 0, v[30:31]
	v_add_co_u32_e32 v30, vcc, v30, v42
	v_mul_hi_u32 v40, v38, v39
	s_nop 0
	v_addc_co_u32_e32 v30, vcc, v31, v41, vcc
	v_mul_lo_u32 v36, v38, v39
	s_nop 0
	v_addc_co_u32_e32 v37, vcc, 0, v40, vcc
	v_mov_b32_e32 v31, v6
	v_lshl_add_u64 v[30:31], v[30:31], 0, v[36:37]
	v_add_co_u32_e32 v7, vcc, v7, v30
	v_ashrrev_i32_e32 v30, 31, v29
	s_nop 0
	v_addc_co_u32_e32 v40, vcc, v38, v31, vcc
	v_mov_b32_e32 v31, v30
	v_lshl_add_u64 v[36:37], v[28:29], 0, v[30:31]
	v_xor_b32_e32 v31, v36, v30
	v_xor_b32_e32 v29, v37, v30
	v_mad_u64_u32 v[36:37], s[0:1], v31, v40, 0
	v_mul_hi_u32 v38, v31, v7
	v_mov_b32_e32 v39, v6
	v_lshl_add_u64 v[36:37], v[38:39], 0, v[36:37]
	v_mad_u64_u32 v[38:39], s[0:1], v29, v40, 0
	v_mad_u64_u32 v[40:41], s[0:1], v29, v7, 0
	v_add_co_u32_e32 v7, vcc, v36, v40
	s_nop 1
	v_addc_co_u32_e32 v36, vcc, v37, v41, vcc
	v_mov_b32_e32 v37, v6
	s_nop 0
	v_addc_co_u32_e32 v39, vcc, 0, v39, vcc
	v_lshl_add_u64 v[36:37], v[36:37], 0, v[38:39]
	v_mul_lo_u32 v7, s35, v36
	v_mul_lo_u32 v40, s34, v37
	v_mad_u64_u32 v[38:39], s[0:1], s34, v36, 0
	v_add3_u32 v7, v39, v40, v7
	v_sub_u32_e32 v39, v29, v7
	v_mov_b32_e32 v40, s35
	v_sub_co_u32_e32 v31, vcc, v31, v38
	s_nop 1
	v_subb_co_u32_e64 v38, s[0:1], v39, v40, vcc
	v_subrev_co_u32_e64 v39, s[0:1], s34, v31
	v_subb_co_u32_e32 v7, vcc, v29, v7, vcc
	s_nop 0
	v_subbrev_co_u32_e64 v38, s[0:1], 0, v38, s[0:1]
	v_cmp_le_u32_e64 s[0:1], s35, v38
	v_cmp_le_u32_e32 vcc, s35, v7
	s_nop 0
	v_cndmask_b32_e64 v40, 0, -1, s[0:1]
	v_cmp_le_u32_e64 s[0:1], s34, v39
	v_cndmask_b32_e64 v29, 0, -1, vcc
	v_cmp_le_u32_e32 vcc, s34, v31
	v_cndmask_b32_e64 v39, 0, -1, s[0:1]
	v_cmp_eq_u32_e64 s[0:1], s35, v38
	v_cndmask_b32_e64 v31, 0, -1, vcc
	v_cmp_eq_u32_e32 vcc, s35, v7
	v_cndmask_b32_e64 v42, v40, v39, s[0:1]
	v_lshl_add_u64 v[38:39], v[36:37], 0, 2
	v_lshl_add_u64 v[40:41], v[36:37], 0, 1
	v_cmp_ne_u32_e64 s[0:1], 0, v42
	v_cndmask_b32_e32 v7, v29, v31, vcc
	v_cmp_ne_u32_e32 vcc, 0, v7
	v_cndmask_b32_e64 v29, v40, v38, s[0:1]
	v_cndmask_b32_e64 v39, v41, v39, s[0:1]
	v_cndmask_b32_e32 v29, v36, v29, vcc
	v_xor_b32_e32 v31, s30, v30
	v_cndmask_b32_e32 v7, v37, v39, vcc
	v_xor_b32_e32 v29, v29, v31
	v_xor_b32_e32 v7, v7, v31
	v_sub_co_u32_e32 v30, vcc, v29, v31
	s_nop 1
	v_subb_co_u32_e32 v31, vcc, v7, v31, vcc
.LBB22_16:                              ;   in Loop: Header=BB22_14 Depth=2
	s_andn2_saveexec_b64 s[0:1], s[28:29]
	s_cbranch_execz .LBB22_18
; %bb.17:                               ;   in Loop: Header=BB22_14 Depth=2
	v_cvt_f32_u32_e32 v7, s12
	s_sub_i32 s28, 0, s12
	v_rcp_iflag_f32_e32 v7, v7
	s_nop 0
	v_mul_f32_e32 v7, 0x4f7ffffe, v7
	v_cvt_u32_f32_e32 v7, v7
	v_mul_lo_u32 v29, s28, v7
	v_mul_hi_u32 v29, v7, v29
	v_add_u32_e32 v7, v7, v29
	v_mul_hi_u32 v7, v28, v7
	v_mul_lo_u32 v29, v7, s12
	v_sub_u32_e32 v29, v28, v29
	v_add_u32_e32 v30, 1, v7
	v_subrev_u32_e32 v31, s12, v29
	v_cmp_le_u32_e32 vcc, s12, v29
	s_nop 1
	v_cndmask_b32_e32 v29, v29, v31, vcc
	v_cndmask_b32_e32 v7, v7, v30, vcc
	v_add_u32_e32 v30, 1, v7
	v_cmp_le_u32_e32 vcc, s12, v29
	v_mov_b32_e32 v31, v6
	s_nop 0
	v_cndmask_b32_e32 v30, v7, v30, vcc
.LBB22_18:                              ;   in Loop: Header=BB22_14 Depth=2
	s_or_b64 exec, exec, s[0:1]
	v_cmp_eq_u64_e32 vcc, v[30:31], v[22:23]
	v_cmp_ne_u64_e64 s[0:1], v[30:31], v[22:23]
	s_and_saveexec_b64 s[28:29], s[0:1]
	s_xor_b64 s[28:29], exec, s[28:29]
; %bb.19:                               ;   in Loop: Header=BB22_14 Depth=2
	v_cmp_lt_i64_e64 s[0:1], v[30:31], v[20:21]
                                        ; implicit-def: $vgpr28_vgpr29
                                        ; implicit-def: $vgpr27
	s_nop 1
	v_cndmask_b32_e64 v21, v21, v31, s[0:1]
	v_cndmask_b32_e64 v20, v20, v30, s[0:1]
; %bb.20:                               ;   in Loop: Header=BB22_14 Depth=2
	s_or_saveexec_b64 s[0:1], s[28:29]
	v_mov_b32_e32 v7, v24
	s_xor_b64 exec, exec, s[0:1]
	s_cbranch_execz .LBB22_13
; %bb.21:                               ;   in Loop: Header=BB22_14 Depth=2
	v_lshl_add_u64 v[30:31], v[24:25], 2, s[16:17]
	global_load_dword v7, v[30:31], off
	v_sub_u32_e32 v25, v28, v26
	v_add_lshl_u32 v25, v33, v25, 2
	ds_write_b8 v32, v1 offset:4096
	s_waitcnt vmcnt(0)
	ds_write_b32 v25, v7
	v_mov_b32_e32 v7, v27
	s_branch .LBB22_13
.LBB22_22:                              ;   in Loop: Header=BB22_11 Depth=1
	s_or_b64 exec, exec, s[26:27]
.LBB22_23:                              ;   in Loop: Header=BB22_11 Depth=1
	s_or_b64 exec, exec, s[24:25]
	v_mov_b32_dpp v22, v7 row_shr:1 row_mask:0xf bank_mask:0xf
	v_min_i32_e32 v7, v22, v7
	s_waitcnt lgkmcnt(0)
	ds_read_u8 v22, v32 offset:4096
	v_mov_b32_dpp v23, v7 row_shr:2 row_mask:0xf bank_mask:0xf
	v_min_i32_e32 v7, v23, v7
	ds_bpermute_b32 v26, v34, v7
	s_waitcnt lgkmcnt(1)
	v_and_b32_e32 v7, 1, v22
	v_cmp_eq_u32_e32 vcc, 1, v7
	v_mov_b32_e32 v7, 0
	s_and_saveexec_b64 s[24:25], vcc
	s_cbranch_execz .LBB22_10
; %bb.24:                               ;   in Loop: Header=BB22_11 Depth=1
	v_add_u32_e32 v22, s36, v5
	v_ashrrev_i32_e32 v5, 31, v4
	v_ashrrev_i32_e32 v23, 31, v22
	v_lshl_add_u64 v[24:25], v[4:5], 3, s[8:9]
	global_store_dwordx2 v[24:25], v[22:23], off
	v_mul_lo_u32 v7, s37, v4
	v_mul_lo_u32 v5, s38, v5
	v_mad_u64_u32 v[22:23], s[0:1], s38, v4, 0
	v_add3_u32 v23, v23, v5, v7
	v_lshlrev_b64 v[22:23], 2, v[22:23]
	v_lshl_add_u64 v[24:25], v[8:9], 0, v[22:23]
	v_lshl_add_u64 v[22:23], v[10:11], 0, v[22:23]
	s_and_saveexec_b64 s[0:1], s[20:21]
	s_cbranch_execz .LBB22_28
; %bb.25:                               ;   in Loop: Header=BB22_11 Depth=1
	s_and_b64 vcc, exec, s[18:19]
	s_cbranch_vccz .LBB22_39
; %bb.26:                               ;   in Loop: Header=BB22_11 Depth=1
	ds_read_b32 v5, v35
	v_lshl_add_u64 v[28:29], v[12:13], 2, v[24:25]
	s_waitcnt lgkmcnt(0)
	global_store_dword v[28:29], v5, off
	s_cbranch_execnz .LBB22_28
.LBB22_27:                              ;   in Loop: Header=BB22_11 Depth=1
	ds_read_b32 v5, v35
	v_lshlrev_b32_e32 v28, 2, v0
	v_mov_b32_e32 v29, v6
	v_lshl_add_u64 v[28:29], v[22:23], 0, v[28:29]
	s_waitcnt lgkmcnt(0)
	global_store_dword v[28:29], v5, off
.LBB22_28:                              ;   in Loop: Header=BB22_11 Depth=1
	s_or_b64 exec, exec, s[0:1]
	v_cndmask_b32_e64 v5, 0, 1, s[18:19]
	v_cmp_ne_u32_e64 s[0:1], 1, v5
	s_and_saveexec_b64 s[26:27], s[22:23]
	s_cbranch_execz .LBB22_32
; %bb.29:                               ;   in Loop: Header=BB22_11 Depth=1
	s_and_b64 vcc, exec, s[0:1]
	s_cbranch_vccnz .LBB22_40
; %bb.30:                               ;   in Loop: Header=BB22_11 Depth=1
	ds_read_b32 v5, v35 offset:16
	v_lshl_add_u64 v[28:29], v[14:15], 2, v[24:25]
	s_waitcnt lgkmcnt(0)
	global_store_dword v[28:29], v5, off
	s_cbranch_execnz .LBB22_32
.LBB22_31:                              ;   in Loop: Header=BB22_11 Depth=1
	ds_read_b32 v5, v35 offset:16
	v_lshlrev_b32_e32 v28, 2, v0
	v_mov_b32_e32 v29, v6
	v_lshl_add_u64 v[28:29], v[22:23], 0, v[28:29]
	s_waitcnt lgkmcnt(0)
	global_store_dword v[28:29], v5, off offset:16
.LBB22_32:                              ;   in Loop: Header=BB22_11 Depth=1
	s_or_b64 exec, exec, s[26:27]
	s_and_saveexec_b64 s[26:27], s[2:3]
	s_cbranch_execz .LBB22_36
; %bb.33:                               ;   in Loop: Header=BB22_11 Depth=1
	s_and_b64 vcc, exec, s[0:1]
	s_cbranch_vccnz .LBB22_41
; %bb.34:                               ;   in Loop: Header=BB22_11 Depth=1
	ds_read_b32 v5, v35 offset:32
	v_lshl_add_u64 v[28:29], v[16:17], 2, v[24:25]
	s_waitcnt lgkmcnt(0)
	global_store_dword v[28:29], v5, off
	s_cbranch_execnz .LBB22_36
.LBB22_35:                              ;   in Loop: Header=BB22_11 Depth=1
	ds_read_b32 v5, v35 offset:32
	v_lshlrev_b32_e32 v28, 2, v0
	v_mov_b32_e32 v29, v6
	v_lshl_add_u64 v[28:29], v[22:23], 0, v[28:29]
	s_waitcnt lgkmcnt(0)
	global_store_dword v[28:29], v5, off offset:32
.LBB22_36:                              ;   in Loop: Header=BB22_11 Depth=1
	s_or_b64 exec, exec, s[26:27]
	v_mov_b32_e32 v7, 1
	s_and_saveexec_b64 s[26:27], s[4:5]
	s_cbranch_execz .LBB22_9
; %bb.37:                               ;   in Loop: Header=BB22_11 Depth=1
	s_and_b64 vcc, exec, s[0:1]
	s_cbranch_vccnz .LBB22_42
; %bb.38:                               ;   in Loop: Header=BB22_11 Depth=1
	ds_read_b32 v5, v35 offset:48
	v_lshl_add_u64 v[24:25], v[18:19], 2, v[24:25]
	s_mov_b32 s28, 1
	s_waitcnt lgkmcnt(0)
	global_store_dword v[24:25], v5, off
	s_cbranch_execnz .LBB22_8
	s_branch .LBB22_43
.LBB22_39:                              ;   in Loop: Header=BB22_11 Depth=1
	s_branch .LBB22_27
.LBB22_40:                              ;   in Loop: Header=BB22_11 Depth=1
	s_branch .LBB22_31
.LBB22_41:                              ;   in Loop: Header=BB22_11 Depth=1
	s_branch .LBB22_35
.LBB22_42:                              ;   in Loop: Header=BB22_11 Depth=1
                                        ; implicit-def: $sgpr28
.LBB22_43:                              ;   in Loop: Header=BB22_11 Depth=1
	ds_read_b32 v5, v35 offset:48
	v_lshlrev_b32_e32 v24, 2, v0
	v_mov_b32_e32 v25, v6
	v_lshl_add_u64 v[22:23], v[22:23], 0, v[24:25]
	s_mov_b32 s28, 1
	s_waitcnt lgkmcnt(0)
	global_store_dword v[22:23], v5, off offset:48
	s_branch .LBB22_8
.LBB22_44:
	s_endpgm
	.section	.rodata,"a",@progbits
	.p2align	6, 0x0
	.amdhsa_kernel _ZN9rocsparseL42csr2bsr_wavefront_per_row_multipass_kernelILj256ELj64ELj16EiilEEv20rocsparse_direction_T4_S2_S2_S2_S2_21rocsparse_index_base_PKT2_PKT3_PKS2_S3_PS4_PS7_PS2_
		.amdhsa_group_segment_fixed_size 4100
		.amdhsa_private_segment_fixed_size 0
		.amdhsa_kernarg_size 112
		.amdhsa_user_sgpr_count 2
		.amdhsa_user_sgpr_dispatch_ptr 0
		.amdhsa_user_sgpr_queue_ptr 0
		.amdhsa_user_sgpr_kernarg_segment_ptr 1
		.amdhsa_user_sgpr_dispatch_id 0
		.amdhsa_user_sgpr_kernarg_preload_length 0
		.amdhsa_user_sgpr_kernarg_preload_offset 0
		.amdhsa_user_sgpr_private_segment_size 0
		.amdhsa_uses_dynamic_stack 0
		.amdhsa_enable_private_segment 0
		.amdhsa_system_sgpr_workgroup_id_x 1
		.amdhsa_system_sgpr_workgroup_id_y 0
		.amdhsa_system_sgpr_workgroup_id_z 0
		.amdhsa_system_sgpr_workgroup_info 0
		.amdhsa_system_vgpr_workitem_id 0
		.amdhsa_next_free_vgpr 43
		.amdhsa_next_free_sgpr 40
		.amdhsa_accum_offset 44
		.amdhsa_reserve_vcc 1
		.amdhsa_float_round_mode_32 0
		.amdhsa_float_round_mode_16_64 0
		.amdhsa_float_denorm_mode_32 3
		.amdhsa_float_denorm_mode_16_64 3
		.amdhsa_dx10_clamp 1
		.amdhsa_ieee_mode 1
		.amdhsa_fp16_overflow 0
		.amdhsa_tg_split 0
		.amdhsa_exception_fp_ieee_invalid_op 0
		.amdhsa_exception_fp_denorm_src 0
		.amdhsa_exception_fp_ieee_div_zero 0
		.amdhsa_exception_fp_ieee_overflow 0
		.amdhsa_exception_fp_ieee_underflow 0
		.amdhsa_exception_fp_ieee_inexact 0
		.amdhsa_exception_int_div_zero 0
	.end_amdhsa_kernel
	.section	.text._ZN9rocsparseL42csr2bsr_wavefront_per_row_multipass_kernelILj256ELj64ELj16EiilEEv20rocsparse_direction_T4_S2_S2_S2_S2_21rocsparse_index_base_PKT2_PKT3_PKS2_S3_PS4_PS7_PS2_,"axG",@progbits,_ZN9rocsparseL42csr2bsr_wavefront_per_row_multipass_kernelILj256ELj64ELj16EiilEEv20rocsparse_direction_T4_S2_S2_S2_S2_21rocsparse_index_base_PKT2_PKT3_PKS2_S3_PS4_PS7_PS2_,comdat
.Lfunc_end22:
	.size	_ZN9rocsparseL42csr2bsr_wavefront_per_row_multipass_kernelILj256ELj64ELj16EiilEEv20rocsparse_direction_T4_S2_S2_S2_S2_21rocsparse_index_base_PKT2_PKT3_PKS2_S3_PS4_PS7_PS2_, .Lfunc_end22-_ZN9rocsparseL42csr2bsr_wavefront_per_row_multipass_kernelILj256ELj64ELj16EiilEEv20rocsparse_direction_T4_S2_S2_S2_S2_21rocsparse_index_base_PKT2_PKT3_PKS2_S3_PS4_PS7_PS2_
                                        ; -- End function
	.section	.AMDGPU.csdata,"",@progbits
; Kernel info:
; codeLenInByte = 2632
; NumSgprs: 46
; NumVgprs: 43
; NumAgprs: 0
; TotalNumVgprs: 43
; ScratchSize: 0
; MemoryBound: 0
; FloatMode: 240
; IeeeMode: 1
; LDSByteSize: 4100 bytes/workgroup (compile time only)
; SGPRBlocks: 5
; VGPRBlocks: 5
; NumSGPRsForWavesPerEU: 46
; NumVGPRsForWavesPerEU: 43
; AccumOffset: 44
; Occupancy: 8
; WaveLimiterHint : 0
; COMPUTE_PGM_RSRC2:SCRATCH_EN: 0
; COMPUTE_PGM_RSRC2:USER_SGPR: 2
; COMPUTE_PGM_RSRC2:TRAP_HANDLER: 0
; COMPUTE_PGM_RSRC2:TGID_X_EN: 1
; COMPUTE_PGM_RSRC2:TGID_Y_EN: 0
; COMPUTE_PGM_RSRC2:TGID_Z_EN: 0
; COMPUTE_PGM_RSRC2:TIDIG_COMP_CNT: 0
; COMPUTE_PGM_RSRC3_GFX90A:ACCUM_OFFSET: 10
; COMPUTE_PGM_RSRC3_GFX90A:TG_SPLIT: 0
	.section	.text._ZN9rocsparseL42csr2bsr_wavefront_per_row_multipass_kernelILj256ELj32ELj16EiilEEv20rocsparse_direction_T4_S2_S2_S2_S2_21rocsparse_index_base_PKT2_PKT3_PKS2_S3_PS4_PS7_PS2_,"axG",@progbits,_ZN9rocsparseL42csr2bsr_wavefront_per_row_multipass_kernelILj256ELj32ELj16EiilEEv20rocsparse_direction_T4_S2_S2_S2_S2_21rocsparse_index_base_PKT2_PKT3_PKS2_S3_PS4_PS7_PS2_,comdat
	.globl	_ZN9rocsparseL42csr2bsr_wavefront_per_row_multipass_kernelILj256ELj32ELj16EiilEEv20rocsparse_direction_T4_S2_S2_S2_S2_21rocsparse_index_base_PKT2_PKT3_PKS2_S3_PS4_PS7_PS2_ ; -- Begin function _ZN9rocsparseL42csr2bsr_wavefront_per_row_multipass_kernelILj256ELj32ELj16EiilEEv20rocsparse_direction_T4_S2_S2_S2_S2_21rocsparse_index_base_PKT2_PKT3_PKS2_S3_PS4_PS7_PS2_
	.p2align	8
	.type	_ZN9rocsparseL42csr2bsr_wavefront_per_row_multipass_kernelILj256ELj32ELj16EiilEEv20rocsparse_direction_T4_S2_S2_S2_S2_21rocsparse_index_base_PKT2_PKT3_PKS2_S3_PS4_PS7_PS2_,@function
_ZN9rocsparseL42csr2bsr_wavefront_per_row_multipass_kernelILj256ELj32ELj16EiilEEv20rocsparse_direction_T4_S2_S2_S2_S2_21rocsparse_index_base_PKT2_PKT3_PKS2_S3_PS4_PS7_PS2_: ; @_ZN9rocsparseL42csr2bsr_wavefront_per_row_multipass_kernelILj256ELj32ELj16EiilEEv20rocsparse_direction_T4_S2_S2_S2_S2_21rocsparse_index_base_PKT2_PKT3_PKS2_S3_PS4_PS7_PS2_
; %bb.0:
	s_load_dwordx2 s[4:5], s[0:1], 0x8
	s_load_dwordx4 s[16:19], s[0:1], 0x18
	s_load_dwordx2 s[20:21], s[0:1], 0x28
	s_load_dword s33, s[0:1], 0x30
	s_load_dwordx2 s[6:7], s[0:1], 0x40
	s_ashr_i32 s3, s2, 31
	v_lshrrev_b32_e32 v40, 5, v0
	s_lshl_b64 s[8:9], s[2:3], 3
	v_bfe_u32 v2, v0, 1, 4
	v_mov_b32_e32 v3, 0
	v_or_b32_e32 v1, s8, v40
	s_waitcnt lgkmcnt(0)
	v_mul_lo_u32 v6, v1, s21
	v_mad_u64_u32 v[4:5], s[10:11], v1, s20, v[2:3]
	s_mul_i32 s3, s9, s20
	v_add3_u32 v5, s3, v5, v6
	v_cmp_gt_i64_e32 vcc, s[4:5], v[4:5]
	v_cmp_gt_i64_e64 s[4:5], s[20:21], v[2:3]
	s_and_b64 s[8:9], s[4:5], vcc
	v_mov_b32_e32 v34, v3
	s_and_saveexec_b64 s[10:11], s[8:9]
	s_cbranch_execz .LBB23_2
; %bb.1:
	v_lshl_add_u64 v[6:7], v[4:5], 2, s[6:7]
	global_load_dword v1, v[6:7], off
	s_waitcnt vmcnt(0)
	v_subrev_u32_e32 v34, s33, v1
.LBB23_2:
	s_or_b64 exec, exec, s[10:11]
	s_and_saveexec_b64 s[10:11], s[8:9]
	s_cbranch_execz .LBB23_4
; %bb.3:
	v_lshl_add_u64 v[4:5], v[4:5], 2, s[6:7]
	global_load_dword v1, v[4:5], off offset:4
	s_waitcnt vmcnt(0)
	v_subrev_u32_e32 v3, s33, v1
.LBB23_4:
	s_or_b64 exec, exec, s[10:11]
	s_load_dword s44, s[0:1], 0x50
	v_lshl_or_b32 v6, s2, 3, v40
	v_mov_b32_e32 v7, 0
	v_cmp_gt_i64_e32 vcc, s[16:17], v[6:7]
	v_mov_b32_e32 v4, v7
	s_and_saveexec_b64 s[2:3], vcc
	s_cbranch_execz .LBB23_6
; %bb.5:
	s_load_dwordx2 s[6:7], s[0:1], 0x60
	s_waitcnt lgkmcnt(0)
	v_lshl_add_u64 v[4:5], v[6:7], 2, s[6:7]
	global_load_dword v1, v[4:5], off
	s_waitcnt vmcnt(0)
	v_subrev_u32_e32 v4, s44, v1
.LBB23_6:
	s_or_b64 exec, exec, s[2:3]
	v_cmp_lt_i64_e64 s[2:3], s[18:19], 1
	s_and_b64 vcc, exec, s[2:3]
	s_cbranch_vccnz .LBB23_64
; %bb.7:
	s_mul_i32 s2, s20, s21
	s_mul_hi_u32 s3, s20, s20
	s_add_i32 s3, s3, s2
	s_load_dwordx2 s[16:17], s[0:1], 0x68
	s_add_i32 s45, s3, s2
	s_load_dwordx2 s[2:3], s[0:1], 0x58
	s_load_dwordx2 s[22:23], s[0:1], 0x48
	s_load_dwordx2 s[24:25], s[0:1], 0x38
	s_load_dword s6, s[0:1], 0x0
	v_mad_u64_u32 v[10:11], s[0:1], v2, s20, 0
	v_mov_b32_e32 v12, v11
	v_mov_b32_e32 v6, 0
	v_and_b32_e32 v0, 1, v0
	v_mad_u64_u32 v[12:13], s[0:1], v2, s21, v[12:13]
	v_lshlrev_b32_e32 v8, 2, v2
	v_mov_b32_e32 v9, v6
	v_mov_b32_e32 v11, v12
	v_or_b32_e32 v16, 2, v0
	s_waitcnt lgkmcnt(0)
	v_lshl_add_u64 v[8:9], s[2:3], 0, v[8:9]
	v_lshl_add_u64 v[10:11], v[10:11], 2, s[2:3]
	v_mad_u64_u32 v[14:15], s[2:3], v16, s20, 0
	v_mov_b32_e32 v17, v6
	v_mov_b32_e32 v18, v15
	v_cmp_gt_u64_e64 s[0:1], s[20:21], v[16:17]
	v_mad_u64_u32 v[16:17], s[2:3], v16, s21, v[18:19]
	v_or_b32_e32 v18, 4, v0
	s_cmp_lg_u32 s6, 0
	v_mov_b32_e32 v15, v16
	v_mad_u64_u32 v[16:17], s[6:7], v18, s20, 0
	v_mov_b32_e32 v19, v6
	v_mov_b32_e32 v20, v17
	v_cmp_gt_u64_e64 s[2:3], s[20:21], v[18:19]
	v_mad_u64_u32 v[18:19], s[6:7], v18, s21, v[20:21]
	v_or_b32_e32 v20, 6, v0
	v_mov_b32_e32 v17, v18
	v_mad_u64_u32 v[18:19], s[8:9], v20, s20, 0
	v_mov_b32_e32 v21, v6
	v_mov_b32_e32 v22, v19
	v_cmp_gt_u64_e64 s[6:7], s[20:21], v[20:21]
	v_mad_u64_u32 v[20:21], s[8:9], v20, s21, v[22:23]
	v_or_b32_e32 v22, 8, v0
	;; [unrolled: 7-line block ×3, first 2 shown]
	v_mov_b32_e32 v21, v22
	v_mad_u64_u32 v[22:23], s[12:13], v24, s20, 0
	v_mov_b32_e32 v25, v6
	v_mov_b32_e32 v26, v23
	v_lshlrev_b32_e32 v1, 8, v40
	v_cmp_gt_u64_e64 s[10:11], s[20:21], v[24:25]
	v_mad_u64_u32 v[24:25], s[12:13], v24, s21, v[26:27]
	v_or_b32_e32 v26, 12, v0
	v_lshl_or_b32 v41, v2, 4, v1
	v_mbcnt_lo_u32_b32 v1, -1, 0
	v_mov_b32_e32 v23, v24
	v_mad_u64_u32 v[24:25], s[14:15], v26, s20, 0
	v_mbcnt_hi_u32_b32 v1, -1, v1
	v_mov_b32_e32 v27, v6
	v_mov_b32_e32 v28, v25
	v_lshlrev_b32_e32 v1, 2, v1
	v_cmp_gt_u64_e64 s[12:13], s[20:21], v[26:27]
	v_mad_u64_u32 v[26:27], s[14:15], v26, s21, v[28:29]
	v_or_b32_e32 v28, 14, v0
	v_or_b32_e32 v42, 4, v1
	;; [unrolled: 1-line block ×4, first 2 shown]
	v_mov_b32_e32 v25, v26
	v_mad_u64_u32 v[26:27], s[28:29], v28, s20, 0
	v_lshlrev_b32_e32 v43, 2, v1
	v_mov_b32_e32 v1, v6
	v_mov_b32_e32 v29, v6
	;; [unrolled: 1-line block ×3, first 2 shown]
	v_cmp_gt_u64_e32 vcc, s[20:21], v[0:1]
	v_cmp_gt_u64_e64 s[14:15], s[20:21], v[28:29]
	v_mad_u64_u32 v[28:29], s[28:29], v28, s21, v[30:31]
	s_mul_i32 s46, s20, s20
	s_mov_b32 s47, 0
	s_cselect_b64 s[26:27], -1, 0
	v_mul_lo_u32 v13, v0, s21
	v_mul_lo_u32 v12, v0, s20
	v_mov_b32_e32 v27, v28
	s_and_b64 s[28:29], s[4:5], vcc
	s_and_b64 s[30:31], s[4:5], s[0:1]
	s_and_b64 s[2:3], s[4:5], s[2:3]
	;; [unrolled: 1-line block ×7, first 2 shown]
	s_mov_b64 s[14:15], 0
	v_mov_b64_e32 v[30:31], 0
	v_mov_b32_e32 v1, 1
	v_mov_b32_e32 v5, 0
	s_branch .LBB23_11
.LBB23_8:                               ;   in Loop: Header=BB23_11 Depth=1
	v_mov_b32_e32 v7, s38
.LBB23_9:                               ;   in Loop: Header=BB23_11 Depth=1
	s_or_b64 exec, exec, s[36:37]
.LBB23_10:                              ;   in Loop: Header=BB23_11 Depth=1
	s_or_b64 exec, exec, s[34:35]
	v_mov_b32_dpp v30, v28 row_shr:1 row_mask:0xf bank_mask:0xf
	v_mov_b32_dpp v31, v29 row_shr:1 row_mask:0xf bank_mask:0xf
	v_cmp_lt_i64_e32 vcc, v[30:31], v[28:29]
	v_add_u32_e32 v4, v7, v4
	s_waitcnt lgkmcnt(0)
	v_cndmask_b32_e32 v29, v29, v31, vcc
	v_cndmask_b32_e32 v28, v28, v30, vcc
	s_nop 0
	v_mov_b32_dpp v31, v29 row_shr:2 row_mask:0xf bank_mask:0xf
	v_mov_b32_dpp v30, v28 row_shr:2 row_mask:0xf bank_mask:0xf
	v_cmp_lt_i64_e32 vcc, v[30:31], v[28:29]
	s_nop 1
	v_cndmask_b32_e32 v29, v29, v31, vcc
	v_cndmask_b32_e32 v28, v28, v30, vcc
	s_nop 0
	v_mov_b32_dpp v31, v29 row_shr:4 row_mask:0xf bank_mask:0xe
	v_mov_b32_dpp v30, v28 row_shr:4 row_mask:0xf bank_mask:0xe
	v_cmp_lt_i64_e32 vcc, v[30:31], v[28:29]
	s_nop 1
	;; [unrolled: 7-line block ×3, first 2 shown]
	v_cndmask_b32_e32 v29, v29, v31, vcc
	v_cndmask_b32_e32 v28, v28, v30, vcc
	s_nop 0
	v_mov_b32_dpp v31, v29 row_bcast:15 row_mask:0xa bank_mask:0xf
	v_mov_b32_dpp v30, v28 row_bcast:15 row_mask:0xa bank_mask:0xf
	v_cmp_lt_i64_e32 vcc, v[30:31], v[28:29]
	s_nop 1
	v_cndmask_b32_e32 v5, v28, v30, vcc
	ds_bpermute_b32 v30, v2, v5
	s_waitcnt lgkmcnt(0)
	v_ashrrev_i32_e32 v31, 31, v30
	v_cmp_le_i64_e32 vcc, s[18:19], v[30:31]
	s_or_b64 s[14:15], vcc, s[14:15]
	v_mov_b32_e32 v5, v30
	s_andn2_b64 exec, exec, s[14:15]
	s_cbranch_execz .LBB23_64
.LBB23_11:                              ; =>This Loop Header: Depth=1
                                        ;     Child Loop BB23_14 Depth 2
	v_add_u32_e32 v32, v34, v0
	v_cmp_lt_i32_e32 vcc, v32, v3
	v_mov_b64_e32 v[28:29], s[18:19]
	v_mov_b32_e32 v7, v3
	ds_write_b8 v40, v6 offset:8192
	ds_write2_b32 v43, v6, v6 offset1:2
	ds_write2_b32 v43, v6, v6 offset0:4 offset1:6
	ds_write2_b32 v43, v6, v6 offset0:8 offset1:10
	;; [unrolled: 1-line block ×3, first 2 shown]
	s_waitcnt lgkmcnt(0)
	s_and_saveexec_b64 s[34:35], vcc
	s_cbranch_execz .LBB23_23
; %bb.12:                               ;   in Loop: Header=BB23_11 Depth=1
	v_mad_u64_u32 v[34:35], s[0:1], v30, s20, 0
	s_mov_b64 s[36:37], 0
	v_mov_b64_e32 v[28:29], s[18:19]
	v_mov_b32_e32 v35, v3
	s_branch .LBB23_14
.LBB23_13:                              ;   in Loop: Header=BB23_14 Depth=2
	s_or_b64 exec, exec, s[0:1]
	v_add_u32_e32 v32, 2, v32
	v_cmp_ge_i32_e64 s[0:1], v32, v3
	s_xor_b64 s[38:39], vcc, -1
	s_or_b64 s[0:1], s[38:39], s[0:1]
	s_and_b64 s[0:1], exec, s[0:1]
	s_or_b64 s[36:37], s[0:1], s[36:37]
	v_mov_b32_e32 v35, v7
	s_andn2_b64 exec, exec, s[36:37]
	s_cbranch_execz .LBB23_22
.LBB23_14:                              ;   Parent Loop BB23_11 Depth=1
                                        ; =>  This Inner Loop Header: Depth=2
	v_ashrrev_i32_e32 v33, 31, v32
	v_lshl_add_u64 v[36:37], v[32:33], 3, s[22:23]
	global_load_dwordx2 v[36:37], v[36:37], off
	v_mov_b32_e32 v7, s47
                                        ; implicit-def: $vgpr38_vgpr39
	s_waitcnt vmcnt(0)
	v_subrev_co_u32_e32 v36, vcc, s33, v36
	s_nop 1
	v_subb_co_u32_e32 v37, vcc, v37, v7, vcc
	v_or_b32_e32 v7, s21, v37
	v_cmp_ne_u64_e32 vcc, 0, v[6:7]
	s_and_saveexec_b64 s[0:1], vcc
	s_xor_b64 s[38:39], exec, s[0:1]
	s_cbranch_execz .LBB23_16
; %bb.15:                               ;   in Loop: Header=BB23_14 Depth=2
	s_ashr_i32 s40, s21, 31
	s_add_u32 s0, s20, s40
	s_mov_b32 s41, s40
	s_addc_u32 s1, s21, s40
	s_xor_b64 s[42:43], s[0:1], s[40:41]
	v_cvt_f32_u32_e32 v7, s42
	v_cvt_f32_u32_e32 v38, s43
	s_sub_u32 s0, 0, s42
	s_subb_u32 s1, 0, s43
	v_mov_b32_e32 v45, v6
	v_fmac_f32_e32 v7, 0x4f800000, v38
	v_rcp_f32_e32 v7, v7
	s_nop 0
	v_mul_f32_e32 v7, 0x5f7ffffc, v7
	v_mul_f32_e32 v38, 0x2f800000, v7
	v_trunc_f32_e32 v38, v38
	v_fmac_f32_e32 v7, 0xcf800000, v38
	v_cvt_u32_f32_e32 v46, v38
	v_cvt_u32_f32_e32 v7, v7
	v_mul_lo_u32 v38, s0, v46
	v_mul_hi_u32 v44, s0, v7
	v_mul_lo_u32 v39, s1, v7
	v_add_u32_e32 v38, v44, v38
	v_mul_lo_u32 v47, s0, v7
	v_add_u32_e32 v48, v38, v39
	v_mul_hi_u32 v39, v7, v48
	v_mul_lo_u32 v38, v7, v48
	v_mul_hi_u32 v44, v7, v47
	v_lshl_add_u64 v[38:39], v[44:45], 0, v[38:39]
	v_mul_hi_u32 v45, v46, v47
	v_mul_lo_u32 v47, v46, v47
	v_add_co_u32_e32 v38, vcc, v38, v47
	v_mul_hi_u32 v44, v46, v48
	s_nop 0
	v_addc_co_u32_e32 v38, vcc, v39, v45, vcc
	v_mov_b32_e32 v39, v6
	s_nop 0
	v_addc_co_u32_e32 v45, vcc, 0, v44, vcc
	v_mul_lo_u32 v44, v46, v48
	v_lshl_add_u64 v[38:39], v[38:39], 0, v[44:45]
	v_add_co_u32_e32 v7, vcc, v7, v38
	v_mul_lo_u32 v44, s0, v7
	s_nop 0
	v_addc_co_u32_e32 v46, vcc, v46, v39, vcc
	v_mul_lo_u32 v38, s0, v46
	v_mul_hi_u32 v39, s0, v7
	v_add_u32_e32 v38, v39, v38
	v_mul_lo_u32 v39, s1, v7
	v_add_u32_e32 v47, v38, v39
	v_mul_hi_u32 v49, v46, v44
	v_mul_lo_u32 v50, v46, v44
	v_mul_hi_u32 v39, v7, v47
	v_mul_lo_u32 v38, v7, v47
	v_mul_hi_u32 v44, v7, v44
	v_mov_b32_e32 v45, v6
	v_lshl_add_u64 v[38:39], v[44:45], 0, v[38:39]
	v_add_co_u32_e32 v38, vcc, v38, v50
	v_mul_hi_u32 v48, v46, v47
	s_nop 0
	v_addc_co_u32_e32 v38, vcc, v39, v49, vcc
	v_mul_lo_u32 v44, v46, v47
	s_nop 0
	v_addc_co_u32_e32 v45, vcc, 0, v48, vcc
	v_mov_b32_e32 v39, v6
	v_lshl_add_u64 v[38:39], v[38:39], 0, v[44:45]
	v_add_co_u32_e32 v7, vcc, v7, v38
	v_ashrrev_i32_e32 v38, 31, v37
	s_nop 0
	v_addc_co_u32_e32 v48, vcc, v46, v39, vcc
	v_mov_b32_e32 v39, v38
	v_lshl_add_u64 v[44:45], v[36:37], 0, v[38:39]
	v_xor_b32_e32 v39, v44, v38
	v_xor_b32_e32 v37, v45, v38
	v_mad_u64_u32 v[44:45], s[0:1], v39, v48, 0
	v_mul_hi_u32 v46, v39, v7
	v_mov_b32_e32 v47, v6
	v_lshl_add_u64 v[44:45], v[46:47], 0, v[44:45]
	v_mad_u64_u32 v[46:47], s[0:1], v37, v48, 0
	v_mad_u64_u32 v[48:49], s[0:1], v37, v7, 0
	v_add_co_u32_e32 v7, vcc, v44, v48
	s_nop 1
	v_addc_co_u32_e32 v44, vcc, v45, v49, vcc
	v_mov_b32_e32 v45, v6
	s_nop 0
	v_addc_co_u32_e32 v47, vcc, 0, v47, vcc
	v_lshl_add_u64 v[44:45], v[44:45], 0, v[46:47]
	v_mul_lo_u32 v7, s43, v44
	v_mul_lo_u32 v48, s42, v45
	v_mad_u64_u32 v[46:47], s[0:1], s42, v44, 0
	v_add3_u32 v7, v47, v48, v7
	v_sub_u32_e32 v47, v37, v7
	v_mov_b32_e32 v48, s43
	v_sub_co_u32_e32 v39, vcc, v39, v46
	s_nop 1
	v_subb_co_u32_e64 v46, s[0:1], v47, v48, vcc
	v_subrev_co_u32_e64 v47, s[0:1], s42, v39
	v_subb_co_u32_e32 v7, vcc, v37, v7, vcc
	s_nop 0
	v_subbrev_co_u32_e64 v46, s[0:1], 0, v46, s[0:1]
	v_cmp_le_u32_e64 s[0:1], s43, v46
	v_cmp_le_u32_e32 vcc, s43, v7
	s_nop 0
	v_cndmask_b32_e64 v48, 0, -1, s[0:1]
	v_cmp_le_u32_e64 s[0:1], s42, v47
	v_cndmask_b32_e64 v37, 0, -1, vcc
	v_cmp_le_u32_e32 vcc, s42, v39
	v_cndmask_b32_e64 v47, 0, -1, s[0:1]
	v_cmp_eq_u32_e64 s[0:1], s43, v46
	v_cndmask_b32_e64 v39, 0, -1, vcc
	v_cmp_eq_u32_e32 vcc, s43, v7
	v_cndmask_b32_e64 v50, v48, v47, s[0:1]
	v_lshl_add_u64 v[46:47], v[44:45], 0, 2
	v_lshl_add_u64 v[48:49], v[44:45], 0, 1
	v_cmp_ne_u32_e64 s[0:1], 0, v50
	v_cndmask_b32_e32 v7, v37, v39, vcc
	v_cmp_ne_u32_e32 vcc, 0, v7
	v_cndmask_b32_e64 v37, v48, v46, s[0:1]
	v_cndmask_b32_e64 v47, v49, v47, s[0:1]
	v_cndmask_b32_e32 v37, v44, v37, vcc
	v_xor_b32_e32 v39, s40, v38
	v_cndmask_b32_e32 v7, v45, v47, vcc
	v_xor_b32_e32 v37, v37, v39
	v_xor_b32_e32 v7, v7, v39
	v_sub_co_u32_e32 v38, vcc, v37, v39
	s_nop 1
	v_subb_co_u32_e32 v39, vcc, v7, v39, vcc
.LBB23_16:                              ;   in Loop: Header=BB23_14 Depth=2
	s_andn2_saveexec_b64 s[0:1], s[38:39]
	s_cbranch_execz .LBB23_18
; %bb.17:                               ;   in Loop: Header=BB23_14 Depth=2
	v_cvt_f32_u32_e32 v7, s20
	s_sub_i32 s38, 0, s20
	v_rcp_iflag_f32_e32 v7, v7
	s_nop 0
	v_mul_f32_e32 v7, 0x4f7ffffe, v7
	v_cvt_u32_f32_e32 v7, v7
	v_mul_lo_u32 v37, s38, v7
	v_mul_hi_u32 v37, v7, v37
	v_add_u32_e32 v7, v7, v37
	v_mul_hi_u32 v7, v36, v7
	v_mul_lo_u32 v37, v7, s20
	v_sub_u32_e32 v37, v36, v37
	v_add_u32_e32 v38, 1, v7
	v_subrev_u32_e32 v39, s20, v37
	v_cmp_le_u32_e32 vcc, s20, v37
	s_nop 1
	v_cndmask_b32_e32 v37, v37, v39, vcc
	v_cndmask_b32_e32 v7, v7, v38, vcc
	v_add_u32_e32 v38, 1, v7
	v_cmp_le_u32_e32 vcc, s20, v37
	v_mov_b32_e32 v39, v6
	s_nop 0
	v_cndmask_b32_e32 v38, v7, v38, vcc
.LBB23_18:                              ;   in Loop: Header=BB23_14 Depth=2
	s_or_b64 exec, exec, s[0:1]
	v_cmp_eq_u64_e32 vcc, v[38:39], v[30:31]
	v_cmp_ne_u64_e64 s[0:1], v[38:39], v[30:31]
	s_and_saveexec_b64 s[38:39], s[0:1]
	s_xor_b64 s[38:39], exec, s[38:39]
; %bb.19:                               ;   in Loop: Header=BB23_14 Depth=2
	v_cmp_lt_i64_e64 s[0:1], v[38:39], v[28:29]
                                        ; implicit-def: $vgpr36_vgpr37
                                        ; implicit-def: $vgpr35
	s_nop 1
	v_cndmask_b32_e64 v29, v29, v39, s[0:1]
	v_cndmask_b32_e64 v28, v28, v38, s[0:1]
; %bb.20:                               ;   in Loop: Header=BB23_14 Depth=2
	s_or_saveexec_b64 s[0:1], s[38:39]
	v_mov_b32_e32 v7, v32
	s_xor_b64 exec, exec, s[0:1]
	s_cbranch_execz .LBB23_13
; %bb.21:                               ;   in Loop: Header=BB23_14 Depth=2
	v_lshl_add_u64 v[38:39], v[32:33], 2, s[24:25]
	global_load_dword v7, v[38:39], off
	v_sub_u32_e32 v33, v36, v34
	v_add_lshl_u32 v33, v41, v33, 2
	ds_write_b8 v40, v1 offset:8192
	s_waitcnt vmcnt(0)
	ds_write_b32 v33, v7
	v_mov_b32_e32 v7, v35
	s_branch .LBB23_13
.LBB23_22:                              ;   in Loop: Header=BB23_11 Depth=1
	s_or_b64 exec, exec, s[36:37]
.LBB23_23:                              ;   in Loop: Header=BB23_11 Depth=1
	s_or_b64 exec, exec, s[34:35]
	s_waitcnt lgkmcnt(0)
	ds_read_u8 v30, v40 offset:8192
	v_mov_b32_dpp v31, v7 row_shr:1 row_mask:0xf bank_mask:0xf
	v_min_i32_e32 v7, v31, v7
	ds_bpermute_b32 v34, v42, v7
	s_waitcnt lgkmcnt(1)
	v_and_b32_e32 v7, 1, v30
	v_cmp_eq_u32_e32 vcc, 1, v7
	v_mov_b32_e32 v7, 0
	s_and_saveexec_b64 s[34:35], vcc
	s_cbranch_execz .LBB23_10
; %bb.24:                               ;   in Loop: Header=BB23_11 Depth=1
	v_add_u32_e32 v30, s44, v5
	v_ashrrev_i32_e32 v5, 31, v4
	v_ashrrev_i32_e32 v31, 31, v30
	v_lshl_add_u64 v[32:33], v[4:5], 3, s[16:17]
	global_store_dwordx2 v[32:33], v[30:31], off
	v_mul_lo_u32 v7, s45, v4
	v_mul_lo_u32 v5, s46, v5
	v_mad_u64_u32 v[30:31], s[0:1], s46, v4, 0
	v_add3_u32 v31, v31, v5, v7
	v_lshlrev_b64 v[30:31], 2, v[30:31]
	v_lshl_add_u64 v[32:33], v[8:9], 0, v[30:31]
	v_lshl_add_u64 v[30:31], v[10:11], 0, v[30:31]
	s_and_saveexec_b64 s[0:1], s[28:29]
	s_cbranch_execz .LBB23_28
; %bb.25:                               ;   in Loop: Header=BB23_11 Depth=1
	s_and_b64 vcc, exec, s[26:27]
	s_cbranch_vccz .LBB23_55
; %bb.26:                               ;   in Loop: Header=BB23_11 Depth=1
	ds_read_b32 v5, v43
	v_lshl_add_u64 v[36:37], v[12:13], 2, v[32:33]
	s_waitcnt lgkmcnt(0)
	global_store_dword v[36:37], v5, off
	s_cbranch_execnz .LBB23_28
.LBB23_27:                              ;   in Loop: Header=BB23_11 Depth=1
	ds_read_b32 v5, v43
	v_lshlrev_b32_e32 v36, 2, v0
	v_mov_b32_e32 v37, v6
	v_lshl_add_u64 v[36:37], v[30:31], 0, v[36:37]
	s_waitcnt lgkmcnt(0)
	global_store_dword v[36:37], v5, off
.LBB23_28:                              ;   in Loop: Header=BB23_11 Depth=1
	s_or_b64 exec, exec, s[0:1]
	v_cndmask_b32_e64 v5, 0, 1, s[26:27]
	v_cmp_ne_u32_e64 s[0:1], 1, v5
	s_and_saveexec_b64 s[36:37], s[30:31]
	s_cbranch_execz .LBB23_32
; %bb.29:                               ;   in Loop: Header=BB23_11 Depth=1
	s_and_b64 vcc, exec, s[0:1]
	s_cbranch_vccnz .LBB23_56
; %bb.30:                               ;   in Loop: Header=BB23_11 Depth=1
	ds_read_b32 v5, v43 offset:8
	v_lshl_add_u64 v[36:37], v[14:15], 2, v[32:33]
	s_waitcnt lgkmcnt(0)
	global_store_dword v[36:37], v5, off
	s_cbranch_execnz .LBB23_32
.LBB23_31:                              ;   in Loop: Header=BB23_11 Depth=1
	ds_read_b32 v5, v43 offset:8
	v_lshlrev_b32_e32 v36, 2, v0
	v_mov_b32_e32 v37, v6
	v_lshl_add_u64 v[36:37], v[30:31], 0, v[36:37]
	s_waitcnt lgkmcnt(0)
	global_store_dword v[36:37], v5, off offset:8
.LBB23_32:                              ;   in Loop: Header=BB23_11 Depth=1
	s_or_b64 exec, exec, s[36:37]
	s_and_saveexec_b64 s[36:37], s[2:3]
	s_cbranch_execz .LBB23_36
; %bb.33:                               ;   in Loop: Header=BB23_11 Depth=1
	s_and_b64 vcc, exec, s[0:1]
	s_cbranch_vccnz .LBB23_57
; %bb.34:                               ;   in Loop: Header=BB23_11 Depth=1
	ds_read_b32 v5, v43 offset:16
	v_lshl_add_u64 v[36:37], v[16:17], 2, v[32:33]
	s_waitcnt lgkmcnt(0)
	global_store_dword v[36:37], v5, off
	s_cbranch_execnz .LBB23_36
.LBB23_35:                              ;   in Loop: Header=BB23_11 Depth=1
	ds_read_b32 v5, v43 offset:16
	v_lshlrev_b32_e32 v36, 2, v0
	v_mov_b32_e32 v37, v6
	v_lshl_add_u64 v[36:37], v[30:31], 0, v[36:37]
	s_waitcnt lgkmcnt(0)
	global_store_dword v[36:37], v5, off offset:16
.LBB23_36:                              ;   in Loop: Header=BB23_11 Depth=1
	s_or_b64 exec, exec, s[36:37]
	s_and_saveexec_b64 s[36:37], s[6:7]
	s_cbranch_execz .LBB23_40
; %bb.37:                               ;   in Loop: Header=BB23_11 Depth=1
	s_and_b64 vcc, exec, s[0:1]
	s_cbranch_vccnz .LBB23_58
; %bb.38:                               ;   in Loop: Header=BB23_11 Depth=1
	ds_read_b32 v5, v43 offset:24
	v_lshl_add_u64 v[36:37], v[18:19], 2, v[32:33]
	s_waitcnt lgkmcnt(0)
	global_store_dword v[36:37], v5, off
	s_cbranch_execnz .LBB23_40
.LBB23_39:                              ;   in Loop: Header=BB23_11 Depth=1
	ds_read_b32 v5, v43 offset:24
	v_lshlrev_b32_e32 v36, 2, v0
	v_mov_b32_e32 v37, v6
	v_lshl_add_u64 v[36:37], v[30:31], 0, v[36:37]
	s_waitcnt lgkmcnt(0)
	global_store_dword v[36:37], v5, off offset:24
.LBB23_40:                              ;   in Loop: Header=BB23_11 Depth=1
	s_or_b64 exec, exec, s[36:37]
	s_and_saveexec_b64 s[36:37], s[8:9]
	s_cbranch_execz .LBB23_44
; %bb.41:                               ;   in Loop: Header=BB23_11 Depth=1
	s_and_b64 vcc, exec, s[0:1]
	s_cbranch_vccnz .LBB23_59
; %bb.42:                               ;   in Loop: Header=BB23_11 Depth=1
	ds_read_b32 v5, v43 offset:32
	v_lshl_add_u64 v[36:37], v[20:21], 2, v[32:33]
	s_waitcnt lgkmcnt(0)
	global_store_dword v[36:37], v5, off
	s_cbranch_execnz .LBB23_44
.LBB23_43:                              ;   in Loop: Header=BB23_11 Depth=1
	ds_read_b32 v5, v43 offset:32
	v_lshlrev_b32_e32 v36, 2, v0
	v_mov_b32_e32 v37, v6
	v_lshl_add_u64 v[36:37], v[30:31], 0, v[36:37]
	s_waitcnt lgkmcnt(0)
	global_store_dword v[36:37], v5, off offset:32
.LBB23_44:                              ;   in Loop: Header=BB23_11 Depth=1
	s_or_b64 exec, exec, s[36:37]
	s_and_saveexec_b64 s[36:37], s[10:11]
	s_cbranch_execz .LBB23_48
; %bb.45:                               ;   in Loop: Header=BB23_11 Depth=1
	s_and_b64 vcc, exec, s[0:1]
	s_cbranch_vccnz .LBB23_60
; %bb.46:                               ;   in Loop: Header=BB23_11 Depth=1
	ds_read_b32 v5, v43 offset:40
	v_lshl_add_u64 v[36:37], v[22:23], 2, v[32:33]
	s_waitcnt lgkmcnt(0)
	global_store_dword v[36:37], v5, off
	s_cbranch_execnz .LBB23_48
.LBB23_47:                              ;   in Loop: Header=BB23_11 Depth=1
	ds_read_b32 v5, v43 offset:40
	v_lshlrev_b32_e32 v36, 2, v0
	v_mov_b32_e32 v37, v6
	v_lshl_add_u64 v[36:37], v[30:31], 0, v[36:37]
	s_waitcnt lgkmcnt(0)
	global_store_dword v[36:37], v5, off offset:40
.LBB23_48:                              ;   in Loop: Header=BB23_11 Depth=1
	s_or_b64 exec, exec, s[36:37]
	s_and_saveexec_b64 s[36:37], s[12:13]
	s_cbranch_execz .LBB23_52
; %bb.49:                               ;   in Loop: Header=BB23_11 Depth=1
	s_and_b64 vcc, exec, s[0:1]
	s_cbranch_vccnz .LBB23_61
; %bb.50:                               ;   in Loop: Header=BB23_11 Depth=1
	ds_read_b32 v5, v43 offset:48
	v_lshl_add_u64 v[36:37], v[24:25], 2, v[32:33]
	s_waitcnt lgkmcnt(0)
	global_store_dword v[36:37], v5, off
	s_cbranch_execnz .LBB23_52
.LBB23_51:                              ;   in Loop: Header=BB23_11 Depth=1
	ds_read_b32 v5, v43 offset:48
	v_lshlrev_b32_e32 v36, 2, v0
	v_mov_b32_e32 v37, v6
	v_lshl_add_u64 v[36:37], v[30:31], 0, v[36:37]
	s_waitcnt lgkmcnt(0)
	global_store_dword v[36:37], v5, off offset:48
.LBB23_52:                              ;   in Loop: Header=BB23_11 Depth=1
	s_or_b64 exec, exec, s[36:37]
	v_mov_b32_e32 v7, 1
	s_and_saveexec_b64 s[36:37], s[4:5]
	s_cbranch_execz .LBB23_9
; %bb.53:                               ;   in Loop: Header=BB23_11 Depth=1
	s_and_b64 vcc, exec, s[0:1]
	s_cbranch_vccnz .LBB23_62
; %bb.54:                               ;   in Loop: Header=BB23_11 Depth=1
	ds_read_b32 v5, v43 offset:56
	v_lshl_add_u64 v[32:33], v[26:27], 2, v[32:33]
	s_mov_b32 s38, 1
	s_waitcnt lgkmcnt(0)
	global_store_dword v[32:33], v5, off
	s_cbranch_execnz .LBB23_8
	s_branch .LBB23_63
.LBB23_55:                              ;   in Loop: Header=BB23_11 Depth=1
	s_branch .LBB23_27
.LBB23_56:                              ;   in Loop: Header=BB23_11 Depth=1
	s_branch .LBB23_31
.LBB23_57:                              ;   in Loop: Header=BB23_11 Depth=1
	s_branch .LBB23_35
.LBB23_58:                              ;   in Loop: Header=BB23_11 Depth=1
	s_branch .LBB23_39
.LBB23_59:                              ;   in Loop: Header=BB23_11 Depth=1
	s_branch .LBB23_43
.LBB23_60:                              ;   in Loop: Header=BB23_11 Depth=1
	s_branch .LBB23_47
.LBB23_61:                              ;   in Loop: Header=BB23_11 Depth=1
	s_branch .LBB23_51
.LBB23_62:                              ;   in Loop: Header=BB23_11 Depth=1
                                        ; implicit-def: $sgpr38
.LBB23_63:                              ;   in Loop: Header=BB23_11 Depth=1
	ds_read_b32 v5, v43 offset:56
	v_lshlrev_b32_e32 v32, 2, v0
	v_mov_b32_e32 v33, v6
	v_lshl_add_u64 v[30:31], v[30:31], 0, v[32:33]
	s_mov_b32 s38, 1
	s_waitcnt lgkmcnt(0)
	global_store_dword v[30:31], v5, off offset:56
	s_branch .LBB23_8
.LBB23_64:
	s_endpgm
	.section	.rodata,"a",@progbits
	.p2align	6, 0x0
	.amdhsa_kernel _ZN9rocsparseL42csr2bsr_wavefront_per_row_multipass_kernelILj256ELj32ELj16EiilEEv20rocsparse_direction_T4_S2_S2_S2_S2_21rocsparse_index_base_PKT2_PKT3_PKS2_S3_PS4_PS7_PS2_
		.amdhsa_group_segment_fixed_size 8200
		.amdhsa_private_segment_fixed_size 0
		.amdhsa_kernarg_size 112
		.amdhsa_user_sgpr_count 2
		.amdhsa_user_sgpr_dispatch_ptr 0
		.amdhsa_user_sgpr_queue_ptr 0
		.amdhsa_user_sgpr_kernarg_segment_ptr 1
		.amdhsa_user_sgpr_dispatch_id 0
		.amdhsa_user_sgpr_kernarg_preload_length 0
		.amdhsa_user_sgpr_kernarg_preload_offset 0
		.amdhsa_user_sgpr_private_segment_size 0
		.amdhsa_uses_dynamic_stack 0
		.amdhsa_enable_private_segment 0
		.amdhsa_system_sgpr_workgroup_id_x 1
		.amdhsa_system_sgpr_workgroup_id_y 0
		.amdhsa_system_sgpr_workgroup_id_z 0
		.amdhsa_system_sgpr_workgroup_info 0
		.amdhsa_system_vgpr_workitem_id 0
		.amdhsa_next_free_vgpr 51
		.amdhsa_next_free_sgpr 48
		.amdhsa_accum_offset 52
		.amdhsa_reserve_vcc 1
		.amdhsa_float_round_mode_32 0
		.amdhsa_float_round_mode_16_64 0
		.amdhsa_float_denorm_mode_32 3
		.amdhsa_float_denorm_mode_16_64 3
		.amdhsa_dx10_clamp 1
		.amdhsa_ieee_mode 1
		.amdhsa_fp16_overflow 0
		.amdhsa_tg_split 0
		.amdhsa_exception_fp_ieee_invalid_op 0
		.amdhsa_exception_fp_denorm_src 0
		.amdhsa_exception_fp_ieee_div_zero 0
		.amdhsa_exception_fp_ieee_overflow 0
		.amdhsa_exception_fp_ieee_underflow 0
		.amdhsa_exception_fp_ieee_inexact 0
		.amdhsa_exception_int_div_zero 0
	.end_amdhsa_kernel
	.section	.text._ZN9rocsparseL42csr2bsr_wavefront_per_row_multipass_kernelILj256ELj32ELj16EiilEEv20rocsparse_direction_T4_S2_S2_S2_S2_21rocsparse_index_base_PKT2_PKT3_PKS2_S3_PS4_PS7_PS2_,"axG",@progbits,_ZN9rocsparseL42csr2bsr_wavefront_per_row_multipass_kernelILj256ELj32ELj16EiilEEv20rocsparse_direction_T4_S2_S2_S2_S2_21rocsparse_index_base_PKT2_PKT3_PKS2_S3_PS4_PS7_PS2_,comdat
.Lfunc_end23:
	.size	_ZN9rocsparseL42csr2bsr_wavefront_per_row_multipass_kernelILj256ELj32ELj16EiilEEv20rocsparse_direction_T4_S2_S2_S2_S2_21rocsparse_index_base_PKT2_PKT3_PKS2_S3_PS4_PS7_PS2_, .Lfunc_end23-_ZN9rocsparseL42csr2bsr_wavefront_per_row_multipass_kernelILj256ELj32ELj16EiilEEv20rocsparse_direction_T4_S2_S2_S2_S2_21rocsparse_index_base_PKT2_PKT3_PKS2_S3_PS4_PS7_PS2_
                                        ; -- End function
	.section	.AMDGPU.csdata,"",@progbits
; Kernel info:
; codeLenInByte = 3136
; NumSgprs: 54
; NumVgprs: 51
; NumAgprs: 0
; TotalNumVgprs: 51
; ScratchSize: 0
; MemoryBound: 0
; FloatMode: 240
; IeeeMode: 1
; LDSByteSize: 8200 bytes/workgroup (compile time only)
; SGPRBlocks: 6
; VGPRBlocks: 6
; NumSGPRsForWavesPerEU: 54
; NumVGPRsForWavesPerEU: 51
; AccumOffset: 52
; Occupancy: 7
; WaveLimiterHint : 0
; COMPUTE_PGM_RSRC2:SCRATCH_EN: 0
; COMPUTE_PGM_RSRC2:USER_SGPR: 2
; COMPUTE_PGM_RSRC2:TRAP_HANDLER: 0
; COMPUTE_PGM_RSRC2:TGID_X_EN: 1
; COMPUTE_PGM_RSRC2:TGID_Y_EN: 0
; COMPUTE_PGM_RSRC2:TGID_Z_EN: 0
; COMPUTE_PGM_RSRC2:TIDIG_COMP_CNT: 0
; COMPUTE_PGM_RSRC3_GFX90A:ACCUM_OFFSET: 12
; COMPUTE_PGM_RSRC3_GFX90A:TG_SPLIT: 0
	.section	.text._ZN9rocsparseL38csr2bsr_block_per_row_multipass_kernelILj256ELj32EiilEEv20rocsparse_direction_T3_S2_S2_S2_S2_21rocsparse_index_base_PKT1_PKT2_PKS2_S3_PS4_PS7_PS2_,"axG",@progbits,_ZN9rocsparseL38csr2bsr_block_per_row_multipass_kernelILj256ELj32EiilEEv20rocsparse_direction_T3_S2_S2_S2_S2_21rocsparse_index_base_PKT1_PKT2_PKS2_S3_PS4_PS7_PS2_,comdat
	.globl	_ZN9rocsparseL38csr2bsr_block_per_row_multipass_kernelILj256ELj32EiilEEv20rocsparse_direction_T3_S2_S2_S2_S2_21rocsparse_index_base_PKT1_PKT2_PKS2_S3_PS4_PS7_PS2_ ; -- Begin function _ZN9rocsparseL38csr2bsr_block_per_row_multipass_kernelILj256ELj32EiilEEv20rocsparse_direction_T3_S2_S2_S2_S2_21rocsparse_index_base_PKT1_PKT2_PKS2_S3_PS4_PS7_PS2_
	.p2align	8
	.type	_ZN9rocsparseL38csr2bsr_block_per_row_multipass_kernelILj256ELj32EiilEEv20rocsparse_direction_T3_S2_S2_S2_S2_21rocsparse_index_base_PKT1_PKT2_PKS2_S3_PS4_PS7_PS2_,@function
_ZN9rocsparseL38csr2bsr_block_per_row_multipass_kernelILj256ELj32EiilEEv20rocsparse_direction_T3_S2_S2_S2_S2_21rocsparse_index_base_PKT1_PKT2_PKS2_S3_PS4_PS7_PS2_: ; @_ZN9rocsparseL38csr2bsr_block_per_row_multipass_kernelILj256ELj32EiilEEv20rocsparse_direction_T3_S2_S2_S2_S2_21rocsparse_index_base_PKT1_PKT2_PKS2_S3_PS4_PS7_PS2_
; %bb.0:
	s_load_dwordx2 s[6:7], s[0:1], 0x8
	s_load_dwordx4 s[20:23], s[0:1], 0x20
	s_load_dword s33, s[0:1], 0x30
	s_load_dwordx2 s[4:5], s[0:1], 0x40
	s_ashr_i32 s3, s2, 31
	v_lshrrev_b32_e32 v2, 3, v0
	v_mov_b32_e32 v3, 0
	s_waitcnt lgkmcnt(0)
	s_mul_i32 s8, s2, s23
	s_mul_i32 s9, s3, s22
	v_mov_b32_e32 v1, s22
	s_add_i32 s10, s8, s9
	v_mad_u64_u32 v[4:5], s[8:9], s2, v1, v[2:3]
	v_add_u32_e32 v5, s10, v5
	v_cmp_gt_i64_e32 vcc, s[6:7], v[4:5]
	v_cmp_gt_i64_e64 s[18:19], s[22:23], v[2:3]
	s_and_b64 s[6:7], s[18:19], vcc
	v_mov_b32_e32 v24, v3
	s_and_saveexec_b64 s[8:9], s[6:7]
	s_cbranch_execnz .LBB24_3
; %bb.1:
	s_or_b64 exec, exec, s[8:9]
	s_and_saveexec_b64 s[8:9], s[6:7]
	s_cbranch_execnz .LBB24_4
.LBB24_2:
	s_or_b64 exec, exec, s[8:9]
	v_cmp_lt_i64_e64 s[4:5], s[20:21], 1
	s_and_b64 vcc, exec, s[4:5]
	s_cbranch_vccz .LBB24_5
	s_branch .LBB24_45
.LBB24_3:
	v_lshl_add_u64 v[6:7], v[4:5], 2, s[4:5]
	global_load_dword v1, v[6:7], off
	s_waitcnt vmcnt(0)
	v_subrev_u32_e32 v24, s33, v1
	s_or_b64 exec, exec, s[8:9]
	s_and_saveexec_b64 s[8:9], s[6:7]
	s_cbranch_execz .LBB24_2
.LBB24_4:
	v_lshl_add_u64 v[4:5], v[4:5], 2, s[4:5]
	global_load_dword v1, v[4:5], off offset:4
	s_waitcnt vmcnt(0)
	v_subrev_u32_e32 v3, s33, v1
	s_or_b64 exec, exec, s[8:9]
	v_cmp_lt_i64_e64 s[4:5], s[20:21], 1
	s_and_b64 vcc, exec, s[4:5]
	s_cbranch_vccnz .LBB24_45
.LBB24_5:
	s_load_dwordx2 s[24:25], s[0:1], 0x68
	s_load_dwordx4 s[4:7], s[0:1], 0x58
	s_mul_i32 s8, s22, s23
	s_mul_hi_u32 s9, s22, s22
	s_add_i32 s9, s9, s8
	s_add_i32 s56, s9, s8
	s_lshl_b64 s[2:3], s[2:3], 2
	s_waitcnt lgkmcnt(0)
	s_add_u32 s2, s6, s2
	s_load_dword s59, s[0:1], 0x50
	s_addc_u32 s3, s7, s3
	s_load_dword s6, s[2:3], 0x0
	s_load_dwordx2 s[26:27], s[0:1], 0x48
	s_load_dwordx2 s[28:29], s[0:1], 0x38
	s_load_dword s7, s[0:1], 0x0
	v_mad_u64_u32 v[10:11], s[2:3], v2, s22, 0
	v_mov_b32_e32 v12, v11
	v_mov_b32_e32 v4, 0
	v_mad_u64_u32 v[12:13], s[2:3], v2, s23, v[12:13]
	v_lshlrev_b32_e32 v6, 2, v2
	v_mov_b32_e32 v7, v4
	v_and_b32_e32 v8, 7, v0
	s_waitcnt lgkmcnt(0)
	s_sub_i32 s30, s6, s59
	v_lshlrev_b32_e32 v28, 5, v2
	v_mbcnt_lo_u32_b32 v1, -1, 0
	v_mov_b32_e32 v11, v12
	s_movk_i32 s2, 0x80
	v_lshl_add_u64 v[6:7], s[4:5], 0, v[6:7]
	v_mbcnt_hi_u32_b32 v1, -1, v1
	s_cmp_eq_u32 s7, 0
	v_lshl_add_u64 v[10:11], v[10:11], 2, s[4:5]
	v_lshlrev_b32_e32 v2, 3, v0
	v_cmp_gt_u32_e64 s[2:3], s2, v0
	v_cmp_gt_u32_e64 s[4:5], 64, v0
	;; [unrolled: 1-line block ×7, first 2 shown]
	v_cmp_eq_u32_e64 s[16:17], 0, v0
	v_or_b32_e32 v0, v28, v8
	v_lshl_or_b32 v29, v1, 2, 28
	v_lshlrev_b32_e32 v12, 2, v8
	v_mov_b32_e32 v13, v4
	v_lshlrev_b32_e32 v30, 2, v0
	v_mad_u64_u32 v[0:1], s[36:37], v8, s22, 0
	v_lshl_add_u64 v[10:11], v[10:11], 0, v[12:13]
	v_mov_b32_e32 v12, v1
	v_mad_u64_u32 v[12:13], s[36:37], v8, s23, v[12:13]
	v_or_b32_e32 v14, 8, v8
	v_mov_b32_e32 v9, v4
	v_mov_b32_e32 v1, v12
	v_mad_u64_u32 v[12:13], s[38:39], v14, s22, 0
	v_cmp_gt_i64_e32 vcc, s[22:23], v[8:9]
	v_mov_b32_e32 v15, v4
	v_mov_b32_e32 v16, v13
	s_cselect_b64 s[0:1], -1, 0
	s_and_b64 s[34:35], s[18:19], vcc
	v_cmp_gt_i64_e32 vcc, s[22:23], v[14:15]
	v_mad_u64_u32 v[14:15], s[38:39], v14, s23, v[16:17]
	v_or_b32_e32 v16, 16, v8
	v_mov_b32_e32 v13, v14
	v_mad_u64_u32 v[14:15], s[40:41], v16, s22, 0
	v_mov_b32_e32 v17, v4
	v_mov_b32_e32 v18, v15
	s_and_b64 s[36:37], s[18:19], vcc
	v_cmp_gt_i64_e32 vcc, s[22:23], v[16:17]
	v_mad_u64_u32 v[16:17], s[40:41], v16, s23, v[18:19]
	v_or_b32_e32 v18, 24, v8
	v_mov_b32_e32 v19, v4
	s_and_b64 s[38:39], s[18:19], vcc
	v_cmp_gt_i64_e32 vcc, s[22:23], v[18:19]
	v_mov_b32_e32 v15, v16
	s_and_b64 s[40:41], s[18:19], vcc
	v_mad_u64_u32 v[16:17], s[18:19], v18, s22, 0
	v_mov_b32_e32 v20, v17
	v_mad_u64_u32 v[18:19], s[18:19], v18, s23, v[20:21]
	s_mul_i32 s57, s22, s22
	s_mov_b32 s58, 0
	v_mov_b32_e32 v17, v18
	s_mov_b64 s[44:45], 0
	s_mov_b64 s[42:43], 0x60
	v_mov_b32_e32 v9, 1
	v_mov_b32_e32 v20, 0
	s_branch .LBB24_7
.LBB24_6:                               ;   in Loop: Header=BB24_7 Depth=1
	s_or_b64 exec, exec, s[18:19]
	s_waitcnt lgkmcnt(0)
	s_barrier
	ds_read_b64 v[20:21], v4
	v_mov_b64_e32 v[18:19], s[20:21]
	s_add_i32 s30, s31, s30
	s_waitcnt lgkmcnt(0)
	s_barrier
	v_readfirstlane_b32 s18, v20
	v_readfirstlane_b32 s19, v21
	s_bfe_i64 s[44:45], s[18:19], 0x200000
	v_cmp_lt_i64_e32 vcc, s[44:45], v[18:19]
	s_cbranch_vccz .LBB24_45
.LBB24_7:                               ; =>This Loop Header: Depth=1
                                        ;     Child Loop BB24_10 Depth 2
	v_add_u32_e32 v22, v24, v8
	v_cmp_lt_i32_e32 vcc, v22, v3
	v_mov_b64_e32 v[18:19], s[20:21]
	v_mov_b32_e32 v5, v3
	ds_write_b8 v4, v4 offset:4096
	ds_write2_b32 v30, v4, v4 offset1:8
	ds_write2_b32 v30, v4, v4 offset0:16 offset1:24
	s_waitcnt lgkmcnt(0)
	s_barrier
	s_and_saveexec_b64 s[46:47], vcc
	s_cbranch_execz .LBB24_19
; %bb.8:                                ;   in Loop: Header=BB24_7 Depth=1
	s_mul_i32 s31, s44, s22
	s_mov_b64 s[48:49], 0
	v_mov_b64_e32 v[18:19], s[20:21]
	v_mov_b32_e32 v21, v3
	s_branch .LBB24_10
.LBB24_9:                               ;   in Loop: Header=BB24_10 Depth=2
	s_or_b64 exec, exec, s[18:19]
	v_add_u32_e32 v22, 8, v22
	v_cmp_ge_i32_e64 s[18:19], v22, v3
	s_xor_b64 s[50:51], vcc, -1
	s_or_b64 s[18:19], s[50:51], s[18:19]
	s_and_b64 s[18:19], exec, s[18:19]
	s_or_b64 s[48:49], s[18:19], s[48:49]
	v_mov_b32_e32 v21, v5
	s_andn2_b64 exec, exec, s[48:49]
	s_cbranch_execz .LBB24_18
.LBB24_10:                              ;   Parent Loop BB24_7 Depth=1
                                        ; =>  This Inner Loop Header: Depth=2
	v_ashrrev_i32_e32 v23, 31, v22
	v_lshl_add_u64 v[24:25], v[22:23], 3, s[26:27]
	global_load_dwordx2 v[24:25], v[24:25], off
	v_mov_b32_e32 v5, s58
                                        ; implicit-def: $vgpr26_vgpr27
	s_waitcnt vmcnt(0)
	v_subrev_co_u32_e32 v24, vcc, s33, v24
	s_nop 1
	v_subb_co_u32_e32 v25, vcc, v25, v5, vcc
	v_or_b32_e32 v5, s23, v25
	v_cmp_ne_u64_e32 vcc, 0, v[4:5]
	s_and_saveexec_b64 s[18:19], vcc
	s_xor_b64 s[50:51], exec, s[18:19]
	s_cbranch_execz .LBB24_12
; %bb.11:                               ;   in Loop: Header=BB24_10 Depth=2
	s_ashr_i32 s52, s23, 31
	s_add_u32 s18, s22, s52
	s_mov_b32 s53, s52
	s_addc_u32 s19, s23, s52
	s_xor_b64 s[54:55], s[18:19], s[52:53]
	v_cvt_f32_u32_e32 v5, s54
	v_cvt_f32_u32_e32 v26, s55
	s_sub_u32 s18, 0, s54
	s_subb_u32 s19, 0, s55
	v_mov_b32_e32 v33, v4
	v_fmac_f32_e32 v5, 0x4f800000, v26
	v_rcp_f32_e32 v5, v5
	s_nop 0
	v_mul_f32_e32 v5, 0x5f7ffffc, v5
	v_mul_f32_e32 v26, 0x2f800000, v5
	v_trunc_f32_e32 v26, v26
	v_fmac_f32_e32 v5, 0xcf800000, v26
	v_cvt_u32_f32_e32 v31, v26
	v_cvt_u32_f32_e32 v5, v5
	v_mul_lo_u32 v26, s18, v31
	v_mul_hi_u32 v32, s18, v5
	v_mul_lo_u32 v27, s19, v5
	v_add_u32_e32 v26, v32, v26
	v_mul_lo_u32 v34, s18, v5
	v_add_u32_e32 v35, v26, v27
	v_mul_hi_u32 v27, v5, v35
	v_mul_lo_u32 v26, v5, v35
	v_mul_hi_u32 v32, v5, v34
	v_lshl_add_u64 v[26:27], v[32:33], 0, v[26:27]
	v_mul_hi_u32 v33, v31, v34
	v_mul_lo_u32 v34, v31, v34
	v_add_co_u32_e32 v26, vcc, v26, v34
	v_mul_hi_u32 v32, v31, v35
	s_nop 0
	v_addc_co_u32_e32 v26, vcc, v27, v33, vcc
	v_mov_b32_e32 v27, v4
	s_nop 0
	v_addc_co_u32_e32 v33, vcc, 0, v32, vcc
	v_mul_lo_u32 v32, v31, v35
	v_lshl_add_u64 v[26:27], v[26:27], 0, v[32:33]
	v_add_co_u32_e32 v5, vcc, v5, v26
	v_mul_lo_u32 v32, s18, v5
	s_nop 0
	v_addc_co_u32_e32 v31, vcc, v31, v27, vcc
	v_mul_lo_u32 v26, s18, v31
	v_mul_hi_u32 v27, s18, v5
	v_add_u32_e32 v26, v27, v26
	v_mul_lo_u32 v27, s19, v5
	v_add_u32_e32 v34, v26, v27
	v_mul_hi_u32 v36, v31, v32
	v_mul_lo_u32 v37, v31, v32
	v_mul_hi_u32 v27, v5, v34
	v_mul_lo_u32 v26, v5, v34
	v_mul_hi_u32 v32, v5, v32
	v_mov_b32_e32 v33, v4
	v_lshl_add_u64 v[26:27], v[32:33], 0, v[26:27]
	v_add_co_u32_e32 v26, vcc, v26, v37
	v_mul_hi_u32 v35, v31, v34
	s_nop 0
	v_addc_co_u32_e32 v26, vcc, v27, v36, vcc
	v_mul_lo_u32 v32, v31, v34
	s_nop 0
	v_addc_co_u32_e32 v33, vcc, 0, v35, vcc
	v_mov_b32_e32 v27, v4
	v_lshl_add_u64 v[26:27], v[26:27], 0, v[32:33]
	v_add_co_u32_e32 v5, vcc, v5, v26
	v_ashrrev_i32_e32 v26, 31, v25
	s_nop 0
	v_addc_co_u32_e32 v31, vcc, v31, v27, vcc
	v_mov_b32_e32 v27, v26
	v_lshl_add_u64 v[32:33], v[24:25], 0, v[26:27]
	v_xor_b32_e32 v27, v32, v26
	v_xor_b32_e32 v25, v33, v26
	v_mad_u64_u32 v[32:33], s[18:19], v27, v31, 0
	v_mul_hi_u32 v34, v27, v5
	v_mov_b32_e32 v35, v4
	v_lshl_add_u64 v[32:33], v[34:35], 0, v[32:33]
	v_mad_u64_u32 v[36:37], s[18:19], v25, v5, 0
	v_add_co_u32_e32 v5, vcc, v32, v36
	v_mad_u64_u32 v[34:35], s[18:19], v25, v31, 0
	s_nop 0
	v_addc_co_u32_e32 v32, vcc, v33, v37, vcc
	v_mov_b32_e32 v33, v4
	s_nop 0
	v_addc_co_u32_e32 v35, vcc, 0, v35, vcc
	v_lshl_add_u64 v[32:33], v[32:33], 0, v[34:35]
	v_mul_lo_u32 v5, s55, v32
	v_mul_lo_u32 v31, s54, v33
	v_mad_u64_u32 v[34:35], s[18:19], s54, v32, 0
	v_add3_u32 v5, v35, v31, v5
	v_sub_u32_e32 v31, v25, v5
	v_mov_b32_e32 v35, s55
	v_sub_co_u32_e32 v27, vcc, v27, v34
	v_lshl_add_u64 v[36:37], v[32:33], 0, 1
	s_nop 0
	v_subb_co_u32_e64 v31, s[18:19], v31, v35, vcc
	v_subrev_co_u32_e64 v34, s[18:19], s54, v27
	v_subb_co_u32_e32 v5, vcc, v25, v5, vcc
	s_nop 0
	v_subbrev_co_u32_e64 v31, s[18:19], 0, v31, s[18:19]
	v_cmp_le_u32_e64 s[18:19], s55, v31
	v_cmp_le_u32_e32 vcc, s55, v5
	s_nop 0
	v_cndmask_b32_e64 v35, 0, -1, s[18:19]
	v_cmp_le_u32_e64 s[18:19], s54, v34
	v_cndmask_b32_e64 v25, 0, -1, vcc
	v_cmp_le_u32_e32 vcc, s54, v27
	v_cndmask_b32_e64 v34, 0, -1, s[18:19]
	v_cmp_eq_u32_e64 s[18:19], s55, v31
	v_cndmask_b32_e64 v27, 0, -1, vcc
	v_cmp_eq_u32_e32 vcc, s55, v5
	v_cndmask_b32_e64 v31, v35, v34, s[18:19]
	v_lshl_add_u64 v[34:35], v[32:33], 0, 2
	v_cmp_ne_u32_e64 s[18:19], 0, v31
	v_cndmask_b32_e32 v5, v25, v27, vcc
	v_cmp_ne_u32_e32 vcc, 0, v5
	v_cndmask_b32_e64 v25, v36, v34, s[18:19]
	v_cndmask_b32_e64 v31, v37, v35, s[18:19]
	v_cndmask_b32_e32 v25, v32, v25, vcc
	v_xor_b32_e32 v27, s52, v26
	v_cndmask_b32_e32 v5, v33, v31, vcc
	v_xor_b32_e32 v25, v25, v27
	v_xor_b32_e32 v5, v5, v27
	v_sub_co_u32_e32 v26, vcc, v25, v27
	s_nop 1
	v_subb_co_u32_e32 v27, vcc, v5, v27, vcc
.LBB24_12:                              ;   in Loop: Header=BB24_10 Depth=2
	s_andn2_saveexec_b64 s[18:19], s[50:51]
	s_cbranch_execz .LBB24_14
; %bb.13:                               ;   in Loop: Header=BB24_10 Depth=2
	v_cvt_f32_u32_e32 v5, s22
	s_sub_i32 s50, 0, s22
	v_rcp_iflag_f32_e32 v5, v5
	s_nop 0
	v_mul_f32_e32 v5, 0x4f7ffffe, v5
	v_cvt_u32_f32_e32 v5, v5
	v_mul_lo_u32 v25, s50, v5
	v_mul_hi_u32 v25, v5, v25
	v_add_u32_e32 v5, v5, v25
	v_mul_hi_u32 v5, v24, v5
	v_mul_lo_u32 v25, v5, s22
	v_sub_u32_e32 v25, v24, v25
	v_add_u32_e32 v26, 1, v5
	v_subrev_u32_e32 v27, s22, v25
	v_cmp_le_u32_e32 vcc, s22, v25
	s_nop 1
	v_cndmask_b32_e32 v25, v25, v27, vcc
	v_cndmask_b32_e32 v5, v5, v26, vcc
	v_add_u32_e32 v26, 1, v5
	v_cmp_le_u32_e32 vcc, s22, v25
	v_mov_b32_e32 v27, v4
	s_nop 0
	v_cndmask_b32_e32 v26, v5, v26, vcc
.LBB24_14:                              ;   in Loop: Header=BB24_10 Depth=2
	s_or_b64 exec, exec, s[18:19]
	v_cmp_eq_u64_e32 vcc, s[44:45], v[26:27]
	v_cmp_ne_u64_e64 s[18:19], s[44:45], v[26:27]
	s_and_saveexec_b64 s[50:51], s[18:19]
	s_xor_b64 s[50:51], exec, s[50:51]
; %bb.15:                               ;   in Loop: Header=BB24_10 Depth=2
	v_cmp_lt_i64_e64 s[18:19], v[26:27], v[18:19]
                                        ; implicit-def: $vgpr24_vgpr25
                                        ; implicit-def: $vgpr21
	s_nop 1
	v_cndmask_b32_e64 v19, v19, v27, s[18:19]
	v_cndmask_b32_e64 v18, v18, v26, s[18:19]
; %bb.16:                               ;   in Loop: Header=BB24_10 Depth=2
	s_or_saveexec_b64 s[18:19], s[50:51]
	v_mov_b32_e32 v5, v22
	s_xor_b64 exec, exec, s[18:19]
	s_cbranch_execz .LBB24_9
; %bb.17:                               ;   in Loop: Header=BB24_10 Depth=2
	v_lshl_add_u64 v[26:27], v[22:23], 2, s[28:29]
	global_load_dword v5, v[26:27], off
	v_subrev_u32_e32 v23, s31, v24
	v_add_lshl_u32 v23, v28, v23, 2
	ds_write_b8 v4, v9 offset:4096
	s_waitcnt vmcnt(0)
	ds_write_b32 v23, v5
	v_mov_b32_e32 v5, v21
	s_branch .LBB24_9
.LBB24_18:                              ;   in Loop: Header=BB24_7 Depth=1
	s_or_b64 exec, exec, s[48:49]
.LBB24_19:                              ;   in Loop: Header=BB24_7 Depth=1
	s_or_b64 exec, exec, s[46:47]
	v_mov_b32_dpp v21, v5 row_shr:1 row_mask:0xf bank_mask:0xf
	v_min_i32_e32 v5, v21, v5
	s_waitcnt lgkmcnt(0)
	s_barrier
	v_mov_b32_dpp v21, v5 row_shr:2 row_mask:0xf bank_mask:0xf
	v_min_i32_e32 v5, v21, v5
	ds_read_u8 v21, v4 offset:4096
	s_nop 0
	v_mov_b32_dpp v22, v5 row_shr:4 row_mask:0xf bank_mask:0xe
	v_min_i32_e32 v5, v22, v5
	ds_bpermute_b32 v24, v29, v5
	s_mov_b32 s31, 0
	s_waitcnt lgkmcnt(1)
	v_cmp_eq_u32_e32 vcc, 0, v21
	s_cbranch_vccnz .LBB24_26
; %bb.20:                               ;   in Loop: Header=BB24_7 Depth=1
	s_ashr_i32 s31, s30, 31
	s_lshl_b64 s[18:19], s[30:31], 3
	v_add_u32_e32 v20, s59, v20
	s_add_u32 s18, s24, s18
	v_ashrrev_i32_e32 v21, 31, v20
	s_addc_u32 s19, s25, s19
	global_store_dwordx2 v4, v[20:21], s[18:19]
	s_mul_hi_u32 s18, s57, s30
	s_mul_i32 s19, s57, s31
	s_add_i32 s18, s18, s19
	s_mul_i32 s19, s56, s30
	s_add_i32 s19, s18, s19
	s_mul_i32 s18, s57, s30
	s_lshl_b64 s[18:19], s[18:19], 2
	v_lshl_add_u64 v[20:21], v[6:7], 0, s[18:19]
	v_lshl_add_u64 v[22:23], v[10:11], 0, s[18:19]
	s_and_saveexec_b64 s[18:19], s[34:35]
	s_cbranch_execnz .LBB24_42
; %bb.21:                               ;   in Loop: Header=BB24_7 Depth=1
	s_or_b64 exec, exec, s[18:19]
	s_and_saveexec_b64 s[18:19], s[36:37]
	s_cbranch_execnz .LBB24_43
.LBB24_22:                              ;   in Loop: Header=BB24_7 Depth=1
	s_or_b64 exec, exec, s[18:19]
	s_and_saveexec_b64 s[18:19], s[38:39]
	s_cbranch_execnz .LBB24_44
.LBB24_23:                              ;   in Loop: Header=BB24_7 Depth=1
	s_or_b64 exec, exec, s[18:19]
	s_and_saveexec_b64 s[18:19], s[40:41]
	s_cbranch_execz .LBB24_25
.LBB24_24:                              ;   in Loop: Header=BB24_7 Depth=1
	ds_read_b32 v5, v30 offset:96
	v_lshl_add_u64 v[22:23], v[22:23], 0, s[42:43]
	v_lshl_add_u64 v[20:21], v[16:17], 2, v[20:21]
	v_cndmask_b32_e64 v21, v21, v23, s[0:1]
	v_cndmask_b32_e64 v20, v20, v22, s[0:1]
	s_waitcnt lgkmcnt(0)
	global_store_dword v[20:21], v5, off
.LBB24_25:                              ;   in Loop: Header=BB24_7 Depth=1
	s_or_b64 exec, exec, s[18:19]
	s_mov_b32 s31, 1
.LBB24_26:                              ;   in Loop: Header=BB24_7 Depth=1
	s_waitcnt lgkmcnt(0)
	s_barrier
	ds_write_b64 v2, v[18:19]
	s_waitcnt lgkmcnt(0)
	s_barrier
	s_and_saveexec_b64 s[18:19], s[2:3]
	s_cbranch_execz .LBB24_28
; %bb.27:                               ;   in Loop: Header=BB24_7 Depth=1
	ds_read2st64_b64 v[18:21], v2 offset1:2
	s_waitcnt lgkmcnt(0)
	v_cmp_lt_i64_e32 vcc, v[20:21], v[18:19]
	s_nop 1
	v_cndmask_b32_e32 v19, v19, v21, vcc
	v_cndmask_b32_e32 v18, v18, v20, vcc
	ds_write_b64 v2, v[18:19]
.LBB24_28:                              ;   in Loop: Header=BB24_7 Depth=1
	s_or_b64 exec, exec, s[18:19]
	s_waitcnt lgkmcnt(0)
	s_barrier
	s_and_saveexec_b64 s[18:19], s[4:5]
	s_cbranch_execz .LBB24_30
; %bb.29:                               ;   in Loop: Header=BB24_7 Depth=1
	ds_read2st64_b64 v[18:21], v2 offset1:1
	s_waitcnt lgkmcnt(0)
	v_cmp_lt_i64_e32 vcc, v[20:21], v[18:19]
	s_nop 1
	v_cndmask_b32_e32 v19, v19, v21, vcc
	v_cndmask_b32_e32 v18, v18, v20, vcc
	ds_write_b64 v2, v[18:19]
.LBB24_30:                              ;   in Loop: Header=BB24_7 Depth=1
	s_or_b64 exec, exec, s[18:19]
	s_waitcnt lgkmcnt(0)
	s_barrier
	s_and_saveexec_b64 s[18:19], s[6:7]
	s_cbranch_execz .LBB24_32
; %bb.31:                               ;   in Loop: Header=BB24_7 Depth=1
	ds_read2_b64 v[18:21], v2 offset1:32
	s_waitcnt lgkmcnt(0)
	v_cmp_lt_i64_e32 vcc, v[20:21], v[18:19]
	s_nop 1
	v_cndmask_b32_e32 v19, v19, v21, vcc
	v_cndmask_b32_e32 v18, v18, v20, vcc
	ds_write_b64 v2, v[18:19]
.LBB24_32:                              ;   in Loop: Header=BB24_7 Depth=1
	s_or_b64 exec, exec, s[18:19]
	s_waitcnt lgkmcnt(0)
	s_barrier
	s_and_saveexec_b64 s[18:19], s[8:9]
	s_cbranch_execz .LBB24_34
; %bb.33:                               ;   in Loop: Header=BB24_7 Depth=1
	ds_read2_b64 v[18:21], v2 offset1:16
	s_waitcnt lgkmcnt(0)
	v_cmp_lt_i64_e32 vcc, v[20:21], v[18:19]
	s_nop 1
	v_cndmask_b32_e32 v19, v19, v21, vcc
	v_cndmask_b32_e32 v18, v18, v20, vcc
	ds_write_b64 v2, v[18:19]
.LBB24_34:                              ;   in Loop: Header=BB24_7 Depth=1
	s_or_b64 exec, exec, s[18:19]
	s_waitcnt lgkmcnt(0)
	s_barrier
	s_and_saveexec_b64 s[18:19], s[10:11]
	s_cbranch_execz .LBB24_36
; %bb.35:                               ;   in Loop: Header=BB24_7 Depth=1
	ds_read2_b64 v[18:21], v2 offset1:8
	s_waitcnt lgkmcnt(0)
	v_cmp_lt_i64_e32 vcc, v[20:21], v[18:19]
	s_nop 1
	v_cndmask_b32_e32 v19, v19, v21, vcc
	v_cndmask_b32_e32 v18, v18, v20, vcc
	ds_write_b64 v2, v[18:19]
.LBB24_36:                              ;   in Loop: Header=BB24_7 Depth=1
	s_or_b64 exec, exec, s[18:19]
	s_waitcnt lgkmcnt(0)
	s_barrier
	s_and_saveexec_b64 s[18:19], s[12:13]
	s_cbranch_execz .LBB24_38
; %bb.37:                               ;   in Loop: Header=BB24_7 Depth=1
	ds_read2_b64 v[18:21], v2 offset1:4
	s_waitcnt lgkmcnt(0)
	v_cmp_lt_i64_e32 vcc, v[20:21], v[18:19]
	s_nop 1
	v_cndmask_b32_e32 v19, v19, v21, vcc
	v_cndmask_b32_e32 v18, v18, v20, vcc
	ds_write_b64 v2, v[18:19]
.LBB24_38:                              ;   in Loop: Header=BB24_7 Depth=1
	s_or_b64 exec, exec, s[18:19]
	s_waitcnt lgkmcnt(0)
	s_barrier
	s_and_saveexec_b64 s[18:19], s[14:15]
	s_cbranch_execz .LBB24_40
; %bb.39:                               ;   in Loop: Header=BB24_7 Depth=1
	ds_read2_b64 v[18:21], v2 offset1:2
	s_waitcnt lgkmcnt(0)
	v_cmp_lt_i64_e32 vcc, v[20:21], v[18:19]
	s_nop 1
	v_cndmask_b32_e32 v19, v19, v21, vcc
	v_cndmask_b32_e32 v18, v18, v20, vcc
	ds_write_b64 v2, v[18:19]
.LBB24_40:                              ;   in Loop: Header=BB24_7 Depth=1
	s_or_b64 exec, exec, s[18:19]
	s_waitcnt lgkmcnt(0)
	s_barrier
	s_and_saveexec_b64 s[18:19], s[16:17]
	s_cbranch_execz .LBB24_6
; %bb.41:                               ;   in Loop: Header=BB24_7 Depth=1
	ds_read_b128 v[18:21], v4
	s_waitcnt lgkmcnt(0)
	v_cmp_lt_i64_e32 vcc, v[20:21], v[18:19]
	s_nop 1
	v_cndmask_b32_e32 v19, v19, v21, vcc
	v_cndmask_b32_e32 v18, v18, v20, vcc
	ds_write_b64 v4, v[18:19]
	s_branch .LBB24_6
.LBB24_42:                              ;   in Loop: Header=BB24_7 Depth=1
	ds_read_b32 v5, v30
	v_lshl_add_u64 v[26:27], v[0:1], 2, v[20:21]
	v_cndmask_b32_e64 v27, v27, v23, s[0:1]
	v_cndmask_b32_e64 v26, v26, v22, s[0:1]
	s_waitcnt lgkmcnt(0)
	global_store_dword v[26:27], v5, off
	s_or_b64 exec, exec, s[18:19]
	s_and_saveexec_b64 s[18:19], s[36:37]
	s_cbranch_execz .LBB24_22
.LBB24_43:                              ;   in Loop: Header=BB24_7 Depth=1
	ds_read_b32 v5, v30 offset:32
	v_lshl_add_u64 v[26:27], v[22:23], 0, 32
	v_lshl_add_u64 v[32:33], v[12:13], 2, v[20:21]
	v_cndmask_b32_e64 v27, v33, v27, s[0:1]
	v_cndmask_b32_e64 v26, v32, v26, s[0:1]
	s_waitcnt lgkmcnt(0)
	global_store_dword v[26:27], v5, off
	s_or_b64 exec, exec, s[18:19]
	s_and_saveexec_b64 s[18:19], s[38:39]
	s_cbranch_execz .LBB24_23
.LBB24_44:                              ;   in Loop: Header=BB24_7 Depth=1
	ds_read_b32 v5, v30 offset:64
	v_lshl_add_u64 v[26:27], v[22:23], 0, 64
	v_lshl_add_u64 v[32:33], v[14:15], 2, v[20:21]
	v_cndmask_b32_e64 v27, v33, v27, s[0:1]
	v_cndmask_b32_e64 v26, v32, v26, s[0:1]
	s_waitcnt lgkmcnt(0)
	global_store_dword v[26:27], v5, off
	s_or_b64 exec, exec, s[18:19]
	s_and_saveexec_b64 s[18:19], s[40:41]
	s_cbranch_execnz .LBB24_24
	s_branch .LBB24_25
.LBB24_45:
	s_endpgm
	.section	.rodata,"a",@progbits
	.p2align	6, 0x0
	.amdhsa_kernel _ZN9rocsparseL38csr2bsr_block_per_row_multipass_kernelILj256ELj32EiilEEv20rocsparse_direction_T3_S2_S2_S2_S2_21rocsparse_index_base_PKT1_PKT2_PKS2_S3_PS4_PS7_PS2_
		.amdhsa_group_segment_fixed_size 4100
		.amdhsa_private_segment_fixed_size 0
		.amdhsa_kernarg_size 112
		.amdhsa_user_sgpr_count 2
		.amdhsa_user_sgpr_dispatch_ptr 0
		.amdhsa_user_sgpr_queue_ptr 0
		.amdhsa_user_sgpr_kernarg_segment_ptr 1
		.amdhsa_user_sgpr_dispatch_id 0
		.amdhsa_user_sgpr_kernarg_preload_length 0
		.amdhsa_user_sgpr_kernarg_preload_offset 0
		.amdhsa_user_sgpr_private_segment_size 0
		.amdhsa_uses_dynamic_stack 0
		.amdhsa_enable_private_segment 0
		.amdhsa_system_sgpr_workgroup_id_x 1
		.amdhsa_system_sgpr_workgroup_id_y 0
		.amdhsa_system_sgpr_workgroup_id_z 0
		.amdhsa_system_sgpr_workgroup_info 0
		.amdhsa_system_vgpr_workitem_id 0
		.amdhsa_next_free_vgpr 38
		.amdhsa_next_free_sgpr 60
		.amdhsa_accum_offset 40
		.amdhsa_reserve_vcc 1
		.amdhsa_float_round_mode_32 0
		.amdhsa_float_round_mode_16_64 0
		.amdhsa_float_denorm_mode_32 3
		.amdhsa_float_denorm_mode_16_64 3
		.amdhsa_dx10_clamp 1
		.amdhsa_ieee_mode 1
		.amdhsa_fp16_overflow 0
		.amdhsa_tg_split 0
		.amdhsa_exception_fp_ieee_invalid_op 0
		.amdhsa_exception_fp_denorm_src 0
		.amdhsa_exception_fp_ieee_div_zero 0
		.amdhsa_exception_fp_ieee_overflow 0
		.amdhsa_exception_fp_ieee_underflow 0
		.amdhsa_exception_fp_ieee_inexact 0
		.amdhsa_exception_int_div_zero 0
	.end_amdhsa_kernel
	.section	.text._ZN9rocsparseL38csr2bsr_block_per_row_multipass_kernelILj256ELj32EiilEEv20rocsparse_direction_T3_S2_S2_S2_S2_21rocsparse_index_base_PKT1_PKT2_PKS2_S3_PS4_PS7_PS2_,"axG",@progbits,_ZN9rocsparseL38csr2bsr_block_per_row_multipass_kernelILj256ELj32EiilEEv20rocsparse_direction_T3_S2_S2_S2_S2_21rocsparse_index_base_PKT1_PKT2_PKS2_S3_PS4_PS7_PS2_,comdat
.Lfunc_end24:
	.size	_ZN9rocsparseL38csr2bsr_block_per_row_multipass_kernelILj256ELj32EiilEEv20rocsparse_direction_T3_S2_S2_S2_S2_21rocsparse_index_base_PKT1_PKT2_PKS2_S3_PS4_PS7_PS2_, .Lfunc_end24-_ZN9rocsparseL38csr2bsr_block_per_row_multipass_kernelILj256ELj32EiilEEv20rocsparse_direction_T3_S2_S2_S2_S2_21rocsparse_index_base_PKT1_PKT2_PKS2_S3_PS4_PS7_PS2_
                                        ; -- End function
	.section	.AMDGPU.csdata,"",@progbits
; Kernel info:
; codeLenInByte = 2832
; NumSgprs: 66
; NumVgprs: 38
; NumAgprs: 0
; TotalNumVgprs: 38
; ScratchSize: 0
; MemoryBound: 0
; FloatMode: 240
; IeeeMode: 1
; LDSByteSize: 4100 bytes/workgroup (compile time only)
; SGPRBlocks: 8
; VGPRBlocks: 4
; NumSGPRsForWavesPerEU: 66
; NumVGPRsForWavesPerEU: 38
; AccumOffset: 40
; Occupancy: 8
; WaveLimiterHint : 1
; COMPUTE_PGM_RSRC2:SCRATCH_EN: 0
; COMPUTE_PGM_RSRC2:USER_SGPR: 2
; COMPUTE_PGM_RSRC2:TRAP_HANDLER: 0
; COMPUTE_PGM_RSRC2:TGID_X_EN: 1
; COMPUTE_PGM_RSRC2:TGID_Y_EN: 0
; COMPUTE_PGM_RSRC2:TGID_Z_EN: 0
; COMPUTE_PGM_RSRC2:TIDIG_COMP_CNT: 0
; COMPUTE_PGM_RSRC3_GFX90A:ACCUM_OFFSET: 9
; COMPUTE_PGM_RSRC3_GFX90A:TG_SPLIT: 0
	.section	.text._ZN9rocsparseL38csr2bsr_block_per_row_multipass_kernelILj256ELj64EiilEEv20rocsparse_direction_T3_S2_S2_S2_S2_21rocsparse_index_base_PKT1_PKT2_PKS2_S3_PS4_PS7_PS2_,"axG",@progbits,_ZN9rocsparseL38csr2bsr_block_per_row_multipass_kernelILj256ELj64EiilEEv20rocsparse_direction_T3_S2_S2_S2_S2_21rocsparse_index_base_PKT1_PKT2_PKS2_S3_PS4_PS7_PS2_,comdat
	.globl	_ZN9rocsparseL38csr2bsr_block_per_row_multipass_kernelILj256ELj64EiilEEv20rocsparse_direction_T3_S2_S2_S2_S2_21rocsparse_index_base_PKT1_PKT2_PKS2_S3_PS4_PS7_PS2_ ; -- Begin function _ZN9rocsparseL38csr2bsr_block_per_row_multipass_kernelILj256ELj64EiilEEv20rocsparse_direction_T3_S2_S2_S2_S2_21rocsparse_index_base_PKT1_PKT2_PKS2_S3_PS4_PS7_PS2_
	.p2align	8
	.type	_ZN9rocsparseL38csr2bsr_block_per_row_multipass_kernelILj256ELj64EiilEEv20rocsparse_direction_T3_S2_S2_S2_S2_21rocsparse_index_base_PKT1_PKT2_PKS2_S3_PS4_PS7_PS2_,@function
_ZN9rocsparseL38csr2bsr_block_per_row_multipass_kernelILj256ELj64EiilEEv20rocsparse_direction_T3_S2_S2_S2_S2_21rocsparse_index_base_PKT1_PKT2_PKS2_S3_PS4_PS7_PS2_: ; @_ZN9rocsparseL38csr2bsr_block_per_row_multipass_kernelILj256ELj64EiilEEv20rocsparse_direction_T3_S2_S2_S2_S2_21rocsparse_index_base_PKT1_PKT2_PKS2_S3_PS4_PS7_PS2_
; %bb.0:
	s_load_dwordx2 s[6:7], s[0:1], 0x8
	s_load_dwordx4 s[20:23], s[0:1], 0x20
	s_load_dword s33, s[0:1], 0x30
	s_load_dwordx2 s[4:5], s[0:1], 0x40
	s_ashr_i32 s3, s2, 31
	v_lshrrev_b32_e32 v2, 2, v0
	v_mov_b32_e32 v3, 0
	s_waitcnt lgkmcnt(0)
	s_mul_i32 s8, s2, s23
	s_mul_i32 s9, s3, s22
	v_mov_b32_e32 v1, s22
	s_add_i32 s10, s8, s9
	v_mad_u64_u32 v[4:5], s[8:9], s2, v1, v[2:3]
	v_add_u32_e32 v5, s10, v5
	v_cmp_gt_i64_e32 vcc, s[6:7], v[4:5]
	v_cmp_gt_i64_e64 s[18:19], s[22:23], v[2:3]
	s_and_b64 s[6:7], s[18:19], vcc
	v_mov_b32_e32 v48, v3
	s_and_saveexec_b64 s[8:9], s[6:7]
	s_cbranch_execnz .LBB25_3
; %bb.1:
	s_or_b64 exec, exec, s[8:9]
	s_and_saveexec_b64 s[8:9], s[6:7]
	s_cbranch_execnz .LBB25_4
.LBB25_2:
	s_or_b64 exec, exec, s[8:9]
	v_cmp_lt_i64_e64 s[4:5], s[20:21], 1
	s_and_b64 vcc, exec, s[4:5]
	s_cbranch_vccz .LBB25_5
	s_branch .LBB25_69
.LBB25_3:
	v_lshl_add_u64 v[6:7], v[4:5], 2, s[4:5]
	global_load_dword v1, v[6:7], off
	s_waitcnt vmcnt(0)
	v_subrev_u32_e32 v48, s33, v1
	s_or_b64 exec, exec, s[8:9]
	s_and_saveexec_b64 s[8:9], s[6:7]
	s_cbranch_execz .LBB25_2
.LBB25_4:
	v_lshl_add_u64 v[4:5], v[4:5], 2, s[4:5]
	global_load_dword v1, v[4:5], off offset:4
	s_waitcnt vmcnt(0)
	v_subrev_u32_e32 v3, s33, v1
	s_or_b64 exec, exec, s[8:9]
	v_cmp_lt_i64_e64 s[4:5], s[20:21], 1
	s_and_b64 vcc, exec, s[4:5]
	s_cbranch_vccnz .LBB25_69
.LBB25_5:
	s_load_dwordx2 s[24:25], s[0:1], 0x68
	s_load_dwordx4 s[4:7], s[0:1], 0x58
	s_mul_i32 s8, s22, s23
	s_mul_hi_u32 s9, s22, s22
	s_add_i32 s9, s9, s8
	s_add_i32 s66, s9, s8
	s_lshl_b64 s[2:3], s[2:3], 2
	s_waitcnt lgkmcnt(0)
	s_add_u32 s2, s6, s2
	s_load_dword s69, s[0:1], 0x50
	s_addc_u32 s3, s7, s3
	s_load_dword s6, s[2:3], 0x0
	s_load_dwordx2 s[26:27], s[0:1], 0x48
	s_load_dwordx2 s[28:29], s[0:1], 0x38
	s_load_dword s7, s[0:1], 0x0
	v_mad_u64_u32 v[10:11], s[2:3], v2, s22, 0
	v_mov_b32_e32 v12, v11
	v_mov_b32_e32 v4, 0
	v_mad_u64_u32 v[12:13], s[2:3], v2, s23, v[12:13]
	v_lshlrev_b32_e32 v6, 2, v2
	v_mov_b32_e32 v7, v4
	v_and_b32_e32 v8, 3, v0
	s_waitcnt lgkmcnt(0)
	s_sub_i32 s30, s6, s69
	v_lshlrev_b32_e32 v52, 6, v2
	v_mbcnt_lo_u32_b32 v1, -1, 0
	v_mov_b32_e32 v11, v12
	s_movk_i32 s2, 0x80
	v_lshl_add_u64 v[6:7], s[4:5], 0, v[6:7]
	v_mbcnt_hi_u32_b32 v1, -1, v1
	s_cmp_eq_u32 s7, 0
	v_lshl_add_u64 v[10:11], v[10:11], 2, s[4:5]
	v_lshlrev_b32_e32 v2, 3, v0
	v_cmp_gt_u32_e64 s[2:3], s2, v0
	v_cmp_gt_u32_e64 s[4:5], 64, v0
	;; [unrolled: 1-line block ×7, first 2 shown]
	v_cmp_eq_u32_e64 s[16:17], 0, v0
	v_or_b32_e32 v0, v52, v8
	v_lshl_or_b32 v53, v1, 2, 12
	v_lshlrev_b32_e32 v12, 2, v8
	v_mov_b32_e32 v13, v4
	v_lshlrev_b32_e32 v54, 2, v0
	v_mad_u64_u32 v[0:1], s[36:37], v8, s22, 0
	v_lshl_add_u64 v[10:11], v[10:11], 0, v[12:13]
	v_mov_b32_e32 v12, v1
	v_mad_u64_u32 v[12:13], s[36:37], v8, s23, v[12:13]
	v_or_b32_e32 v14, 4, v8
	v_mov_b32_e32 v9, v4
	v_mov_b32_e32 v1, v12
	v_mad_u64_u32 v[12:13], s[38:39], v14, s22, 0
	v_cmp_gt_i64_e32 vcc, s[22:23], v[8:9]
	v_mov_b32_e32 v15, v4
	v_mov_b32_e32 v16, v13
	s_cselect_b64 s[0:1], -1, 0
	s_and_b64 s[34:35], s[18:19], vcc
	v_cmp_gt_i64_e32 vcc, s[22:23], v[14:15]
	v_mad_u64_u32 v[14:15], s[38:39], v14, s23, v[16:17]
	v_or_b32_e32 v16, 8, v8
	v_mov_b32_e32 v13, v14
	v_mad_u64_u32 v[14:15], s[40:41], v16, s22, 0
	v_mov_b32_e32 v17, v4
	v_mov_b32_e32 v18, v15
	s_and_b64 s[36:37], s[18:19], vcc
	v_cmp_gt_i64_e32 vcc, s[22:23], v[16:17]
	v_mad_u64_u32 v[16:17], s[40:41], v16, s23, v[18:19]
	v_or_b32_e32 v18, 12, v8
	v_mov_b32_e32 v15, v16
	v_mad_u64_u32 v[16:17], s[42:43], v18, s22, 0
	v_mov_b32_e32 v19, v4
	v_mov_b32_e32 v20, v17
	;; [unrolled: 8-line block ×13, first 2 shown]
	s_and_b64 s[60:61], s[18:19], vcc
	v_cmp_gt_i64_e32 vcc, s[22:23], v[40:41]
	v_mad_u64_u32 v[40:41], s[64:65], v40, s23, v[42:43]
	v_or_b32_e32 v42, 60, v8
	v_mov_b32_e32 v43, v4
	s_and_b64 s[62:63], s[18:19], vcc
	v_cmp_gt_i64_e32 vcc, s[22:23], v[42:43]
	v_mov_b32_e32 v39, v40
	s_and_b64 s[64:65], s[18:19], vcc
	v_mad_u64_u32 v[40:41], s[18:19], v42, s22, 0
	v_mov_b32_e32 v44, v41
	v_mad_u64_u32 v[42:43], s[18:19], v42, s23, v[44:45]
	s_mul_i32 s67, s22, s22
	s_mov_b32 s68, 0
	v_mov_b32_e32 v41, v42
	s_mov_b64 s[88:89], 0
	s_mov_b64 s[70:71], 0x70
	;; [unrolled: 1-line block ×10, first 2 shown]
	v_mov_b32_e32 v9, 1
	v_mov_b32_e32 v44, 0
	s_branch .LBB25_7
.LBB25_6:                               ;   in Loop: Header=BB25_7 Depth=1
	s_or_b64 exec, exec, s[18:19]
	s_waitcnt lgkmcnt(0)
	s_barrier
	ds_read_b64 v[44:45], v4
	v_mov_b64_e32 v[42:43], s[20:21]
	s_add_i32 s30, s31, s30
	s_waitcnt lgkmcnt(0)
	s_barrier
	v_readfirstlane_b32 s18, v44
	v_readfirstlane_b32 s19, v45
	s_bfe_i64 s[88:89], s[18:19], 0x200000
	v_cmp_lt_i64_e32 vcc, s[88:89], v[42:43]
	s_cbranch_vccz .LBB25_69
.LBB25_7:                               ; =>This Loop Header: Depth=1
                                        ;     Child Loop BB25_10 Depth 2
	v_add_u32_e32 v46, v48, v8
	v_cmp_lt_i32_e32 vcc, v46, v3
	v_mov_b64_e32 v[42:43], s[20:21]
	v_mov_b32_e32 v5, v3
	ds_write_b8 v4, v4 offset:16384
	ds_write2_b32 v54, v4, v4 offset1:4
	ds_write2_b32 v54, v4, v4 offset0:8 offset1:12
	ds_write2_b32 v54, v4, v4 offset0:16 offset1:20
	;; [unrolled: 1-line block ×7, first 2 shown]
	s_waitcnt lgkmcnt(0)
	s_barrier
	s_and_saveexec_b64 s[90:91], vcc
	s_cbranch_execz .LBB25_19
; %bb.8:                                ;   in Loop: Header=BB25_7 Depth=1
	s_mul_i32 s31, s88, s22
	s_mov_b64 s[92:93], 0
	v_mov_b64_e32 v[42:43], s[20:21]
	v_mov_b32_e32 v45, v3
	s_branch .LBB25_10
.LBB25_9:                               ;   in Loop: Header=BB25_10 Depth=2
	s_or_b64 exec, exec, s[18:19]
	v_add_u32_e32 v46, 4, v46
	v_cmp_ge_i32_e64 s[18:19], v46, v3
	s_xor_b64 s[94:95], vcc, -1
	s_or_b64 s[18:19], s[94:95], s[18:19]
	s_and_b64 s[18:19], exec, s[18:19]
	s_or_b64 s[92:93], s[18:19], s[92:93]
	v_mov_b32_e32 v45, v5
	s_andn2_b64 exec, exec, s[92:93]
	s_cbranch_execz .LBB25_18
.LBB25_10:                              ;   Parent Loop BB25_7 Depth=1
                                        ; =>  This Inner Loop Header: Depth=2
	v_ashrrev_i32_e32 v47, 31, v46
	v_lshl_add_u64 v[48:49], v[46:47], 3, s[26:27]
	global_load_dwordx2 v[48:49], v[48:49], off
	v_mov_b32_e32 v5, s68
                                        ; implicit-def: $vgpr50_vgpr51
	s_waitcnt vmcnt(0)
	v_subrev_co_u32_e32 v48, vcc, s33, v48
	s_nop 1
	v_subb_co_u32_e32 v49, vcc, v49, v5, vcc
	v_or_b32_e32 v5, s23, v49
	v_cmp_ne_u64_e32 vcc, 0, v[4:5]
	s_and_saveexec_b64 s[18:19], vcc
	s_xor_b64 s[94:95], exec, s[18:19]
	s_cbranch_execz .LBB25_12
; %bb.11:                               ;   in Loop: Header=BB25_10 Depth=2
	s_ashr_i32 s96, s23, 31
	s_add_u32 s18, s22, s96
	s_mov_b32 s97, s96
	s_addc_u32 s19, s23, s96
	s_xor_b64 s[98:99], s[18:19], s[96:97]
	v_cvt_f32_u32_e32 v5, s98
	v_cvt_f32_u32_e32 v50, s99
	s_sub_u32 s18, 0, s98
	s_subb_u32 s19, 0, s99
	v_mov_b32_e32 v57, v4
	v_fmac_f32_e32 v5, 0x4f800000, v50
	v_rcp_f32_e32 v5, v5
	s_nop 0
	v_mul_f32_e32 v5, 0x5f7ffffc, v5
	v_mul_f32_e32 v50, 0x2f800000, v5
	v_trunc_f32_e32 v50, v50
	v_fmac_f32_e32 v5, 0xcf800000, v50
	v_cvt_u32_f32_e32 v55, v50
	v_cvt_u32_f32_e32 v5, v5
	v_mul_lo_u32 v50, s18, v55
	v_mul_hi_u32 v56, s18, v5
	v_mul_lo_u32 v51, s19, v5
	v_add_u32_e32 v50, v56, v50
	v_mul_lo_u32 v58, s18, v5
	v_add_u32_e32 v59, v50, v51
	v_mul_hi_u32 v51, v5, v59
	v_mul_lo_u32 v50, v5, v59
	v_mul_hi_u32 v56, v5, v58
	v_lshl_add_u64 v[50:51], v[56:57], 0, v[50:51]
	v_mul_hi_u32 v57, v55, v58
	v_mul_lo_u32 v58, v55, v58
	v_add_co_u32_e32 v50, vcc, v50, v58
	v_mul_hi_u32 v56, v55, v59
	s_nop 0
	v_addc_co_u32_e32 v50, vcc, v51, v57, vcc
	v_mov_b32_e32 v51, v4
	s_nop 0
	v_addc_co_u32_e32 v57, vcc, 0, v56, vcc
	v_mul_lo_u32 v56, v55, v59
	v_lshl_add_u64 v[50:51], v[50:51], 0, v[56:57]
	v_add_co_u32_e32 v5, vcc, v5, v50
	v_mul_lo_u32 v56, s18, v5
	s_nop 0
	v_addc_co_u32_e32 v55, vcc, v55, v51, vcc
	v_mul_lo_u32 v50, s18, v55
	v_mul_hi_u32 v51, s18, v5
	v_add_u32_e32 v50, v51, v50
	v_mul_lo_u32 v51, s19, v5
	v_add_u32_e32 v58, v50, v51
	v_mul_hi_u32 v60, v55, v56
	v_mul_lo_u32 v61, v55, v56
	v_mul_hi_u32 v51, v5, v58
	v_mul_lo_u32 v50, v5, v58
	v_mul_hi_u32 v56, v5, v56
	v_mov_b32_e32 v57, v4
	v_lshl_add_u64 v[50:51], v[56:57], 0, v[50:51]
	v_add_co_u32_e32 v50, vcc, v50, v61
	v_mul_hi_u32 v59, v55, v58
	s_nop 0
	v_addc_co_u32_e32 v50, vcc, v51, v60, vcc
	v_mul_lo_u32 v56, v55, v58
	s_nop 0
	v_addc_co_u32_e32 v57, vcc, 0, v59, vcc
	v_mov_b32_e32 v51, v4
	v_lshl_add_u64 v[50:51], v[50:51], 0, v[56:57]
	v_add_co_u32_e32 v5, vcc, v5, v50
	v_ashrrev_i32_e32 v50, 31, v49
	s_nop 0
	v_addc_co_u32_e32 v55, vcc, v55, v51, vcc
	v_mov_b32_e32 v51, v50
	v_lshl_add_u64 v[56:57], v[48:49], 0, v[50:51]
	v_xor_b32_e32 v51, v56, v50
	v_xor_b32_e32 v49, v57, v50
	v_mad_u64_u32 v[56:57], s[18:19], v51, v55, 0
	v_mul_hi_u32 v58, v51, v5
	v_mov_b32_e32 v59, v4
	v_lshl_add_u64 v[56:57], v[58:59], 0, v[56:57]
	v_mad_u64_u32 v[60:61], s[18:19], v49, v5, 0
	v_add_co_u32_e32 v5, vcc, v56, v60
	v_mad_u64_u32 v[58:59], s[18:19], v49, v55, 0
	s_nop 0
	v_addc_co_u32_e32 v56, vcc, v57, v61, vcc
	v_mov_b32_e32 v57, v4
	s_nop 0
	v_addc_co_u32_e32 v59, vcc, 0, v59, vcc
	v_lshl_add_u64 v[56:57], v[56:57], 0, v[58:59]
	v_mul_lo_u32 v5, s99, v56
	v_mul_lo_u32 v55, s98, v57
	v_mad_u64_u32 v[58:59], s[18:19], s98, v56, 0
	v_add3_u32 v5, v59, v55, v5
	v_sub_u32_e32 v55, v49, v5
	v_mov_b32_e32 v59, s99
	v_sub_co_u32_e32 v51, vcc, v51, v58
	v_lshl_add_u64 v[60:61], v[56:57], 0, 1
	s_nop 0
	v_subb_co_u32_e64 v55, s[18:19], v55, v59, vcc
	v_subrev_co_u32_e64 v58, s[18:19], s98, v51
	v_subb_co_u32_e32 v5, vcc, v49, v5, vcc
	s_nop 0
	v_subbrev_co_u32_e64 v55, s[18:19], 0, v55, s[18:19]
	v_cmp_le_u32_e64 s[18:19], s99, v55
	v_cmp_le_u32_e32 vcc, s99, v5
	s_nop 0
	v_cndmask_b32_e64 v59, 0, -1, s[18:19]
	v_cmp_le_u32_e64 s[18:19], s98, v58
	v_cndmask_b32_e64 v49, 0, -1, vcc
	v_cmp_le_u32_e32 vcc, s98, v51
	v_cndmask_b32_e64 v58, 0, -1, s[18:19]
	v_cmp_eq_u32_e64 s[18:19], s99, v55
	v_cndmask_b32_e64 v51, 0, -1, vcc
	v_cmp_eq_u32_e32 vcc, s99, v5
	v_cndmask_b32_e64 v55, v59, v58, s[18:19]
	v_lshl_add_u64 v[58:59], v[56:57], 0, 2
	v_cmp_ne_u32_e64 s[18:19], 0, v55
	v_cndmask_b32_e32 v5, v49, v51, vcc
	v_cmp_ne_u32_e32 vcc, 0, v5
	v_cndmask_b32_e64 v49, v60, v58, s[18:19]
	v_cndmask_b32_e64 v55, v61, v59, s[18:19]
	v_cndmask_b32_e32 v49, v56, v49, vcc
	v_xor_b32_e32 v51, s96, v50
	v_cndmask_b32_e32 v5, v57, v55, vcc
	v_xor_b32_e32 v49, v49, v51
	v_xor_b32_e32 v5, v5, v51
	v_sub_co_u32_e32 v50, vcc, v49, v51
	s_nop 1
	v_subb_co_u32_e32 v51, vcc, v5, v51, vcc
.LBB25_12:                              ;   in Loop: Header=BB25_10 Depth=2
	s_andn2_saveexec_b64 s[18:19], s[94:95]
	s_cbranch_execz .LBB25_14
; %bb.13:                               ;   in Loop: Header=BB25_10 Depth=2
	v_cvt_f32_u32_e32 v5, s22
	s_sub_i32 s94, 0, s22
	v_rcp_iflag_f32_e32 v5, v5
	s_nop 0
	v_mul_f32_e32 v5, 0x4f7ffffe, v5
	v_cvt_u32_f32_e32 v5, v5
	v_mul_lo_u32 v49, s94, v5
	v_mul_hi_u32 v49, v5, v49
	v_add_u32_e32 v5, v5, v49
	v_mul_hi_u32 v5, v48, v5
	v_mul_lo_u32 v49, v5, s22
	v_sub_u32_e32 v49, v48, v49
	v_add_u32_e32 v50, 1, v5
	v_subrev_u32_e32 v51, s22, v49
	v_cmp_le_u32_e32 vcc, s22, v49
	s_nop 1
	v_cndmask_b32_e32 v49, v49, v51, vcc
	v_cndmask_b32_e32 v5, v5, v50, vcc
	v_add_u32_e32 v50, 1, v5
	v_cmp_le_u32_e32 vcc, s22, v49
	v_mov_b32_e32 v51, v4
	s_nop 0
	v_cndmask_b32_e32 v50, v5, v50, vcc
.LBB25_14:                              ;   in Loop: Header=BB25_10 Depth=2
	s_or_b64 exec, exec, s[18:19]
	v_cmp_eq_u64_e32 vcc, s[88:89], v[50:51]
	v_cmp_ne_u64_e64 s[18:19], s[88:89], v[50:51]
	s_and_saveexec_b64 s[94:95], s[18:19]
	s_xor_b64 s[94:95], exec, s[94:95]
; %bb.15:                               ;   in Loop: Header=BB25_10 Depth=2
	v_cmp_lt_i64_e64 s[18:19], v[50:51], v[42:43]
                                        ; implicit-def: $vgpr48_vgpr49
                                        ; implicit-def: $vgpr45
	s_nop 1
	v_cndmask_b32_e64 v43, v43, v51, s[18:19]
	v_cndmask_b32_e64 v42, v42, v50, s[18:19]
; %bb.16:                               ;   in Loop: Header=BB25_10 Depth=2
	s_or_saveexec_b64 s[18:19], s[94:95]
	v_mov_b32_e32 v5, v46
	s_xor_b64 exec, exec, s[18:19]
	s_cbranch_execz .LBB25_9
; %bb.17:                               ;   in Loop: Header=BB25_10 Depth=2
	v_lshl_add_u64 v[50:51], v[46:47], 2, s[28:29]
	global_load_dword v5, v[50:51], off
	v_subrev_u32_e32 v47, s31, v48
	v_add_lshl_u32 v47, v52, v47, 2
	ds_write_b8 v4, v9 offset:16384
	s_waitcnt vmcnt(0)
	ds_write_b32 v47, v5
	v_mov_b32_e32 v5, v45
	s_branch .LBB25_9
.LBB25_18:                              ;   in Loop: Header=BB25_7 Depth=1
	s_or_b64 exec, exec, s[92:93]
.LBB25_19:                              ;   in Loop: Header=BB25_7 Depth=1
	s_or_b64 exec, exec, s[90:91]
	v_mov_b32_dpp v45, v5 row_shr:1 row_mask:0xf bank_mask:0xf
	v_min_i32_e32 v5, v45, v5
	s_waitcnt lgkmcnt(0)
	s_barrier
	ds_read_u8 v45, v4 offset:16384
	v_mov_b32_dpp v46, v5 row_shr:2 row_mask:0xf bank_mask:0xf
	v_min_i32_e32 v5, v46, v5
	ds_bpermute_b32 v48, v53, v5
	s_mov_b32 s31, 0
	s_waitcnt lgkmcnt(1)
	v_cmp_eq_u32_e32 vcc, 0, v45
	s_cbranch_vccnz .LBB25_38
; %bb.20:                               ;   in Loop: Header=BB25_7 Depth=1
	s_ashr_i32 s31, s30, 31
	s_lshl_b64 s[18:19], s[30:31], 3
	v_add_u32_e32 v44, s69, v44
	s_add_u32 s18, s24, s18
	v_ashrrev_i32_e32 v45, 31, v44
	s_addc_u32 s19, s25, s19
	global_store_dwordx2 v4, v[44:45], s[18:19]
	s_mul_hi_u32 s18, s67, s30
	s_mul_i32 s19, s67, s31
	s_add_i32 s18, s18, s19
	s_mul_i32 s19, s66, s30
	s_add_i32 s19, s18, s19
	s_mul_i32 s18, s67, s30
	s_lshl_b64 s[18:19], s[18:19], 2
	v_lshl_add_u64 v[44:45], v[6:7], 0, s[18:19]
	v_lshl_add_u64 v[46:47], v[10:11], 0, s[18:19]
	s_and_saveexec_b64 s[18:19], s[34:35]
	s_cbranch_execnz .LBB25_54
; %bb.21:                               ;   in Loop: Header=BB25_7 Depth=1
	s_or_b64 exec, exec, s[18:19]
	s_and_saveexec_b64 s[18:19], s[36:37]
	s_cbranch_execnz .LBB25_55
.LBB25_22:                              ;   in Loop: Header=BB25_7 Depth=1
	s_or_b64 exec, exec, s[18:19]
	s_and_saveexec_b64 s[18:19], s[38:39]
	s_cbranch_execnz .LBB25_56
.LBB25_23:                              ;   in Loop: Header=BB25_7 Depth=1
	s_or_b64 exec, exec, s[18:19]
	s_and_saveexec_b64 s[18:19], s[40:41]
	s_cbranch_execnz .LBB25_57
.LBB25_24:                              ;   in Loop: Header=BB25_7 Depth=1
	s_or_b64 exec, exec, s[18:19]
	s_and_saveexec_b64 s[18:19], s[42:43]
	s_cbranch_execnz .LBB25_58
.LBB25_25:                              ;   in Loop: Header=BB25_7 Depth=1
	s_or_b64 exec, exec, s[18:19]
	s_and_saveexec_b64 s[18:19], s[44:45]
	s_cbranch_execnz .LBB25_59
.LBB25_26:                              ;   in Loop: Header=BB25_7 Depth=1
	s_or_b64 exec, exec, s[18:19]
	s_and_saveexec_b64 s[18:19], s[46:47]
	s_cbranch_execnz .LBB25_60
.LBB25_27:                              ;   in Loop: Header=BB25_7 Depth=1
	s_or_b64 exec, exec, s[18:19]
	s_and_saveexec_b64 s[18:19], s[48:49]
	s_cbranch_execnz .LBB25_61
.LBB25_28:                              ;   in Loop: Header=BB25_7 Depth=1
	s_or_b64 exec, exec, s[18:19]
	s_and_saveexec_b64 s[18:19], s[50:51]
	s_cbranch_execnz .LBB25_62
.LBB25_29:                              ;   in Loop: Header=BB25_7 Depth=1
	s_or_b64 exec, exec, s[18:19]
	s_and_saveexec_b64 s[18:19], s[52:53]
	s_cbranch_execnz .LBB25_63
.LBB25_30:                              ;   in Loop: Header=BB25_7 Depth=1
	s_or_b64 exec, exec, s[18:19]
	s_and_saveexec_b64 s[18:19], s[54:55]
	s_cbranch_execnz .LBB25_64
.LBB25_31:                              ;   in Loop: Header=BB25_7 Depth=1
	s_or_b64 exec, exec, s[18:19]
	s_and_saveexec_b64 s[18:19], s[56:57]
	s_cbranch_execnz .LBB25_65
.LBB25_32:                              ;   in Loop: Header=BB25_7 Depth=1
	s_or_b64 exec, exec, s[18:19]
	s_and_saveexec_b64 s[18:19], s[58:59]
	s_cbranch_execnz .LBB25_66
.LBB25_33:                              ;   in Loop: Header=BB25_7 Depth=1
	s_or_b64 exec, exec, s[18:19]
	s_and_saveexec_b64 s[18:19], s[60:61]
	s_cbranch_execnz .LBB25_67
.LBB25_34:                              ;   in Loop: Header=BB25_7 Depth=1
	s_or_b64 exec, exec, s[18:19]
	s_and_saveexec_b64 s[18:19], s[62:63]
	s_cbranch_execnz .LBB25_68
.LBB25_35:                              ;   in Loop: Header=BB25_7 Depth=1
	s_or_b64 exec, exec, s[18:19]
	s_and_saveexec_b64 s[18:19], s[64:65]
	s_cbranch_execz .LBB25_37
.LBB25_36:                              ;   in Loop: Header=BB25_7 Depth=1
	ds_read_b32 v5, v54 offset:240
	v_lshl_add_u64 v[46:47], v[46:47], 0, s[86:87]
	v_lshl_add_u64 v[44:45], v[40:41], 2, v[44:45]
	v_cndmask_b32_e64 v45, v45, v47, s[0:1]
	v_cndmask_b32_e64 v44, v44, v46, s[0:1]
	s_waitcnt lgkmcnt(0)
	global_store_dword v[44:45], v5, off
.LBB25_37:                              ;   in Loop: Header=BB25_7 Depth=1
	s_or_b64 exec, exec, s[18:19]
	s_mov_b32 s31, 1
.LBB25_38:                              ;   in Loop: Header=BB25_7 Depth=1
	s_waitcnt lgkmcnt(0)
	s_barrier
	ds_write_b64 v2, v[42:43]
	s_waitcnt lgkmcnt(0)
	s_barrier
	s_and_saveexec_b64 s[18:19], s[2:3]
	s_cbranch_execz .LBB25_40
; %bb.39:                               ;   in Loop: Header=BB25_7 Depth=1
	ds_read2st64_b64 v[42:45], v2 offset1:2
	s_waitcnt lgkmcnt(0)
	v_cmp_lt_i64_e32 vcc, v[44:45], v[42:43]
	s_nop 1
	v_cndmask_b32_e32 v43, v43, v45, vcc
	v_cndmask_b32_e32 v42, v42, v44, vcc
	ds_write_b64 v2, v[42:43]
.LBB25_40:                              ;   in Loop: Header=BB25_7 Depth=1
	s_or_b64 exec, exec, s[18:19]
	s_waitcnt lgkmcnt(0)
	s_barrier
	s_and_saveexec_b64 s[18:19], s[4:5]
	s_cbranch_execz .LBB25_42
; %bb.41:                               ;   in Loop: Header=BB25_7 Depth=1
	ds_read2st64_b64 v[42:45], v2 offset1:1
	s_waitcnt lgkmcnt(0)
	v_cmp_lt_i64_e32 vcc, v[44:45], v[42:43]
	s_nop 1
	v_cndmask_b32_e32 v43, v43, v45, vcc
	v_cndmask_b32_e32 v42, v42, v44, vcc
	ds_write_b64 v2, v[42:43]
.LBB25_42:                              ;   in Loop: Header=BB25_7 Depth=1
	s_or_b64 exec, exec, s[18:19]
	s_waitcnt lgkmcnt(0)
	s_barrier
	s_and_saveexec_b64 s[18:19], s[6:7]
	s_cbranch_execz .LBB25_44
; %bb.43:                               ;   in Loop: Header=BB25_7 Depth=1
	ds_read2_b64 v[42:45], v2 offset1:32
	s_waitcnt lgkmcnt(0)
	v_cmp_lt_i64_e32 vcc, v[44:45], v[42:43]
	s_nop 1
	v_cndmask_b32_e32 v43, v43, v45, vcc
	v_cndmask_b32_e32 v42, v42, v44, vcc
	ds_write_b64 v2, v[42:43]
.LBB25_44:                              ;   in Loop: Header=BB25_7 Depth=1
	s_or_b64 exec, exec, s[18:19]
	s_waitcnt lgkmcnt(0)
	s_barrier
	s_and_saveexec_b64 s[18:19], s[8:9]
	s_cbranch_execz .LBB25_46
; %bb.45:                               ;   in Loop: Header=BB25_7 Depth=1
	ds_read2_b64 v[42:45], v2 offset1:16
	s_waitcnt lgkmcnt(0)
	v_cmp_lt_i64_e32 vcc, v[44:45], v[42:43]
	s_nop 1
	v_cndmask_b32_e32 v43, v43, v45, vcc
	v_cndmask_b32_e32 v42, v42, v44, vcc
	ds_write_b64 v2, v[42:43]
.LBB25_46:                              ;   in Loop: Header=BB25_7 Depth=1
	;; [unrolled: 14-line block ×5, first 2 shown]
	s_or_b64 exec, exec, s[18:19]
	s_waitcnt lgkmcnt(0)
	s_barrier
	s_and_saveexec_b64 s[18:19], s[16:17]
	s_cbranch_execz .LBB25_6
; %bb.53:                               ;   in Loop: Header=BB25_7 Depth=1
	ds_read_b128 v[42:45], v4
	s_waitcnt lgkmcnt(0)
	v_cmp_lt_i64_e32 vcc, v[44:45], v[42:43]
	s_nop 1
	v_cndmask_b32_e32 v43, v43, v45, vcc
	v_cndmask_b32_e32 v42, v42, v44, vcc
	ds_write_b64 v4, v[42:43]
	s_branch .LBB25_6
.LBB25_54:                              ;   in Loop: Header=BB25_7 Depth=1
	ds_read_b32 v5, v54
	v_lshl_add_u64 v[50:51], v[0:1], 2, v[44:45]
	v_cndmask_b32_e64 v51, v51, v47, s[0:1]
	v_cndmask_b32_e64 v50, v50, v46, s[0:1]
	s_waitcnt lgkmcnt(0)
	global_store_dword v[50:51], v5, off
	s_or_b64 exec, exec, s[18:19]
	s_and_saveexec_b64 s[18:19], s[36:37]
	s_cbranch_execz .LBB25_22
.LBB25_55:                              ;   in Loop: Header=BB25_7 Depth=1
	ds_read_b32 v5, v54 offset:16
	v_lshl_add_u64 v[50:51], v[46:47], 0, 16
	v_lshl_add_u64 v[56:57], v[12:13], 2, v[44:45]
	v_cndmask_b32_e64 v51, v57, v51, s[0:1]
	v_cndmask_b32_e64 v50, v56, v50, s[0:1]
	s_waitcnt lgkmcnt(0)
	global_store_dword v[50:51], v5, off
	s_or_b64 exec, exec, s[18:19]
	s_and_saveexec_b64 s[18:19], s[38:39]
	s_cbranch_execz .LBB25_23
.LBB25_56:                              ;   in Loop: Header=BB25_7 Depth=1
	ds_read_b32 v5, v54 offset:32
	v_lshl_add_u64 v[50:51], v[46:47], 0, 32
	v_lshl_add_u64 v[56:57], v[14:15], 2, v[44:45]
	v_cndmask_b32_e64 v51, v57, v51, s[0:1]
	v_cndmask_b32_e64 v50, v56, v50, s[0:1]
	s_waitcnt lgkmcnt(0)
	global_store_dword v[50:51], v5, off
	s_or_b64 exec, exec, s[18:19]
	s_and_saveexec_b64 s[18:19], s[40:41]
	s_cbranch_execz .LBB25_24
.LBB25_57:                              ;   in Loop: Header=BB25_7 Depth=1
	ds_read_b32 v5, v54 offset:48
	v_lshl_add_u64 v[50:51], v[46:47], 0, 48
	v_lshl_add_u64 v[56:57], v[16:17], 2, v[44:45]
	v_cndmask_b32_e64 v51, v57, v51, s[0:1]
	v_cndmask_b32_e64 v50, v56, v50, s[0:1]
	s_waitcnt lgkmcnt(0)
	global_store_dword v[50:51], v5, off
	s_or_b64 exec, exec, s[18:19]
	s_and_saveexec_b64 s[18:19], s[42:43]
	s_cbranch_execz .LBB25_25
.LBB25_58:                              ;   in Loop: Header=BB25_7 Depth=1
	ds_read_b32 v5, v54 offset:64
	v_lshl_add_u64 v[50:51], v[46:47], 0, 64
	v_lshl_add_u64 v[56:57], v[18:19], 2, v[44:45]
	v_cndmask_b32_e64 v51, v57, v51, s[0:1]
	v_cndmask_b32_e64 v50, v56, v50, s[0:1]
	s_waitcnt lgkmcnt(0)
	global_store_dword v[50:51], v5, off
	s_or_b64 exec, exec, s[18:19]
	s_and_saveexec_b64 s[18:19], s[44:45]
	s_cbranch_execz .LBB25_26
.LBB25_59:                              ;   in Loop: Header=BB25_7 Depth=1
	ds_read_b32 v5, v54 offset:80
	s_mov_b64 s[88:89], 0x50
	v_lshl_add_u64 v[50:51], v[46:47], 0, s[88:89]
	v_lshl_add_u64 v[56:57], v[20:21], 2, v[44:45]
	v_cndmask_b32_e64 v51, v57, v51, s[0:1]
	v_cndmask_b32_e64 v50, v56, v50, s[0:1]
	s_waitcnt lgkmcnt(0)
	global_store_dword v[50:51], v5, off
	s_or_b64 exec, exec, s[18:19]
	s_and_saveexec_b64 s[18:19], s[46:47]
	s_cbranch_execz .LBB25_27
.LBB25_60:                              ;   in Loop: Header=BB25_7 Depth=1
	ds_read_b32 v5, v54 offset:96
	s_mov_b64 s[88:89], 0x60
	v_lshl_add_u64 v[50:51], v[46:47], 0, s[88:89]
	v_lshl_add_u64 v[56:57], v[22:23], 2, v[44:45]
	v_cndmask_b32_e64 v51, v57, v51, s[0:1]
	v_cndmask_b32_e64 v50, v56, v50, s[0:1]
	s_waitcnt lgkmcnt(0)
	global_store_dword v[50:51], v5, off
	s_or_b64 exec, exec, s[18:19]
	s_and_saveexec_b64 s[18:19], s[48:49]
	s_cbranch_execz .LBB25_28
.LBB25_61:                              ;   in Loop: Header=BB25_7 Depth=1
	ds_read_b32 v5, v54 offset:112
	v_lshl_add_u64 v[50:51], v[46:47], 0, s[70:71]
	v_lshl_add_u64 v[56:57], v[24:25], 2, v[44:45]
	v_cndmask_b32_e64 v51, v57, v51, s[0:1]
	v_cndmask_b32_e64 v50, v56, v50, s[0:1]
	s_waitcnt lgkmcnt(0)
	global_store_dword v[50:51], v5, off
	s_or_b64 exec, exec, s[18:19]
	s_and_saveexec_b64 s[18:19], s[50:51]
	s_cbranch_execz .LBB25_29
.LBB25_62:                              ;   in Loop: Header=BB25_7 Depth=1
	ds_read_b32 v5, v54 offset:128
	v_lshl_add_u64 v[50:51], v[46:47], 0, s[72:73]
	v_lshl_add_u64 v[56:57], v[26:27], 2, v[44:45]
	v_cndmask_b32_e64 v51, v57, v51, s[0:1]
	v_cndmask_b32_e64 v50, v56, v50, s[0:1]
	s_waitcnt lgkmcnt(0)
	global_store_dword v[50:51], v5, off
	s_or_b64 exec, exec, s[18:19]
	s_and_saveexec_b64 s[18:19], s[52:53]
	s_cbranch_execz .LBB25_30
.LBB25_63:                              ;   in Loop: Header=BB25_7 Depth=1
	ds_read_b32 v5, v54 offset:144
	v_lshl_add_u64 v[50:51], v[46:47], 0, s[74:75]
	v_lshl_add_u64 v[56:57], v[28:29], 2, v[44:45]
	v_cndmask_b32_e64 v51, v57, v51, s[0:1]
	v_cndmask_b32_e64 v50, v56, v50, s[0:1]
	s_waitcnt lgkmcnt(0)
	global_store_dword v[50:51], v5, off
	s_or_b64 exec, exec, s[18:19]
	s_and_saveexec_b64 s[18:19], s[54:55]
	s_cbranch_execz .LBB25_31
.LBB25_64:                              ;   in Loop: Header=BB25_7 Depth=1
	ds_read_b32 v5, v54 offset:160
	v_lshl_add_u64 v[50:51], v[46:47], 0, s[76:77]
	v_lshl_add_u64 v[56:57], v[30:31], 2, v[44:45]
	v_cndmask_b32_e64 v51, v57, v51, s[0:1]
	v_cndmask_b32_e64 v50, v56, v50, s[0:1]
	s_waitcnt lgkmcnt(0)
	global_store_dword v[50:51], v5, off
	s_or_b64 exec, exec, s[18:19]
	s_and_saveexec_b64 s[18:19], s[56:57]
	s_cbranch_execz .LBB25_32
.LBB25_65:                              ;   in Loop: Header=BB25_7 Depth=1
	ds_read_b32 v5, v54 offset:176
	v_lshl_add_u64 v[50:51], v[46:47], 0, s[78:79]
	v_lshl_add_u64 v[56:57], v[32:33], 2, v[44:45]
	v_cndmask_b32_e64 v51, v57, v51, s[0:1]
	v_cndmask_b32_e64 v50, v56, v50, s[0:1]
	s_waitcnt lgkmcnt(0)
	global_store_dword v[50:51], v5, off
	s_or_b64 exec, exec, s[18:19]
	s_and_saveexec_b64 s[18:19], s[58:59]
	s_cbranch_execz .LBB25_33
.LBB25_66:                              ;   in Loop: Header=BB25_7 Depth=1
	ds_read_b32 v5, v54 offset:192
	v_lshl_add_u64 v[50:51], v[46:47], 0, s[80:81]
	v_lshl_add_u64 v[56:57], v[34:35], 2, v[44:45]
	v_cndmask_b32_e64 v51, v57, v51, s[0:1]
	v_cndmask_b32_e64 v50, v56, v50, s[0:1]
	s_waitcnt lgkmcnt(0)
	global_store_dword v[50:51], v5, off
	s_or_b64 exec, exec, s[18:19]
	s_and_saveexec_b64 s[18:19], s[60:61]
	s_cbranch_execz .LBB25_34
.LBB25_67:                              ;   in Loop: Header=BB25_7 Depth=1
	ds_read_b32 v5, v54 offset:208
	v_lshl_add_u64 v[50:51], v[46:47], 0, s[82:83]
	v_lshl_add_u64 v[56:57], v[36:37], 2, v[44:45]
	v_cndmask_b32_e64 v51, v57, v51, s[0:1]
	v_cndmask_b32_e64 v50, v56, v50, s[0:1]
	s_waitcnt lgkmcnt(0)
	global_store_dword v[50:51], v5, off
	s_or_b64 exec, exec, s[18:19]
	s_and_saveexec_b64 s[18:19], s[62:63]
	s_cbranch_execz .LBB25_35
.LBB25_68:                              ;   in Loop: Header=BB25_7 Depth=1
	ds_read_b32 v5, v54 offset:224
	v_lshl_add_u64 v[50:51], v[46:47], 0, s[84:85]
	v_lshl_add_u64 v[56:57], v[38:39], 2, v[44:45]
	v_cndmask_b32_e64 v51, v57, v51, s[0:1]
	v_cndmask_b32_e64 v50, v56, v50, s[0:1]
	s_waitcnt lgkmcnt(0)
	global_store_dword v[50:51], v5, off
	s_or_b64 exec, exec, s[18:19]
	s_and_saveexec_b64 s[18:19], s[64:65]
	s_cbranch_execnz .LBB25_36
	s_branch .LBB25_37
.LBB25_69:
	s_endpgm
	.section	.rodata,"a",@progbits
	.p2align	6, 0x0
	.amdhsa_kernel _ZN9rocsparseL38csr2bsr_block_per_row_multipass_kernelILj256ELj64EiilEEv20rocsparse_direction_T3_S2_S2_S2_S2_21rocsparse_index_base_PKT1_PKT2_PKS2_S3_PS4_PS7_PS2_
		.amdhsa_group_segment_fixed_size 16388
		.amdhsa_private_segment_fixed_size 0
		.amdhsa_kernarg_size 112
		.amdhsa_user_sgpr_count 2
		.amdhsa_user_sgpr_dispatch_ptr 0
		.amdhsa_user_sgpr_queue_ptr 0
		.amdhsa_user_sgpr_kernarg_segment_ptr 1
		.amdhsa_user_sgpr_dispatch_id 0
		.amdhsa_user_sgpr_kernarg_preload_length 0
		.amdhsa_user_sgpr_kernarg_preload_offset 0
		.amdhsa_user_sgpr_private_segment_size 0
		.amdhsa_uses_dynamic_stack 0
		.amdhsa_enable_private_segment 0
		.amdhsa_system_sgpr_workgroup_id_x 1
		.amdhsa_system_sgpr_workgroup_id_y 0
		.amdhsa_system_sgpr_workgroup_id_z 0
		.amdhsa_system_sgpr_workgroup_info 0
		.amdhsa_system_vgpr_workitem_id 0
		.amdhsa_next_free_vgpr 62
		.amdhsa_next_free_sgpr 100
		.amdhsa_accum_offset 64
		.amdhsa_reserve_vcc 1
		.amdhsa_float_round_mode_32 0
		.amdhsa_float_round_mode_16_64 0
		.amdhsa_float_denorm_mode_32 3
		.amdhsa_float_denorm_mode_16_64 3
		.amdhsa_dx10_clamp 1
		.amdhsa_ieee_mode 1
		.amdhsa_fp16_overflow 0
		.amdhsa_tg_split 0
		.amdhsa_exception_fp_ieee_invalid_op 0
		.amdhsa_exception_fp_denorm_src 0
		.amdhsa_exception_fp_ieee_div_zero 0
		.amdhsa_exception_fp_ieee_overflow 0
		.amdhsa_exception_fp_ieee_underflow 0
		.amdhsa_exception_fp_ieee_inexact 0
		.amdhsa_exception_int_div_zero 0
	.end_amdhsa_kernel
	.section	.text._ZN9rocsparseL38csr2bsr_block_per_row_multipass_kernelILj256ELj64EiilEEv20rocsparse_direction_T3_S2_S2_S2_S2_21rocsparse_index_base_PKT1_PKT2_PKS2_S3_PS4_PS7_PS2_,"axG",@progbits,_ZN9rocsparseL38csr2bsr_block_per_row_multipass_kernelILj256ELj64EiilEEv20rocsparse_direction_T3_S2_S2_S2_S2_21rocsparse_index_base_PKT1_PKT2_PKS2_S3_PS4_PS7_PS2_,comdat
.Lfunc_end25:
	.size	_ZN9rocsparseL38csr2bsr_block_per_row_multipass_kernelILj256ELj64EiilEEv20rocsparse_direction_T3_S2_S2_S2_S2_21rocsparse_index_base_PKT1_PKT2_PKS2_S3_PS4_PS7_PS2_, .Lfunc_end25-_ZN9rocsparseL38csr2bsr_block_per_row_multipass_kernelILj256ELj64EiilEEv20rocsparse_direction_T3_S2_S2_S2_S2_21rocsparse_index_base_PKT1_PKT2_PKS2_S3_PS4_PS7_PS2_
                                        ; -- End function
	.section	.AMDGPU.csdata,"",@progbits
; Kernel info:
; codeLenInByte = 4336
; NumSgprs: 106
; NumVgprs: 62
; NumAgprs: 0
; TotalNumVgprs: 62
; ScratchSize: 0
; MemoryBound: 0
; FloatMode: 240
; IeeeMode: 1
; LDSByteSize: 16388 bytes/workgroup (compile time only)
; SGPRBlocks: 13
; VGPRBlocks: 7
; NumSGPRsForWavesPerEU: 106
; NumVGPRsForWavesPerEU: 62
; AccumOffset: 64
; Occupancy: 3
; WaveLimiterHint : 1
; COMPUTE_PGM_RSRC2:SCRATCH_EN: 0
; COMPUTE_PGM_RSRC2:USER_SGPR: 2
; COMPUTE_PGM_RSRC2:TRAP_HANDLER: 0
; COMPUTE_PGM_RSRC2:TGID_X_EN: 1
; COMPUTE_PGM_RSRC2:TGID_Y_EN: 0
; COMPUTE_PGM_RSRC2:TGID_Z_EN: 0
; COMPUTE_PGM_RSRC2:TIDIG_COMP_CNT: 0
; COMPUTE_PGM_RSRC3_GFX90A:ACCUM_OFFSET: 15
; COMPUTE_PGM_RSRC3_GFX90A:TG_SPLIT: 0
	.section	.text._ZN9rocsparseL21csr2bsr_65_inf_kernelILj32EiilEEv20rocsparse_direction_T2_S2_S2_S2_S2_S2_21rocsparse_index_base_PKT0_PKT1_PKS2_S3_PS4_PS7_PS2_SD_SE_SC_,"axG",@progbits,_ZN9rocsparseL21csr2bsr_65_inf_kernelILj32EiilEEv20rocsparse_direction_T2_S2_S2_S2_S2_S2_21rocsparse_index_base_PKT0_PKT1_PKS2_S3_PS4_PS7_PS2_SD_SE_SC_,comdat
	.globl	_ZN9rocsparseL21csr2bsr_65_inf_kernelILj32EiilEEv20rocsparse_direction_T2_S2_S2_S2_S2_S2_21rocsparse_index_base_PKT0_PKT1_PKS2_S3_PS4_PS7_PS2_SD_SE_SC_ ; -- Begin function _ZN9rocsparseL21csr2bsr_65_inf_kernelILj32EiilEEv20rocsparse_direction_T2_S2_S2_S2_S2_S2_21rocsparse_index_base_PKT0_PKT1_PKS2_S3_PS4_PS7_PS2_SD_SE_SC_
	.p2align	8
	.type	_ZN9rocsparseL21csr2bsr_65_inf_kernelILj32EiilEEv20rocsparse_direction_T2_S2_S2_S2_S2_S2_21rocsparse_index_base_PKT0_PKT1_PKS2_S3_PS4_PS7_PS2_SD_SE_SC_,@function
_ZN9rocsparseL21csr2bsr_65_inf_kernelILj32EiilEEv20rocsparse_direction_T2_S2_S2_S2_S2_S2_21rocsparse_index_base_PKT0_PKT1_PKS2_S3_PS4_PS7_PS2_SD_SE_SC_: ; @_ZN9rocsparseL21csr2bsr_65_inf_kernelILj32EiilEEv20rocsparse_direction_T2_S2_S2_S2_S2_S2_21rocsparse_index_base_PKT0_PKT1_PKS2_S3_PS4_PS7_PS2_SD_SE_SC_
; %bb.0:
	s_load_dwordx2 s[4:5], s[0:1], 0x18
	s_load_dwordx4 s[8:11], s[0:1], 0x8
	s_mov_b32 s3, 0
	s_mov_b64 s[6:7], 0
	s_waitcnt lgkmcnt(0)
	v_mov_b32_e32 v2, s4
	v_mov_b32_e32 v3, s5
	s_load_dwordx2 s[4:5], s[0:1], 0x78
	s_load_dword s16, s[0:1], 0x58
	v_cmp_ge_i64_e32 vcc, s[2:3], v[2:3]
	s_cbranch_vccnz .LBB26_2
; %bb.1:
	s_load_dwordx2 s[6:7], s[0:1], 0x68
	s_lshl_b64 s[12:13], s[2:3], 2
	s_waitcnt lgkmcnt(0)
	s_add_u32 s6, s6, s12
	s_addc_u32 s7, s7, s13
	s_load_dword s3, s[6:7], 0x0
	s_waitcnt lgkmcnt(0)
	s_sub_i32 s6, s3, s16
	s_ashr_i32 s7, s6, 31
.LBB26_2:
	s_load_dwordx4 s[12:15], s[0:1], 0x28
	s_load_dword s33, s[0:1], 0x38
	v_mov_b32_e32 v1, 0
	s_waitcnt lgkmcnt(0)
	s_mul_i32 s3, s2, s15
	s_mul_hi_u32 s17, s2, s14
	s_mul_i32 s18, s2, s14
	s_add_i32 s19, s17, s3
	s_lshl_b64 s[18:19], s[18:19], 8
	s_add_u32 s4, s4, s18
	s_addc_u32 s5, s5, s19
	v_mad_u64_u32 v[8:9], s[18:19], v0, s14, 0
	v_mov_b32_e32 v2, v9
	v_mad_u64_u32 v[2:3], s[18:19], v0, s15, v[2:3]
	v_mov_b32_e32 v9, v2
	v_lshlrev_b64 v[4:5], 2, v[8:9]
	s_lshl_b64 s[18:19], s[14:15], 7
	v_lshl_add_u64 v[2:3], s[4:5], 0, v[4:5]
	s_add_u32 s4, s4, s18
	s_addc_u32 s5, s5, s19
	v_lshl_add_u64 v[4:5], s[4:5], 0, v[4:5]
	v_cmp_lt_i64_e64 s[4:5], s[14:15], 1
	v_cmp_gt_i64_e64 s[36:37], s[14:15], 0
	s_and_b64 vcc, exec, s[4:5]
	s_cbranch_vccnz .LBB26_7
; %bb.3:
	s_load_dwordx2 s[4:5], s[0:1], 0x48
	v_mov_b32_e32 v6, s12
	s_mul_i32 s3, s2, s13
	v_mad_u64_u32 v[6:7], s[20:21], s2, v6, v[0:1]
	v_add_u32_e32 v7, s3, v7
	s_mul_hi_u32 s17, s2, s12
	s_waitcnt lgkmcnt(0)
	v_lshl_add_u64 v[6:7], v[6:7], 2, s[4:5]
	s_add_i32 s19, s17, s3
	s_mul_i32 s18, s2, s12
	v_lshl_add_u64 v[6:7], v[6:7], 0, 4
	s_mov_b64 s[20:21], 0x80
	v_mov_b64_e32 v[10:11], v[4:5]
	v_mov_b64_e32 v[12:13], v[2:3]
	;; [unrolled: 1-line block ×3, first 2 shown]
	s_mov_b64 s[22:23], s[14:15]
	s_branch .LBB26_5
.LBB26_4:                               ;   in Loop: Header=BB26_5 Depth=1
	s_or_b64 exec, exec, s[4:5]
	s_add_u32 s22, s22, -1
	s_addc_u32 s23, s23, -1
	v_lshl_add_u64 v[14:15], v[14:15], 0, 32
	v_lshl_add_u64 v[12:13], v[12:13], 0, 4
	;; [unrolled: 1-line block ×3, first 2 shown]
	s_cmp_eq_u64 s[22:23], 0
	v_lshl_add_u64 v[10:11], v[10:11], 0, 4
	s_cbranch_scc1 .LBB26_7
.LBB26_5:                               ; =>This Inner Loop Header: Depth=1
	v_lshl_add_u64 v[16:17], s[18:19], 0, v[14:15]
	v_cmp_gt_i64_e32 vcc, s[8:9], v[16:17]
	v_cmp_gt_i64_e64 s[4:5], s[12:13], v[14:15]
	s_and_b64 s[24:25], vcc, s[4:5]
	global_store_dword v[12:13], v1, off
	global_store_dword v[10:11], v1, off
	s_and_saveexec_b64 s[4:5], s[24:25]
	s_cbranch_execz .LBB26_4
; %bb.6:                                ;   in Loop: Header=BB26_5 Depth=1
	global_load_dwordx2 v[16:17], v[6:7], off offset:-4
	s_waitcnt vmcnt(0)
	v_subrev_u32_e32 v16, s33, v16
	v_subrev_u32_e32 v17, s33, v17
	global_store_dword v[12:13], v16, off
	global_store_dword v[10:11], v17, off
	s_branch .LBB26_4
.LBB26_7:
	v_cmp_lt_i64_e64 s[4:5], s[10:11], 1
	s_and_b64 vcc, exec, s[4:5]
	s_cbranch_vccnz .LBB26_52
; %bb.8:
	s_load_dwordx4 s[20:23], s[0:1], 0x80
	s_load_dwordx2 s[4:5], s[0:1], 0x70
	s_lshl_b64 s[8:9], s[14:15], 5
	s_mul_i32 s3, s9, s2
	s_mul_hi_u32 s9, s8, s2
	s_add_i32 s3, s9, s3
	s_mul_i32 s2, s8, s2
	s_lshl_b64 s[8:9], s[2:3], 3
	s_waitcnt lgkmcnt(0)
	s_add_u32 s8, s20, s8
	s_addc_u32 s9, s21, s9
	s_lshl_b64 s[2:3], s[2:3], 2
	v_lshl_add_u64 v[6:7], v[8:9], 3, s[8:9]
	s_add_u32 s2, s22, s2
	s_load_dwordx2 s[8:9], s[0:1], 0x60
	s_load_dwordx2 s[18:19], s[0:1], 0x50
	;; [unrolled: 1-line block ×3, first 2 shown]
	s_load_dword s24, s[0:1], 0x0
	s_addc_u32 s3, s23, s3
	v_lshl_add_u64 v[8:9], v[8:9], 2, s[2:3]
	s_lshl_b64 s[2:3], s[6:7], 3
	s_add_u32 s22, s4, s2
	s_addc_u32 s23, s5, s3
	v_mbcnt_lo_u32_b32 v11, -1, 0
	v_mov_b32_e32 v10, 0
	v_mbcnt_hi_u32_b32 v11, -1, v11
	v_mov_b32_e32 v12, 0x7c
	s_waitcnt lgkmcnt(0)
	s_cmp_lg_u32 s24, 0
	s_mov_b32 s48, 0
	v_lshl_or_b32 v36, v11, 2, v12
	s_cselect_b64 s[24:25], -1, 0
	s_add_u32 s26, s6, -1
	v_lshlrev_b32_e32 v12, 2, v0
	v_mov_b32_e32 v13, v10
	v_mov_b64_e32 v[18:19], 0
	v_cndmask_b32_e64 v11, 0, 1, s[36:37]
	v_cmp_eq_u32_e64 s[0:1], 31, v0
	s_mov_b32 s17, s48
	s_addc_u32 s27, s7, -1
	s_lshl_b64 s[28:29], s[12:13], 2
	s_lshl_b64 s[30:31], s[12:13], 7
	v_lshl_add_u64 v[12:13], s[8:9], 0, v[12:13]
	s_mov_b64 s[34:35], 0
	v_cmp_ne_u32_e64 s[2:3], 1, v11
	s_mov_b64 s[36:37], 0x80
	v_mov_b64_e32 v[16:17], v[18:19]
	v_mov_b64_e32 v[14:15], v[18:19]
	s_branch .LBB26_10
.LBB26_9:                               ;   in Loop: Header=BB26_10 Depth=1
	s_waitcnt lgkmcnt(2)
	v_lshl_add_u64 v[18:19], v[18:19], 0, 1
	v_cmp_le_i64_e32 vcc, s[10:11], v[18:19]
	s_or_b64 s[34:35], vcc, s[34:35]
	s_andn2_b64 exec, exec, s[34:35]
	s_cbranch_execz .LBB26_52
.LBB26_10:                              ; =>This Loop Header: Depth=1
                                        ;     Child Loop BB26_14 Depth 2
                                        ;       Child Loop BB26_17 Depth 3
                                        ;     Child Loop BB26_33 Depth 2
	s_and_b64 vcc, exec, s[2:3]
	v_mov_b64_e32 v[20:21], s[10:11]
	s_cbranch_vccnz .LBB26_23
; %bb.11:                               ;   in Loop: Header=BB26_10 Depth=1
	s_mov_b64 s[4:5], 0
	v_mov_b64_e32 v[20:21], s[10:11]
	s_branch .LBB26_14
.LBB26_12:                              ;   in Loop: Header=BB26_14 Depth=2
	s_or_b64 exec, exec, s[38:39]
.LBB26_13:                              ;   in Loop: Header=BB26_14 Depth=2
	s_or_b64 exec, exec, s[6:7]
	s_add_u32 s4, s4, 1
	s_addc_u32 s5, s5, 0
	s_cmp_eq_u64 s[4:5], s[14:15]
	s_cbranch_scc1 .LBB26_23
.LBB26_14:                              ;   Parent Loop BB26_10 Depth=1
                                        ; =>  This Loop Header: Depth=2
                                        ;       Child Loop BB26_17 Depth 3
	s_lshl_b64 s[6:7], s[4:5], 2
	v_lshl_add_u64 v[22:23], v[2:3], 0, s[6:7]
	v_lshl_add_u64 v[24:25], v[4:5], 0, s[6:7]
	global_load_dword v32, v[22:23], off
	global_load_dword v11, v[24:25], off
	v_lshl_add_u64 v[24:25], v[8:9], 0, s[6:7]
	v_lshl_add_u64 v[26:27], s[4:5], 3, v[6:7]
	v_mov_b64_e32 v[28:29], s[10:11]
	global_store_dword v[24:25], v10, off
	global_store_dwordx2 v[26:27], v[28:29], off
	s_waitcnt vmcnt(2)
	v_cmp_lt_i32_e32 vcc, v32, v11
	s_and_saveexec_b64 s[6:7], vcc
	s_cbranch_execz .LBB26_13
; %bb.15:                               ;   in Loop: Header=BB26_14 Depth=2
	v_ashrrev_i32_e32 v33, 31, v32
	v_lshl_add_u64 v[34:35], v[32:33], 3, s[18:19]
	s_mov_b64 s[38:39], 0
                                        ; implicit-def: $sgpr40_sgpr41
                                        ; implicit-def: $sgpr44_sgpr45
                                        ; implicit-def: $sgpr42_sgpr43
	s_branch .LBB26_17
.LBB26_16:                              ;   in Loop: Header=BB26_17 Depth=3
	s_or_b64 exec, exec, s[46:47]
	s_and_b64 s[46:47], exec, s[44:45]
	s_or_b64 s[38:39], s[46:47], s[38:39]
	s_andn2_b64 s[40:41], s[40:41], exec
	s_and_b64 s[46:47], s[42:43], exec
	s_or_b64 s[40:41], s[40:41], s[46:47]
	s_andn2_b64 exec, exec, s[38:39]
	s_cbranch_execz .LBB26_19
.LBB26_17:                              ;   Parent Loop BB26_10 Depth=1
                                        ;     Parent Loop BB26_14 Depth=2
                                        ; =>    This Inner Loop Header: Depth=3
	global_load_dwordx2 v[30:31], v[34:35], off
	v_mov_b64_e32 v[28:29], v[32:33]
	v_mov_b32_e32 v32, s48
	s_or_b64 s[42:43], s[42:43], exec
	s_or_b64 s[44:45], s[44:45], exec
	s_waitcnt vmcnt(0)
	v_subrev_co_u32_e32 v30, vcc, s33, v30
	s_nop 1
	v_subb_co_u32_e32 v31, vcc, v31, v32, vcc
	v_cmp_lt_i64_e32 vcc, v[30:31], v[18:19]
                                        ; implicit-def: $vgpr32_vgpr33
	s_and_saveexec_b64 s[46:47], vcc
	s_cbranch_execz .LBB26_16
; %bb.18:                               ;   in Loop: Header=BB26_17 Depth=3
	v_lshl_add_u64 v[32:33], v[28:29], 0, 1
	v_cmp_ge_i32_e32 vcc, v32, v11
	s_andn2_b64 s[44:45], s[44:45], exec
	s_and_b64 s[50:51], vcc, exec
	v_lshl_add_u64 v[34:35], v[34:35], 0, 8
	s_andn2_b64 s[42:43], s[42:43], exec
	s_or_b64 s[44:45], s[44:45], s[50:51]
	s_branch .LBB26_16
.LBB26_19:                              ;   in Loop: Header=BB26_14 Depth=2
	s_or_b64 exec, exec, s[38:39]
	s_xor_b64 s[38:39], s[40:41], -1
	v_lshl_add_u64 v[32:33], v[28:29], 2, s[20:21]
	s_and_saveexec_b64 s[40:41], s[38:39]
	s_xor_b64 s[38:39], exec, s[40:41]
	s_cbranch_execz .LBB26_21
; %bb.20:                               ;   in Loop: Header=BB26_14 Depth=2
	global_load_dword v11, v[32:33], off
                                        ; implicit-def: $vgpr32_vgpr33
                                        ; implicit-def: $vgpr22_vgpr23
	s_waitcnt vmcnt(0)
	global_store_dword v[24:25], v11, off
	global_store_dwordx2 v[26:27], v[30:31], off
                                        ; implicit-def: $vgpr24_vgpr25
                                        ; implicit-def: $vgpr26_vgpr27
.LBB26_21:                              ;   in Loop: Header=BB26_14 Depth=2
	s_andn2_saveexec_b64 s[38:39], s[38:39]
	s_cbranch_execz .LBB26_12
; %bb.22:                               ;   in Loop: Header=BB26_14 Depth=2
	global_load_dword v11, v[32:33], off
	v_cmp_lt_i64_e32 vcc, v[30:31], v[20:21]
	global_store_dwordx2 v[26:27], v[30:31], off
	s_waitcnt vmcnt(1)
	global_store_dword v[24:25], v11, off
	global_store_dword v[22:23], v28, off
	v_cndmask_b32_e32 v21, v21, v31, vcc
	v_cndmask_b32_e32 v20, v20, v30, vcc
	s_branch .LBB26_12
.LBB26_23:                              ;   in Loop: Header=BB26_10 Depth=1
	s_nop 0
	v_mov_b32_dpp v18, v20 row_shr:1 row_mask:0xf bank_mask:0xf
	v_mov_b32_dpp v19, v21 row_shr:1 row_mask:0xf bank_mask:0xf
	v_cmp_lt_i64_e32 vcc, v[18:19], v[20:21]
	s_nop 1
	v_cndmask_b32_e32 v19, v21, v19, vcc
	v_cndmask_b32_e32 v18, v20, v18, vcc
	s_nop 0
	v_mov_b32_dpp v21, v19 row_shr:2 row_mask:0xf bank_mask:0xf
	v_mov_b32_dpp v20, v18 row_shr:2 row_mask:0xf bank_mask:0xf
	v_cmp_lt_i64_e32 vcc, v[20:21], v[18:19]
	s_nop 1
	v_cndmask_b32_e32 v19, v19, v21, vcc
	v_cndmask_b32_e32 v18, v18, v20, vcc
	;; [unrolled: 7-line block ×4, first 2 shown]
	s_nop 0
	v_mov_b32_dpp v21, v19 row_bcast:15 row_mask:0xa bank_mask:0xf
	v_mov_b32_dpp v20, v18 row_bcast:15 row_mask:0xa bank_mask:0xf
	v_cmp_lt_i64_e32 vcc, v[20:21], v[18:19]
	s_nop 1
	v_cndmask_b32_e32 v19, v19, v21, vcc
	v_cndmask_b32_e32 v18, v18, v20, vcc
	v_cmp_gt_i64_e32 vcc, s[10:11], v[18:19]
	s_and_b64 s[4:5], s[0:1], vcc
	s_and_saveexec_b64 s[6:7], s[4:5]
	s_cbranch_execz .LBB26_29
; %bb.24:                               ;   in Loop: Header=BB26_10 Depth=1
	v_or_b32_e32 v11, s13, v19
	v_cmp_ne_u64_e32 vcc, 0, v[10:11]
                                        ; implicit-def: $vgpr20_vgpr21
	s_and_saveexec_b64 s[4:5], vcc
	s_xor_b64 s[38:39], exec, s[4:5]
	s_cbranch_execnz .LBB26_50
; %bb.25:                               ;   in Loop: Header=BB26_10 Depth=1
	s_andn2_saveexec_b64 s[4:5], s[38:39]
	s_cbranch_execnz .LBB26_51
.LBB26_26:                              ;   in Loop: Header=BB26_10 Depth=1
	s_or_b64 exec, exec, s[4:5]
	v_cmp_ge_i64_e32 vcc, v[20:21], v[16:17]
	s_and_saveexec_b64 s[4:5], vcc
	s_cbranch_execz .LBB26_28
.LBB26_27:                              ;   in Loop: Header=BB26_10 Depth=1
	v_lshl_add_u64 v[16:17], v[20:21], 0, s[16:17]
	s_waitcnt lgkmcnt(0)
	v_lshl_add_u64 v[22:23], v[14:15], 3, s[22:23]
	global_store_dwordx2 v[22:23], v[16:17], off
	v_lshl_add_u64 v[14:15], v[14:15], 0, 1
	v_lshl_add_u64 v[16:17], v[20:21], 0, 1
.LBB26_28:                              ;   in Loop: Header=BB26_10 Depth=1
	s_or_b64 exec, exec, s[4:5]
.LBB26_29:                              ;   in Loop: Header=BB26_10 Depth=1
	s_or_b64 exec, exec, s[6:7]
	ds_bpermute_b32 v18, v36, v18
	ds_bpermute_b32 v19, v36, v19
	s_waitcnt lgkmcnt(3)
	ds_bpermute_b32 v14, v36, v14
	s_waitcnt lgkmcnt(3)
	ds_bpermute_b32 v15, v36, v15
	s_and_b64 vcc, exec, s[2:3]
	s_cbranch_vccnz .LBB26_9
; %bb.30:                               ;   in Loop: Header=BB26_10 Depth=1
	s_waitcnt lgkmcnt(0)
	v_lshl_add_u64 v[20:21], s[26:27], 0, v[14:15]
	v_mov_b32_e32 v11, v15
	v_mul_lo_u32 v24, v21, s12
	v_mul_lo_u32 v25, v20, s13
	v_mad_u64_u32 v[20:21], s[4:5], v20, s12, 0
	v_mov_b32_e32 v22, v14
	v_mov_b32_e32 v23, v10
	v_add3_u32 v21, v21, v25, v24
	v_lshl_add_u64 v[24:25], s[26:27], 0, v[10:11]
	v_lshl_add_u64 v[22:23], v[24:25], 0, v[22:23]
	v_mul_lo_u32 v11, s12, v23
	v_mul_lo_u32 v24, s13, v22
	v_mad_u64_u32 v[22:23], s[4:5], s12, v22, v[0:1]
	v_add3_u32 v11, v24, v23, v11
	v_mov_b64_e32 v[24:25], s[8:9]
	v_mul_lo_u32 v11, s28, v11
	v_mul_lo_u32 v26, s29, v22
	v_mad_u64_u32 v[22:23], s[4:5], s28, v22, v[24:25]
	v_add3_u32 v23, v26, v23, v11
	v_mov_b64_e32 v[24:25], v[6:7]
	v_mov_b64_e32 v[26:27], v[8:9]
	;; [unrolled: 1-line block ×3, first 2 shown]
	s_mov_b64 s[38:39], s[14:15]
	s_branch .LBB26_33
.LBB26_31:                              ;   in Loop: Header=BB26_33 Depth=2
	s_or_b64 exec, exec, s[4:5]
	global_load_dword v11, v[26:27], off
	v_lshl_add_u64 v[30:31], v[32:33], 2, v[22:23]
	s_waitcnt vmcnt(0)
	global_store_dword v[30:31], v11, off
.LBB26_32:                              ;   in Loop: Header=BB26_33 Depth=2
	s_or_b64 exec, exec, s[40:41]
	s_add_u32 s38, s38, -1
	s_addc_u32 s39, s39, -1
	v_lshl_add_u64 v[22:23], v[22:23], 0, s[30:31]
	v_lshl_add_u64 v[28:29], v[28:29], 0, s[36:37]
	;; [unrolled: 1-line block ×3, first 2 shown]
	s_cmp_eq_u64 s[38:39], 0
	v_lshl_add_u64 v[24:25], v[24:25], 0, 8
	s_cbranch_scc1 .LBB26_9
.LBB26_33:                              ;   Parent Loop BB26_10 Depth=1
                                        ; =>  This Inner Loop Header: Depth=2
	global_load_dwordx2 v[30:31], v[24:25], off
	s_waitcnt vmcnt(0)
	v_cmp_gt_i64_e32 vcc, s[10:11], v[30:31]
	s_and_saveexec_b64 s[40:41], vcc
	s_cbranch_execz .LBB26_32
; %bb.34:                               ;   in Loop: Header=BB26_33 Depth=2
	v_or_b32_e32 v37, s13, v31
	v_mov_b32_e32 v11, v37
	v_cmp_ne_u64_e32 vcc, 0, v[10:11]
                                        ; implicit-def: $vgpr32_vgpr33
	s_and_saveexec_b64 s[4:5], vcc
	s_xor_b64 s[6:7], exec, s[4:5]
	s_cbranch_execz .LBB26_36
; %bb.35:                               ;   in Loop: Header=BB26_33 Depth=2
	s_ashr_i32 s42, s13, 31
	s_add_u32 s4, s12, s42
	s_mov_b32 s43, s42
	s_addc_u32 s5, s13, s42
	s_xor_b64 s[44:45], s[4:5], s[42:43]
	v_cvt_f32_u32_e32 v11, s44
	v_cvt_f32_u32_e32 v32, s45
	s_sub_u32 s4, 0, s44
	s_subb_u32 s5, 0, s45
	v_mov_b32_e32 v35, v10
	v_fmac_f32_e32 v11, 0x4f800000, v32
	v_rcp_f32_e32 v11, v11
	s_nop 0
	v_mul_f32_e32 v11, 0x5f7ffffc, v11
	v_mul_f32_e32 v32, 0x2f800000, v11
	v_trunc_f32_e32 v32, v32
	v_fmac_f32_e32 v11, 0xcf800000, v32
	v_cvt_u32_f32_e32 v38, v32
	v_cvt_u32_f32_e32 v11, v11
	v_mul_lo_u32 v32, s4, v38
	v_mul_hi_u32 v34, s4, v11
	v_mul_lo_u32 v33, s5, v11
	v_add_u32_e32 v32, v34, v32
	v_mul_lo_u32 v39, s4, v11
	v_add_u32_e32 v40, v32, v33
	v_mul_hi_u32 v33, v11, v40
	v_mul_lo_u32 v32, v11, v40
	v_mul_hi_u32 v34, v11, v39
	v_lshl_add_u64 v[32:33], v[34:35], 0, v[32:33]
	v_mul_hi_u32 v35, v38, v39
	v_mul_lo_u32 v39, v38, v39
	v_add_co_u32_e32 v32, vcc, v32, v39
	v_mul_hi_u32 v34, v38, v40
	s_nop 0
	v_addc_co_u32_e32 v32, vcc, v33, v35, vcc
	v_mov_b32_e32 v33, v10
	s_nop 0
	v_addc_co_u32_e32 v35, vcc, 0, v34, vcc
	v_mul_lo_u32 v34, v38, v40
	v_lshl_add_u64 v[32:33], v[32:33], 0, v[34:35]
	v_add_co_u32_e32 v11, vcc, v11, v32
	v_mul_lo_u32 v34, s4, v11
	s_nop 0
	v_addc_co_u32_e32 v38, vcc, v38, v33, vcc
	v_mul_lo_u32 v32, s4, v38
	v_mul_hi_u32 v33, s4, v11
	v_add_u32_e32 v32, v33, v32
	v_mul_lo_u32 v33, s5, v11
	v_add_u32_e32 v39, v32, v33
	v_mul_hi_u32 v41, v38, v34
	v_mul_lo_u32 v42, v38, v34
	v_mul_hi_u32 v33, v11, v39
	v_mul_lo_u32 v32, v11, v39
	v_mul_hi_u32 v34, v11, v34
	v_mov_b32_e32 v35, v10
	v_lshl_add_u64 v[32:33], v[34:35], 0, v[32:33]
	v_add_co_u32_e32 v32, vcc, v32, v42
	v_mul_hi_u32 v40, v38, v39
	s_nop 0
	v_addc_co_u32_e32 v32, vcc, v33, v41, vcc
	v_mul_lo_u32 v34, v38, v39
	s_nop 0
	v_addc_co_u32_e32 v35, vcc, 0, v40, vcc
	v_mov_b32_e32 v33, v10
	v_lshl_add_u64 v[32:33], v[32:33], 0, v[34:35]
	v_add_co_u32_e32 v11, vcc, v11, v32
	v_ashrrev_i32_e32 v32, 31, v31
	s_nop 0
	v_addc_co_u32_e32 v40, vcc, v38, v33, vcc
	v_mov_b32_e32 v33, v32
	v_lshl_add_u64 v[34:35], v[30:31], 0, v[32:33]
	v_xor_b32_e32 v42, v34, v32
	v_xor_b32_e32 v33, v35, v32
	v_mad_u64_u32 v[34:35], s[4:5], v42, v40, 0
	v_mul_hi_u32 v38, v42, v11
	v_mov_b32_e32 v39, v10
	v_lshl_add_u64 v[34:35], v[38:39], 0, v[34:35]
	v_mad_u64_u32 v[38:39], s[4:5], v33, v40, 0
	v_mad_u64_u32 v[40:41], s[4:5], v33, v11, 0
	v_add_co_u32_e32 v11, vcc, v34, v40
	s_nop 1
	v_addc_co_u32_e32 v34, vcc, v35, v41, vcc
	v_mov_b32_e32 v35, v10
	s_nop 0
	v_addc_co_u32_e32 v39, vcc, 0, v39, vcc
	v_lshl_add_u64 v[34:35], v[34:35], 0, v[38:39]
	v_mul_lo_u32 v11, s45, v34
	v_mul_lo_u32 v40, s44, v35
	v_mad_u64_u32 v[38:39], s[4:5], s44, v34, 0
	v_add3_u32 v11, v39, v40, v11
	v_sub_u32_e32 v39, v33, v11
	v_mov_b32_e32 v40, s45
	v_sub_co_u32_e32 v42, vcc, v42, v38
	s_nop 1
	v_subb_co_u32_e64 v38, s[4:5], v39, v40, vcc
	v_subrev_co_u32_e64 v39, s[4:5], s44, v42
	v_subb_co_u32_e32 v11, vcc, v33, v11, vcc
	s_nop 0
	v_subbrev_co_u32_e64 v38, s[4:5], 0, v38, s[4:5]
	v_cmp_le_u32_e64 s[4:5], s45, v38
	v_cmp_le_u32_e32 vcc, s45, v11
	s_nop 0
	v_cndmask_b32_e64 v40, 0, -1, s[4:5]
	v_cmp_le_u32_e64 s[4:5], s44, v39
	v_cndmask_b32_e64 v33, 0, -1, vcc
	v_cmp_le_u32_e32 vcc, s44, v42
	v_cndmask_b32_e64 v39, 0, -1, s[4:5]
	v_cmp_eq_u32_e64 s[4:5], s45, v38
	s_nop 1
	v_cndmask_b32_e64 v43, v40, v39, s[4:5]
	v_lshl_add_u64 v[38:39], v[34:35], 0, 2
	v_lshl_add_u64 v[40:41], v[34:35], 0, 1
	v_cmp_ne_u32_e64 s[4:5], 0, v43
	s_nop 1
	v_cndmask_b32_e64 v39, v41, v39, s[4:5]
	v_cndmask_b32_e64 v41, 0, -1, vcc
	v_cmp_eq_u32_e32 vcc, s45, v11
	s_nop 1
	v_cndmask_b32_e32 v11, v33, v41, vcc
	v_cmp_ne_u32_e32 vcc, 0, v11
	v_cndmask_b32_e64 v33, v40, v38, s[4:5]
	s_nop 0
	v_cndmask_b32_e32 v33, v34, v33, vcc
	v_xor_b32_e32 v34, s42, v32
	v_cndmask_b32_e32 v11, v35, v39, vcc
	v_xor_b32_e32 v32, v33, v34
	v_xor_b32_e32 v11, v11, v34
	v_sub_co_u32_e32 v32, vcc, v32, v34
	s_nop 1
	v_subb_co_u32_e32 v33, vcc, v11, v34, vcc
.LBB26_36:                              ;   in Loop: Header=BB26_33 Depth=2
	s_andn2_saveexec_b64 s[4:5], s[6:7]
	s_cbranch_execz .LBB26_38
; %bb.37:                               ;   in Loop: Header=BB26_33 Depth=2
	v_cvt_f32_u32_e32 v11, s12
	s_sub_i32 s6, 0, s12
	v_rcp_iflag_f32_e32 v11, v11
	s_nop 0
	v_mul_f32_e32 v11, 0x4f7ffffe, v11
	v_cvt_u32_f32_e32 v11, v11
	v_mul_lo_u32 v32, s6, v11
	v_mul_hi_u32 v32, v11, v32
	v_add_u32_e32 v11, v11, v32
	v_mul_hi_u32 v11, v30, v11
	v_mul_lo_u32 v32, v11, s12
	v_sub_u32_e32 v32, v30, v32
	v_add_u32_e32 v33, 1, v11
	v_subrev_u32_e32 v34, s12, v32
	v_cmp_le_u32_e32 vcc, s12, v32
	s_nop 1
	v_cndmask_b32_e32 v32, v32, v34, vcc
	v_cndmask_b32_e32 v11, v11, v33, vcc
	v_add_u32_e32 v33, 1, v11
	v_cmp_le_u32_e32 vcc, s12, v32
	s_nop 1
	v_cndmask_b32_e32 v32, v11, v33, vcc
	v_mov_b32_e32 v33, v10
.LBB26_38:                              ;   in Loop: Header=BB26_33 Depth=2
	s_or_b64 exec, exec, s[4:5]
	v_or_b32_e32 v11, s13, v19
	v_cmp_ne_u64_e32 vcc, 0, v[10:11]
                                        ; implicit-def: $vgpr34_vgpr35
	s_and_saveexec_b64 s[4:5], vcc
	s_xor_b64 s[6:7], exec, s[4:5]
	s_cbranch_execnz .LBB26_41
; %bb.39:                               ;   in Loop: Header=BB26_33 Depth=2
	s_andn2_saveexec_b64 s[4:5], s[6:7]
	s_cbranch_execnz .LBB26_42
.LBB26_40:                              ;   in Loop: Header=BB26_33 Depth=2
	s_or_b64 exec, exec, s[4:5]
	v_cmp_eq_u64_e32 vcc, v[32:33], v[34:35]
	s_and_b64 exec, exec, vcc
	s_cbranch_execz .LBB26_32
	s_branch .LBB26_43
.LBB26_41:                              ;   in Loop: Header=BB26_33 Depth=2
	s_ashr_i32 s42, s13, 31
	s_add_u32 s4, s12, s42
	s_mov_b32 s43, s42
	s_addc_u32 s5, s13, s42
	s_xor_b64 s[44:45], s[4:5], s[42:43]
	v_cvt_f32_u32_e32 v11, s44
	v_cvt_f32_u32_e32 v34, s45
	s_sub_u32 s4, 0, s44
	s_subb_u32 s5, 0, s45
	v_mov_b32_e32 v39, v10
	v_fmac_f32_e32 v11, 0x4f800000, v34
	v_rcp_f32_e32 v11, v11
	s_nop 0
	v_mul_f32_e32 v11, 0x5f7ffffc, v11
	v_mul_f32_e32 v34, 0x2f800000, v11
	v_trunc_f32_e32 v34, v34
	v_fmac_f32_e32 v11, 0xcf800000, v34
	v_cvt_u32_f32_e32 v40, v34
	v_cvt_u32_f32_e32 v11, v11
	v_mul_lo_u32 v34, s4, v40
	v_mul_hi_u32 v38, s4, v11
	v_mul_lo_u32 v35, s5, v11
	v_add_u32_e32 v34, v38, v34
	v_mul_lo_u32 v41, s4, v11
	v_add_u32_e32 v42, v34, v35
	v_mul_hi_u32 v35, v11, v42
	v_mul_lo_u32 v34, v11, v42
	v_mul_hi_u32 v38, v11, v41
	v_lshl_add_u64 v[34:35], v[38:39], 0, v[34:35]
	v_mul_hi_u32 v39, v40, v41
	v_mul_lo_u32 v41, v40, v41
	v_add_co_u32_e32 v34, vcc, v34, v41
	v_mul_hi_u32 v38, v40, v42
	s_nop 0
	v_addc_co_u32_e32 v34, vcc, v35, v39, vcc
	v_mov_b32_e32 v35, v10
	s_nop 0
	v_addc_co_u32_e32 v39, vcc, 0, v38, vcc
	v_mul_lo_u32 v38, v40, v42
	v_lshl_add_u64 v[34:35], v[34:35], 0, v[38:39]
	v_add_co_u32_e32 v11, vcc, v11, v34
	v_mul_lo_u32 v38, s4, v11
	s_nop 0
	v_addc_co_u32_e32 v40, vcc, v40, v35, vcc
	v_mul_lo_u32 v34, s4, v40
	v_mul_hi_u32 v35, s4, v11
	v_add_u32_e32 v34, v35, v34
	v_mul_lo_u32 v35, s5, v11
	v_add_u32_e32 v41, v34, v35
	v_mul_hi_u32 v43, v40, v38
	v_mul_lo_u32 v44, v40, v38
	v_mul_hi_u32 v35, v11, v41
	v_mul_lo_u32 v34, v11, v41
	v_mul_hi_u32 v38, v11, v38
	v_mov_b32_e32 v39, v10
	v_lshl_add_u64 v[34:35], v[38:39], 0, v[34:35]
	v_add_co_u32_e32 v34, vcc, v34, v44
	v_mul_hi_u32 v42, v40, v41
	s_nop 0
	v_addc_co_u32_e32 v34, vcc, v35, v43, vcc
	v_mul_lo_u32 v38, v40, v41
	s_nop 0
	v_addc_co_u32_e32 v39, vcc, 0, v42, vcc
	v_mov_b32_e32 v35, v10
	v_lshl_add_u64 v[34:35], v[34:35], 0, v[38:39]
	v_add_co_u32_e32 v11, vcc, v11, v34
	v_ashrrev_i32_e32 v34, 31, v19
	s_nop 0
	v_addc_co_u32_e32 v42, vcc, v40, v35, vcc
	v_mov_b32_e32 v35, v34
	v_lshl_add_u64 v[38:39], v[18:19], 0, v[34:35]
	v_xor_b32_e32 v44, v38, v34
	v_xor_b32_e32 v35, v39, v34
	v_mad_u64_u32 v[38:39], s[4:5], v44, v42, 0
	v_mul_hi_u32 v40, v44, v11
	v_mov_b32_e32 v41, v10
	v_lshl_add_u64 v[38:39], v[40:41], 0, v[38:39]
	v_mad_u64_u32 v[40:41], s[4:5], v35, v42, 0
	v_mad_u64_u32 v[42:43], s[4:5], v35, v11, 0
	v_add_co_u32_e32 v11, vcc, v38, v42
	s_nop 1
	v_addc_co_u32_e32 v38, vcc, v39, v43, vcc
	v_mov_b32_e32 v39, v10
	s_nop 0
	v_addc_co_u32_e32 v41, vcc, 0, v41, vcc
	v_lshl_add_u64 v[38:39], v[38:39], 0, v[40:41]
	v_mul_lo_u32 v11, s45, v38
	v_mul_lo_u32 v42, s44, v39
	v_mad_u64_u32 v[40:41], s[4:5], s44, v38, 0
	v_add3_u32 v11, v41, v42, v11
	v_sub_u32_e32 v41, v35, v11
	v_mov_b32_e32 v42, s45
	v_sub_co_u32_e32 v44, vcc, v44, v40
	s_nop 1
	v_subb_co_u32_e64 v40, s[4:5], v41, v42, vcc
	v_subrev_co_u32_e64 v41, s[4:5], s44, v44
	v_subb_co_u32_e32 v11, vcc, v35, v11, vcc
	s_nop 0
	v_subbrev_co_u32_e64 v40, s[4:5], 0, v40, s[4:5]
	v_cmp_le_u32_e64 s[4:5], s45, v40
	v_cmp_le_u32_e32 vcc, s45, v11
	s_nop 0
	v_cndmask_b32_e64 v42, 0, -1, s[4:5]
	v_cmp_le_u32_e64 s[4:5], s44, v41
	v_cndmask_b32_e64 v35, 0, -1, vcc
	v_cmp_le_u32_e32 vcc, s44, v44
	v_cndmask_b32_e64 v41, 0, -1, s[4:5]
	v_cmp_eq_u32_e64 s[4:5], s45, v40
	s_nop 1
	v_cndmask_b32_e64 v45, v42, v41, s[4:5]
	v_lshl_add_u64 v[40:41], v[38:39], 0, 2
	v_lshl_add_u64 v[42:43], v[38:39], 0, 1
	v_cmp_ne_u32_e64 s[4:5], 0, v45
	s_nop 1
	v_cndmask_b32_e64 v41, v43, v41, s[4:5]
	v_cndmask_b32_e64 v43, 0, -1, vcc
	v_cmp_eq_u32_e32 vcc, s45, v11
	s_nop 1
	v_cndmask_b32_e32 v11, v35, v43, vcc
	v_cmp_ne_u32_e32 vcc, 0, v11
	v_cndmask_b32_e64 v35, v42, v40, s[4:5]
	s_nop 0
	v_cndmask_b32_e32 v35, v38, v35, vcc
	v_xor_b32_e32 v38, s42, v34
	v_cndmask_b32_e32 v11, v39, v41, vcc
	v_xor_b32_e32 v34, v35, v38
	v_xor_b32_e32 v11, v11, v38
	v_sub_co_u32_e32 v34, vcc, v34, v38
	s_nop 1
	v_subb_co_u32_e32 v35, vcc, v11, v38, vcc
	s_andn2_saveexec_b64 s[4:5], s[6:7]
	s_cbranch_execz .LBB26_40
.LBB26_42:                              ;   in Loop: Header=BB26_33 Depth=2
	v_cvt_f32_u32_e32 v11, s12
	s_sub_i32 s6, 0, s12
	v_rcp_iflag_f32_e32 v11, v11
	s_nop 0
	v_mul_f32_e32 v11, 0x4f7ffffe, v11
	v_cvt_u32_f32_e32 v11, v11
	v_mul_lo_u32 v34, s6, v11
	v_mul_hi_u32 v34, v11, v34
	v_add_u32_e32 v11, v11, v34
	v_mul_hi_u32 v11, v18, v11
	v_mul_lo_u32 v34, v11, s12
	v_sub_u32_e32 v34, v18, v34
	v_add_u32_e32 v35, 1, v11
	v_subrev_u32_e32 v38, s12, v34
	v_cmp_le_u32_e32 vcc, s12, v34
	s_nop 1
	v_cndmask_b32_e32 v34, v34, v38, vcc
	v_cndmask_b32_e32 v11, v11, v35, vcc
	v_add_u32_e32 v35, 1, v11
	v_cmp_le_u32_e32 vcc, s12, v34
	s_nop 1
	v_cndmask_b32_e32 v34, v11, v35, vcc
	v_mov_b32_e32 v35, v10
	s_or_b64 exec, exec, s[4:5]
	v_cmp_eq_u64_e32 vcc, v[32:33], v[34:35]
	s_and_b64 exec, exec, vcc
	s_cbranch_execz .LBB26_32
.LBB26_43:                              ;   in Loop: Header=BB26_33 Depth=2
	s_and_b64 vcc, exec, s[24:25]
	s_cbranch_vccz .LBB26_45
; %bb.44:                               ;   in Loop: Header=BB26_33 Depth=2
	global_load_dword v11, v[26:27], off
	v_mul_lo_u32 v34, v33, s12
	v_mul_lo_u32 v35, v32, s13
	v_mad_u64_u32 v[32:33], s[4:5], v32, s12, 0
	v_add3_u32 v33, v33, v35, v34
	v_sub_co_u32_e32 v32, vcc, v30, v32
	s_nop 1
	v_subb_co_u32_e32 v33, vcc, v31, v33, vcc
	v_lshl_add_u64 v[32:33], v[32:33], 0, v[20:21]
	v_mul_lo_u32 v34, s28, v33
	v_mul_lo_u32 v35, s29, v32
	v_mad_u64_u32 v[32:33], s[4:5], s28, v32, v[28:29]
	v_add3_u32 v33, v35, v33, v34
	s_waitcnt vmcnt(0)
	global_store_dword v[32:33], v11, off
	s_cbranch_execnz .LBB26_32
	s_branch .LBB26_46
.LBB26_45:                              ;   in Loop: Header=BB26_33 Depth=2
.LBB26_46:                              ;   in Loop: Header=BB26_33 Depth=2
	v_mov_b32_e32 v11, v37
	v_cmp_ne_u64_e32 vcc, 0, v[10:11]
                                        ; implicit-def: $vgpr32_vgpr33
	s_and_saveexec_b64 s[4:5], vcc
	s_xor_b64 s[42:43], exec, s[4:5]
	s_cbranch_execz .LBB26_48
; %bb.47:                               ;   in Loop: Header=BB26_33 Depth=2
	s_ashr_i32 s4, s13, 31
	s_add_u32 s6, s12, s4
	s_mov_b32 s5, s4
	s_addc_u32 s7, s13, s4
	s_xor_b64 s[44:45], s[6:7], s[4:5]
	v_cvt_f32_u32_e32 v11, s44
	v_cvt_f32_u32_e32 v32, s45
	s_sub_u32 s4, 0, s44
	s_subb_u32 s5, 0, s45
	v_mov_b32_e32 v35, v10
	v_fmac_f32_e32 v11, 0x4f800000, v32
	v_rcp_f32_e32 v11, v11
	s_nop 0
	v_mul_f32_e32 v11, 0x5f7ffffc, v11
	v_mul_f32_e32 v32, 0x2f800000, v11
	v_trunc_f32_e32 v32, v32
	v_fmac_f32_e32 v11, 0xcf800000, v32
	v_cvt_u32_f32_e32 v37, v32
	v_cvt_u32_f32_e32 v11, v11
	v_mul_lo_u32 v32, s4, v37
	v_mul_hi_u32 v34, s4, v11
	v_mul_lo_u32 v33, s5, v11
	v_add_u32_e32 v32, v34, v32
	v_mul_lo_u32 v38, s4, v11
	v_add_u32_e32 v39, v32, v33
	v_mul_hi_u32 v33, v11, v39
	v_mul_lo_u32 v32, v11, v39
	v_mul_hi_u32 v34, v11, v38
	v_lshl_add_u64 v[32:33], v[34:35], 0, v[32:33]
	v_mul_hi_u32 v35, v37, v38
	v_mul_lo_u32 v38, v37, v38
	v_add_co_u32_e32 v32, vcc, v32, v38
	v_mul_hi_u32 v34, v37, v39
	s_nop 0
	v_addc_co_u32_e32 v32, vcc, v33, v35, vcc
	v_mov_b32_e32 v33, v10
	s_nop 0
	v_addc_co_u32_e32 v35, vcc, 0, v34, vcc
	v_mul_lo_u32 v34, v37, v39
	v_lshl_add_u64 v[32:33], v[32:33], 0, v[34:35]
	v_add_co_u32_e32 v11, vcc, v11, v32
	v_mul_lo_u32 v34, s4, v11
	s_nop 0
	v_addc_co_u32_e32 v37, vcc, v37, v33, vcc
	v_mul_lo_u32 v32, s4, v37
	v_mul_hi_u32 v33, s4, v11
	v_add_u32_e32 v32, v33, v32
	v_mul_lo_u32 v33, s5, v11
	v_add_u32_e32 v38, v32, v33
	v_mul_hi_u32 v40, v37, v34
	v_mul_lo_u32 v41, v37, v34
	v_mul_hi_u32 v33, v11, v38
	v_mul_lo_u32 v32, v11, v38
	v_mul_hi_u32 v34, v11, v34
	v_mov_b32_e32 v35, v10
	v_lshl_add_u64 v[32:33], v[34:35], 0, v[32:33]
	v_add_co_u32_e32 v32, vcc, v32, v41
	v_mul_hi_u32 v39, v37, v38
	s_nop 0
	v_addc_co_u32_e32 v32, vcc, v33, v40, vcc
	v_mul_lo_u32 v34, v37, v38
	s_nop 0
	v_addc_co_u32_e32 v35, vcc, 0, v39, vcc
	v_mov_b32_e32 v33, v10
	v_lshl_add_u64 v[32:33], v[32:33], 0, v[34:35]
	v_ashrrev_i32_e32 v34, 31, v31
	v_mov_b32_e32 v35, v34
	v_add_co_u32_e32 v11, vcc, v11, v32
	v_lshl_add_u64 v[30:31], v[30:31], 0, v[34:35]
	s_nop 0
	v_addc_co_u32_e32 v37, vcc, v37, v33, vcc
	v_xor_b32_e32 v40, v30, v34
	v_xor_b32_e32 v35, v31, v34
	v_mad_u64_u32 v[30:31], s[4:5], v40, v37, 0
	v_mul_hi_u32 v32, v40, v11
	v_mov_b32_e32 v33, v10
	v_lshl_add_u64 v[30:31], v[32:33], 0, v[30:31]
	v_mad_u64_u32 v[38:39], s[4:5], v35, v11, 0
	v_add_co_u32_e32 v11, vcc, v30, v38
	v_mad_u64_u32 v[32:33], s[4:5], v35, v37, 0
	s_nop 0
	v_addc_co_u32_e32 v30, vcc, v31, v39, vcc
	v_mov_b32_e32 v31, v10
	s_nop 0
	v_addc_co_u32_e32 v33, vcc, 0, v33, vcc
	v_lshl_add_u64 v[30:31], v[30:31], 0, v[32:33]
	v_mul_lo_u32 v11, s45, v30
	v_mul_lo_u32 v32, s44, v31
	v_mad_u64_u32 v[30:31], s[4:5], s44, v30, 0
	v_add3_u32 v11, v31, v32, v11
	v_sub_u32_e32 v31, v35, v11
	v_mov_b32_e32 v32, s45
	v_sub_co_u32_e32 v30, vcc, v40, v30
	s_nop 1
	v_subb_co_u32_e64 v31, s[4:5], v31, v32, vcc
	v_subrev_co_u32_e64 v33, s[4:5], s44, v30
	v_subb_co_u32_e32 v11, vcc, v35, v11, vcc
	s_nop 0
	v_subbrev_co_u32_e64 v37, s[6:7], 0, v31, s[4:5]
	v_cmp_le_u32_e64 s[6:7], s45, v37
	v_subb_co_u32_e64 v31, s[4:5], v31, v32, s[4:5]
	s_nop 0
	v_cndmask_b32_e64 v38, 0, -1, s[6:7]
	v_cmp_le_u32_e64 s[6:7], s44, v33
	v_subrev_co_u32_e64 v32, s[4:5], s44, v33
	s_nop 0
	v_cndmask_b32_e64 v39, 0, -1, s[6:7]
	v_cmp_eq_u32_e64 s[6:7], s45, v37
	v_subbrev_co_u32_e64 v31, s[4:5], 0, v31, s[4:5]
	s_nop 0
	v_cndmask_b32_e64 v38, v38, v39, s[6:7]
	v_cmp_le_u32_e32 vcc, s45, v11
	v_cmp_ne_u32_e64 s[4:5], 0, v38
	s_nop 0
	v_cndmask_b32_e64 v35, 0, -1, vcc
	v_cmp_le_u32_e32 vcc, s44, v30
	v_cndmask_b32_e64 v31, v37, v31, s[4:5]
	s_nop 0
	v_cndmask_b32_e64 v37, 0, -1, vcc
	v_cmp_eq_u32_e32 vcc, s45, v11
	s_nop 1
	v_cndmask_b32_e32 v35, v35, v37, vcc
	v_cmp_ne_u32_e32 vcc, 0, v35
	s_nop 1
	v_cndmask_b32_e32 v11, v11, v31, vcc
	v_cndmask_b32_e64 v31, v33, v32, s[4:5]
	v_cndmask_b32_e32 v30, v30, v31, vcc
	v_xor_b32_e32 v30, v30, v34
	v_xor_b32_e32 v11, v11, v34
	v_sub_co_u32_e32 v32, vcc, v30, v34
                                        ; implicit-def: $vgpr30_vgpr31
	s_nop 1
	v_subb_co_u32_e32 v33, vcc, v11, v34, vcc
.LBB26_48:                              ;   in Loop: Header=BB26_33 Depth=2
	s_andn2_saveexec_b64 s[4:5], s[42:43]
	s_cbranch_execz .LBB26_31
; %bb.49:                               ;   in Loop: Header=BB26_33 Depth=2
	v_cvt_f32_u32_e32 v11, s12
	s_sub_i32 s6, 0, s12
	v_mov_b32_e32 v33, v10
	v_rcp_iflag_f32_e32 v11, v11
	s_nop 0
	v_mul_f32_e32 v11, 0x4f7ffffe, v11
	v_cvt_u32_f32_e32 v11, v11
	v_mul_lo_u32 v31, s6, v11
	v_mul_hi_u32 v31, v11, v31
	v_add_u32_e32 v11, v11, v31
	v_mul_hi_u32 v11, v30, v11
	v_mul_lo_u32 v11, v11, s12
	v_sub_u32_e32 v11, v30, v11
	v_subrev_u32_e32 v30, s12, v11
	v_cmp_le_u32_e32 vcc, s12, v11
	s_nop 1
	v_cndmask_b32_e32 v11, v11, v30, vcc
	v_subrev_u32_e32 v30, s12, v11
	v_cmp_le_u32_e32 vcc, s12, v11
	s_nop 1
	v_cndmask_b32_e32 v32, v11, v30, vcc
	s_branch .LBB26_31
.LBB26_50:                              ;   in Loop: Header=BB26_10 Depth=1
	s_ashr_i32 s40, s13, 31
	s_add_u32 s4, s12, s40
	s_mov_b32 s41, s40
	s_addc_u32 s5, s13, s40
	s_xor_b64 s[42:43], s[4:5], s[40:41]
	v_cvt_f32_u32_e32 v11, s42
	v_cvt_f32_u32_e32 v20, s43
	s_sub_u32 s4, 0, s42
	s_subb_u32 s5, 0, s43
	v_mov_b32_e32 v23, v10
	v_fmac_f32_e32 v11, 0x4f800000, v20
	v_rcp_f32_e32 v11, v11
	s_nop 0
	v_mul_f32_e32 v11, 0x5f7ffffc, v11
	v_mul_f32_e32 v20, 0x2f800000, v11
	v_trunc_f32_e32 v20, v20
	v_fmac_f32_e32 v11, 0xcf800000, v20
	v_cvt_u32_f32_e32 v24, v20
	v_cvt_u32_f32_e32 v11, v11
	v_mul_lo_u32 v20, s4, v24
	v_mul_hi_u32 v22, s4, v11
	v_mul_lo_u32 v21, s5, v11
	v_add_u32_e32 v20, v22, v20
	v_mul_lo_u32 v25, s4, v11
	v_add_u32_e32 v26, v20, v21
	v_mul_hi_u32 v21, v11, v26
	v_mul_lo_u32 v20, v11, v26
	v_mul_hi_u32 v22, v11, v25
	v_lshl_add_u64 v[20:21], v[22:23], 0, v[20:21]
	v_mul_hi_u32 v23, v24, v25
	v_mul_lo_u32 v25, v24, v25
	v_add_co_u32_e32 v20, vcc, v20, v25
	v_mul_hi_u32 v22, v24, v26
	s_nop 0
	v_addc_co_u32_e32 v20, vcc, v21, v23, vcc
	v_mov_b32_e32 v21, v10
	s_nop 0
	v_addc_co_u32_e32 v23, vcc, 0, v22, vcc
	v_mul_lo_u32 v22, v24, v26
	v_lshl_add_u64 v[20:21], v[20:21], 0, v[22:23]
	v_add_co_u32_e32 v11, vcc, v11, v20
	v_mul_lo_u32 v22, s4, v11
	s_nop 0
	v_addc_co_u32_e32 v24, vcc, v24, v21, vcc
	v_mul_lo_u32 v20, s4, v24
	v_mul_hi_u32 v21, s4, v11
	v_add_u32_e32 v20, v21, v20
	v_mul_lo_u32 v21, s5, v11
	v_add_u32_e32 v25, v20, v21
	v_mul_hi_u32 v27, v24, v22
	v_mul_lo_u32 v28, v24, v22
	v_mul_hi_u32 v21, v11, v25
	v_mul_lo_u32 v20, v11, v25
	v_mul_hi_u32 v22, v11, v22
	v_mov_b32_e32 v23, v10
	v_lshl_add_u64 v[20:21], v[22:23], 0, v[20:21]
	v_add_co_u32_e32 v20, vcc, v20, v28
	v_mul_hi_u32 v26, v24, v25
	s_nop 0
	v_addc_co_u32_e32 v20, vcc, v21, v27, vcc
	v_mul_lo_u32 v22, v24, v25
	s_nop 0
	v_addc_co_u32_e32 v23, vcc, 0, v26, vcc
	v_mov_b32_e32 v21, v10
	v_lshl_add_u64 v[20:21], v[20:21], 0, v[22:23]
	v_add_co_u32_e32 v11, vcc, v11, v20
	v_ashrrev_i32_e32 v20, 31, v19
	s_nop 0
	v_addc_co_u32_e32 v26, vcc, v24, v21, vcc
	v_mov_b32_e32 v21, v20
	v_lshl_add_u64 v[22:23], v[18:19], 0, v[20:21]
	v_xor_b32_e32 v28, v22, v20
	v_xor_b32_e32 v21, v23, v20
	v_mad_u64_u32 v[22:23], s[4:5], v28, v26, 0
	v_mul_hi_u32 v24, v28, v11
	v_mov_b32_e32 v25, v10
	v_lshl_add_u64 v[22:23], v[24:25], 0, v[22:23]
	v_mad_u64_u32 v[24:25], s[4:5], v21, v26, 0
	v_mad_u64_u32 v[26:27], s[4:5], v21, v11, 0
	v_add_co_u32_e32 v11, vcc, v22, v26
	s_nop 1
	v_addc_co_u32_e32 v22, vcc, v23, v27, vcc
	v_mov_b32_e32 v23, v10
	s_nop 0
	v_addc_co_u32_e32 v25, vcc, 0, v25, vcc
	v_lshl_add_u64 v[22:23], v[22:23], 0, v[24:25]
	v_mul_lo_u32 v11, s43, v22
	v_mul_lo_u32 v26, s42, v23
	v_mad_u64_u32 v[24:25], s[4:5], s42, v22, 0
	v_add3_u32 v11, v25, v26, v11
	v_sub_u32_e32 v25, v21, v11
	v_mov_b32_e32 v26, s43
	v_sub_co_u32_e32 v28, vcc, v28, v24
	s_nop 1
	v_subb_co_u32_e64 v24, s[4:5], v25, v26, vcc
	v_subrev_co_u32_e64 v25, s[4:5], s42, v28
	v_subb_co_u32_e32 v11, vcc, v21, v11, vcc
	s_nop 0
	v_subbrev_co_u32_e64 v24, s[4:5], 0, v24, s[4:5]
	v_cmp_le_u32_e64 s[4:5], s43, v24
	v_cmp_le_u32_e32 vcc, s43, v11
	s_nop 0
	v_cndmask_b32_e64 v26, 0, -1, s[4:5]
	v_cmp_le_u32_e64 s[4:5], s42, v25
	v_cndmask_b32_e64 v21, 0, -1, vcc
	v_cmp_le_u32_e32 vcc, s42, v28
	v_cndmask_b32_e64 v25, 0, -1, s[4:5]
	v_cmp_eq_u32_e64 s[4:5], s43, v24
	s_nop 1
	v_cndmask_b32_e64 v29, v26, v25, s[4:5]
	v_lshl_add_u64 v[24:25], v[22:23], 0, 2
	v_lshl_add_u64 v[26:27], v[22:23], 0, 1
	v_cmp_ne_u32_e64 s[4:5], 0, v29
	s_nop 1
	v_cndmask_b32_e64 v25, v27, v25, s[4:5]
	v_cndmask_b32_e64 v27, 0, -1, vcc
	v_cmp_eq_u32_e32 vcc, s43, v11
	s_nop 1
	v_cndmask_b32_e32 v11, v21, v27, vcc
	v_cmp_ne_u32_e32 vcc, 0, v11
	v_cndmask_b32_e64 v21, v26, v24, s[4:5]
	s_nop 0
	v_cndmask_b32_e32 v21, v22, v21, vcc
	v_xor_b32_e32 v22, s40, v20
	v_cndmask_b32_e32 v11, v23, v25, vcc
	v_xor_b32_e32 v20, v21, v22
	v_xor_b32_e32 v11, v11, v22
	v_sub_co_u32_e32 v20, vcc, v20, v22
	s_nop 1
	v_subb_co_u32_e32 v21, vcc, v11, v22, vcc
	s_andn2_saveexec_b64 s[4:5], s[38:39]
	s_cbranch_execz .LBB26_26
.LBB26_51:                              ;   in Loop: Header=BB26_10 Depth=1
	v_cvt_f32_u32_e32 v11, s12
	s_sub_i32 s38, 0, s12
	v_rcp_iflag_f32_e32 v11, v11
	s_nop 0
	v_mul_f32_e32 v11, 0x4f7ffffe, v11
	v_cvt_u32_f32_e32 v11, v11
	v_mul_lo_u32 v20, s38, v11
	v_mul_hi_u32 v20, v11, v20
	v_add_u32_e32 v11, v11, v20
	v_mul_hi_u32 v11, v18, v11
	v_mul_lo_u32 v20, v11, s12
	v_sub_u32_e32 v20, v18, v20
	v_add_u32_e32 v21, 1, v11
	v_subrev_u32_e32 v22, s12, v20
	v_cmp_le_u32_e32 vcc, s12, v20
	s_nop 1
	v_cndmask_b32_e32 v20, v20, v22, vcc
	v_cndmask_b32_e32 v11, v11, v21, vcc
	v_add_u32_e32 v21, 1, v11
	v_cmp_le_u32_e32 vcc, s12, v20
	s_nop 1
	v_cndmask_b32_e32 v20, v11, v21, vcc
	v_mov_b32_e32 v21, v10
	s_or_b64 exec, exec, s[4:5]
	v_cmp_ge_i64_e32 vcc, v[20:21], v[16:17]
	s_and_saveexec_b64 s[4:5], vcc
	s_cbranch_execnz .LBB26_27
	s_branch .LBB26_28
.LBB26_52:
	s_endpgm
	.section	.rodata,"a",@progbits
	.p2align	6, 0x0
	.amdhsa_kernel _ZN9rocsparseL21csr2bsr_65_inf_kernelILj32EiilEEv20rocsparse_direction_T2_S2_S2_S2_S2_S2_21rocsparse_index_base_PKT0_PKT1_PKS2_S3_PS4_PS7_PS2_SD_SE_SC_
		.amdhsa_group_segment_fixed_size 0
		.amdhsa_private_segment_fixed_size 0
		.amdhsa_kernarg_size 144
		.amdhsa_user_sgpr_count 2
		.amdhsa_user_sgpr_dispatch_ptr 0
		.amdhsa_user_sgpr_queue_ptr 0
		.amdhsa_user_sgpr_kernarg_segment_ptr 1
		.amdhsa_user_sgpr_dispatch_id 0
		.amdhsa_user_sgpr_kernarg_preload_length 0
		.amdhsa_user_sgpr_kernarg_preload_offset 0
		.amdhsa_user_sgpr_private_segment_size 0
		.amdhsa_uses_dynamic_stack 0
		.amdhsa_enable_private_segment 0
		.amdhsa_system_sgpr_workgroup_id_x 1
		.amdhsa_system_sgpr_workgroup_id_y 0
		.amdhsa_system_sgpr_workgroup_id_z 0
		.amdhsa_system_sgpr_workgroup_info 0
		.amdhsa_system_vgpr_workitem_id 0
		.amdhsa_next_free_vgpr 46
		.amdhsa_next_free_sgpr 52
		.amdhsa_accum_offset 48
		.amdhsa_reserve_vcc 1
		.amdhsa_float_round_mode_32 0
		.amdhsa_float_round_mode_16_64 0
		.amdhsa_float_denorm_mode_32 3
		.amdhsa_float_denorm_mode_16_64 3
		.amdhsa_dx10_clamp 1
		.amdhsa_ieee_mode 1
		.amdhsa_fp16_overflow 0
		.amdhsa_tg_split 0
		.amdhsa_exception_fp_ieee_invalid_op 0
		.amdhsa_exception_fp_denorm_src 0
		.amdhsa_exception_fp_ieee_div_zero 0
		.amdhsa_exception_fp_ieee_overflow 0
		.amdhsa_exception_fp_ieee_underflow 0
		.amdhsa_exception_fp_ieee_inexact 0
		.amdhsa_exception_int_div_zero 0
	.end_amdhsa_kernel
	.section	.text._ZN9rocsparseL21csr2bsr_65_inf_kernelILj32EiilEEv20rocsparse_direction_T2_S2_S2_S2_S2_S2_21rocsparse_index_base_PKT0_PKT1_PKS2_S3_PS4_PS7_PS2_SD_SE_SC_,"axG",@progbits,_ZN9rocsparseL21csr2bsr_65_inf_kernelILj32EiilEEv20rocsparse_direction_T2_S2_S2_S2_S2_S2_21rocsparse_index_base_PKT0_PKT1_PKS2_S3_PS4_PS7_PS2_SD_SE_SC_,comdat
.Lfunc_end26:
	.size	_ZN9rocsparseL21csr2bsr_65_inf_kernelILj32EiilEEv20rocsparse_direction_T2_S2_S2_S2_S2_S2_21rocsparse_index_base_PKT0_PKT1_PKS2_S3_PS4_PS7_PS2_SD_SE_SC_, .Lfunc_end26-_ZN9rocsparseL21csr2bsr_65_inf_kernelILj32EiilEEv20rocsparse_direction_T2_S2_S2_S2_S2_S2_21rocsparse_index_base_PKT0_PKT1_PKS2_S3_PS4_PS7_PS2_SD_SE_SC_
                                        ; -- End function
	.section	.AMDGPU.csdata,"",@progbits
; Kernel info:
; codeLenInByte = 5516
; NumSgprs: 58
; NumVgprs: 46
; NumAgprs: 0
; TotalNumVgprs: 46
; ScratchSize: 0
; MemoryBound: 0
; FloatMode: 240
; IeeeMode: 1
; LDSByteSize: 0 bytes/workgroup (compile time only)
; SGPRBlocks: 7
; VGPRBlocks: 5
; NumSGPRsForWavesPerEU: 58
; NumVGPRsForWavesPerEU: 46
; AccumOffset: 48
; Occupancy: 8
; WaveLimiterHint : 1
; COMPUTE_PGM_RSRC2:SCRATCH_EN: 0
; COMPUTE_PGM_RSRC2:USER_SGPR: 2
; COMPUTE_PGM_RSRC2:TRAP_HANDLER: 0
; COMPUTE_PGM_RSRC2:TGID_X_EN: 1
; COMPUTE_PGM_RSRC2:TGID_Y_EN: 0
; COMPUTE_PGM_RSRC2:TGID_Z_EN: 0
; COMPUTE_PGM_RSRC2:TIDIG_COMP_CNT: 0
; COMPUTE_PGM_RSRC3_GFX90A:ACCUM_OFFSET: 11
; COMPUTE_PGM_RSRC3_GFX90A:TG_SPLIT: 0
	.section	.text._ZN9rocsparseL35csr2bsr_block_dim_equals_one_kernelILj256EillEEvT2_S1_S1_S1_21rocsparse_index_base_PKT0_PKT1_PKS1_S2_PS3_PS6_PS1_,"axG",@progbits,_ZN9rocsparseL35csr2bsr_block_dim_equals_one_kernelILj256EillEEvT2_S1_S1_S1_21rocsparse_index_base_PKT0_PKT1_PKS1_S2_PS3_PS6_PS1_,comdat
	.globl	_ZN9rocsparseL35csr2bsr_block_dim_equals_one_kernelILj256EillEEvT2_S1_S1_S1_21rocsparse_index_base_PKT0_PKT1_PKS1_S2_PS3_PS6_PS1_ ; -- Begin function _ZN9rocsparseL35csr2bsr_block_dim_equals_one_kernelILj256EillEEvT2_S1_S1_S1_21rocsparse_index_base_PKT0_PKT1_PKS1_S2_PS3_PS6_PS1_
	.p2align	8
	.type	_ZN9rocsparseL35csr2bsr_block_dim_equals_one_kernelILj256EillEEvT2_S1_S1_S1_21rocsparse_index_base_PKT0_PKT1_PKS1_S2_PS3_PS6_PS1_,@function
_ZN9rocsparseL35csr2bsr_block_dim_equals_one_kernelILj256EillEEvT2_S1_S1_S1_21rocsparse_index_base_PKT0_PKT1_PKS1_S2_PS3_PS6_PS1_: ; @_ZN9rocsparseL35csr2bsr_block_dim_equals_one_kernelILj256EillEEvT2_S1_S1_S1_21rocsparse_index_base_PKT0_PKT1_PKS1_S2_PS3_PS6_PS1_
; %bb.0:
	s_load_dwordx2 s[8:9], s[0:1], 0x0
	s_load_dwordx4 s[4:7], s[0:1], 0x28
	v_lshl_or_b32 v0, s2, 8, v0
	v_mov_b32_e32 v1, 0
	s_waitcnt lgkmcnt(0)
	s_lshl_b64 s[8:9], s[8:9], 3
	s_add_u32 s8, s6, s8
	s_addc_u32 s9, s7, s9
	s_load_dwordx2 s[10:11], s[8:9], 0x0
	s_load_dwordx2 s[12:13], s[6:7], 0x0
	s_waitcnt lgkmcnt(0)
	s_sub_u32 s2, s10, s12
	s_subb_u32 s3, s11, s13
	v_cmp_gt_i64_e32 vcc, s[2:3], v[0:1]
	s_and_saveexec_b64 s[6:7], vcc
	s_cbranch_execz .LBB27_3
; %bb.1:
	s_load_dword s12, s[0:1], 0x40
	s_load_dwordx2 s[6:7], s[0:1], 0x48
	s_load_dword s13, s[0:1], 0x20
	s_load_dwordx2 s[8:9], s[0:1], 0x38
	;; [unrolled: 2-line block ×3, first 2 shown]
	s_mov_b32 s1, 0
	s_waitcnt lgkmcnt(0)
	s_sub_u32 s12, s12, s13
	s_subb_u32 s13, 0, 0
	s_lshl_b32 s0, s14, 8
	v_lshlrev_b64 v[2:3], 2, v[0:1]
	s_lshl_b64 s[14:15], s[0:1], 2
	v_lshlrev_b64 v[4:5], 3, v[0:1]
	s_lshl_b64 s[16:17], s[0:1], 3
	s_mov_b64 s[18:19], 0
.LBB27_2:                               ; =>This Inner Loop Header: Depth=1
	v_lshl_add_u64 v[6:7], s[8:9], 0, v[4:5]
	v_lshl_add_u64 v[8:9], s[4:5], 0, v[2:3]
	global_load_dwordx2 v[10:11], v[6:7], off
	global_load_dword v12, v[8:9], off
	v_lshl_add_u64 v[0:1], v[0:1], 0, s[0:1]
	v_cmp_le_i64_e32 vcc, s[2:3], v[0:1]
	v_lshl_add_u64 v[6:7], s[10:11], 0, v[4:5]
	v_lshl_add_u64 v[8:9], s[6:7], 0, v[2:3]
	;; [unrolled: 1-line block ×4, first 2 shown]
	s_or_b64 s[18:19], vcc, s[18:19]
	s_waitcnt vmcnt(1)
	v_lshl_add_u64 v[10:11], s[12:13], 0, v[10:11]
	s_waitcnt vmcnt(0)
	global_store_dword v[8:9], v12, off
	global_store_dwordx2 v[6:7], v[10:11], off
	s_andn2_b64 exec, exec, s[18:19]
	s_cbranch_execnz .LBB27_2
.LBB27_3:
	s_endpgm
	.section	.rodata,"a",@progbits
	.p2align	6, 0x0
	.amdhsa_kernel _ZN9rocsparseL35csr2bsr_block_dim_equals_one_kernelILj256EillEEvT2_S1_S1_S1_21rocsparse_index_base_PKT0_PKT1_PKS1_S2_PS3_PS6_PS1_
		.amdhsa_group_segment_fixed_size 0
		.amdhsa_private_segment_fixed_size 0
		.amdhsa_kernarg_size 352
		.amdhsa_user_sgpr_count 2
		.amdhsa_user_sgpr_dispatch_ptr 0
		.amdhsa_user_sgpr_queue_ptr 0
		.amdhsa_user_sgpr_kernarg_segment_ptr 1
		.amdhsa_user_sgpr_dispatch_id 0
		.amdhsa_user_sgpr_kernarg_preload_length 0
		.amdhsa_user_sgpr_kernarg_preload_offset 0
		.amdhsa_user_sgpr_private_segment_size 0
		.amdhsa_uses_dynamic_stack 0
		.amdhsa_enable_private_segment 0
		.amdhsa_system_sgpr_workgroup_id_x 1
		.amdhsa_system_sgpr_workgroup_id_y 0
		.amdhsa_system_sgpr_workgroup_id_z 0
		.amdhsa_system_sgpr_workgroup_info 0
		.amdhsa_system_vgpr_workitem_id 0
		.amdhsa_next_free_vgpr 13
		.amdhsa_next_free_sgpr 20
		.amdhsa_accum_offset 16
		.amdhsa_reserve_vcc 1
		.amdhsa_float_round_mode_32 0
		.amdhsa_float_round_mode_16_64 0
		.amdhsa_float_denorm_mode_32 3
		.amdhsa_float_denorm_mode_16_64 3
		.amdhsa_dx10_clamp 1
		.amdhsa_ieee_mode 1
		.amdhsa_fp16_overflow 0
		.amdhsa_tg_split 0
		.amdhsa_exception_fp_ieee_invalid_op 0
		.amdhsa_exception_fp_denorm_src 0
		.amdhsa_exception_fp_ieee_div_zero 0
		.amdhsa_exception_fp_ieee_overflow 0
		.amdhsa_exception_fp_ieee_underflow 0
		.amdhsa_exception_fp_ieee_inexact 0
		.amdhsa_exception_int_div_zero 0
	.end_amdhsa_kernel
	.section	.text._ZN9rocsparseL35csr2bsr_block_dim_equals_one_kernelILj256EillEEvT2_S1_S1_S1_21rocsparse_index_base_PKT0_PKT1_PKS1_S2_PS3_PS6_PS1_,"axG",@progbits,_ZN9rocsparseL35csr2bsr_block_dim_equals_one_kernelILj256EillEEvT2_S1_S1_S1_21rocsparse_index_base_PKT0_PKT1_PKS1_S2_PS3_PS6_PS1_,comdat
.Lfunc_end27:
	.size	_ZN9rocsparseL35csr2bsr_block_dim_equals_one_kernelILj256EillEEvT2_S1_S1_S1_21rocsparse_index_base_PKT0_PKT1_PKS1_S2_PS3_PS6_PS1_, .Lfunc_end27-_ZN9rocsparseL35csr2bsr_block_dim_equals_one_kernelILj256EillEEvT2_S1_S1_S1_21rocsparse_index_base_PKT0_PKT1_PKS1_S2_PS3_PS6_PS1_
                                        ; -- End function
	.section	.AMDGPU.csdata,"",@progbits
; Kernel info:
; codeLenInByte = 304
; NumSgprs: 26
; NumVgprs: 13
; NumAgprs: 0
; TotalNumVgprs: 13
; ScratchSize: 0
; MemoryBound: 0
; FloatMode: 240
; IeeeMode: 1
; LDSByteSize: 0 bytes/workgroup (compile time only)
; SGPRBlocks: 3
; VGPRBlocks: 1
; NumSGPRsForWavesPerEU: 26
; NumVGPRsForWavesPerEU: 13
; AccumOffset: 16
; Occupancy: 8
; WaveLimiterHint : 0
; COMPUTE_PGM_RSRC2:SCRATCH_EN: 0
; COMPUTE_PGM_RSRC2:USER_SGPR: 2
; COMPUTE_PGM_RSRC2:TRAP_HANDLER: 0
; COMPUTE_PGM_RSRC2:TGID_X_EN: 1
; COMPUTE_PGM_RSRC2:TGID_Y_EN: 0
; COMPUTE_PGM_RSRC2:TGID_Z_EN: 0
; COMPUTE_PGM_RSRC2:TIDIG_COMP_CNT: 0
; COMPUTE_PGM_RSRC3_GFX90A:ACCUM_OFFSET: 3
; COMPUTE_PGM_RSRC3_GFX90A:TG_SPLIT: 0
	.section	.text._ZN9rocsparseL42csr2bsr_wavefront_per_row_multipass_kernelILj256ELj16ELj4EillEEv20rocsparse_direction_T4_S2_S2_S2_S2_21rocsparse_index_base_PKT2_PKT3_PKS2_S3_PS4_PS7_PS2_,"axG",@progbits,_ZN9rocsparseL42csr2bsr_wavefront_per_row_multipass_kernelILj256ELj16ELj4EillEEv20rocsparse_direction_T4_S2_S2_S2_S2_21rocsparse_index_base_PKT2_PKT3_PKS2_S3_PS4_PS7_PS2_,comdat
	.globl	_ZN9rocsparseL42csr2bsr_wavefront_per_row_multipass_kernelILj256ELj16ELj4EillEEv20rocsparse_direction_T4_S2_S2_S2_S2_21rocsparse_index_base_PKT2_PKT3_PKS2_S3_PS4_PS7_PS2_ ; -- Begin function _ZN9rocsparseL42csr2bsr_wavefront_per_row_multipass_kernelILj256ELj16ELj4EillEEv20rocsparse_direction_T4_S2_S2_S2_S2_21rocsparse_index_base_PKT2_PKT3_PKS2_S3_PS4_PS7_PS2_
	.p2align	8
	.type	_ZN9rocsparseL42csr2bsr_wavefront_per_row_multipass_kernelILj256ELj16ELj4EillEEv20rocsparse_direction_T4_S2_S2_S2_S2_21rocsparse_index_base_PKT2_PKT3_PKS2_S3_PS4_PS7_PS2_,@function
_ZN9rocsparseL42csr2bsr_wavefront_per_row_multipass_kernelILj256ELj16ELj4EillEEv20rocsparse_direction_T4_S2_S2_S2_S2_21rocsparse_index_base_PKT2_PKT3_PKS2_S3_PS4_PS7_PS2_: ; @_ZN9rocsparseL42csr2bsr_wavefront_per_row_multipass_kernelILj256ELj16ELj4EillEEv20rocsparse_direction_T4_S2_S2_S2_S2_21rocsparse_index_base_PKT2_PKT3_PKS2_S3_PS4_PS7_PS2_
; %bb.0:
	s_load_dwordx2 s[4:5], s[0:1], 0x8
	s_load_dwordx4 s[8:11], s[0:1], 0x18
	s_load_dwordx2 s[6:7], s[0:1], 0x28
	s_load_dword s28, s[0:1], 0x30
	s_load_dwordx2 s[12:13], s[0:1], 0x40
	s_ashr_i32 s3, s2, 31
	v_lshrrev_b32_e32 v28, 4, v0
	s_lshl_b64 s[14:15], s[2:3], 4
	v_bfe_u32 v8, v0, 2, 2
	v_mov_b32_e32 v9, 0
	v_or_b32_e32 v1, s14, v28
	s_waitcnt lgkmcnt(0)
	v_mul_lo_u32 v2, v1, s7
	v_mad_u64_u32 v[4:5], s[16:17], v1, s6, v[8:9]
	s_mul_i32 s3, s15, s6
	v_add3_u32 v5, s3, v5, v2
	v_cmp_gt_i64_e32 vcc, s[4:5], v[4:5]
	v_cmp_gt_i64_e64 s[4:5], s[6:7], v[8:9]
	v_mov_b64_e32 v[2:3], 0
	s_and_b64 s[14:15], s[4:5], vcc
	v_mov_b64_e32 v[14:15], v[2:3]
	s_and_saveexec_b64 s[16:17], s[14:15]
	s_cbranch_execz .LBB28_2
; %bb.1:
	v_lshl_add_u64 v[6:7], v[4:5], 3, s[12:13]
	global_load_dwordx2 v[6:7], v[6:7], off
	s_waitcnt vmcnt(0)
	v_subrev_co_u32_e32 v14, vcc, s28, v6
	s_nop 1
	v_subbrev_co_u32_e32 v15, vcc, 0, v7, vcc
.LBB28_2:
	s_or_b64 exec, exec, s[16:17]
	s_and_saveexec_b64 s[16:17], s[14:15]
	s_cbranch_execz .LBB28_4
; %bb.3:
	v_lshl_add_u64 v[2:3], v[4:5], 3, s[12:13]
	global_load_dwordx2 v[2:3], v[2:3], off offset:8
	s_waitcnt vmcnt(0)
	v_subrev_co_u32_e32 v2, vcc, s28, v2
	s_nop 1
	v_subbrev_co_u32_e32 v3, vcc, 0, v3, vcc
.LBB28_4:
	s_or_b64 exec, exec, s[16:17]
	s_load_dword s12, s[0:1], 0x50
	v_lshl_or_b32 v6, s2, 4, v28
	v_mov_b32_e32 v7, 0
	v_cmp_gt_i64_e32 vcc, s[8:9], v[6:7]
	v_mov_b64_e32 v[4:5], 0
	s_and_saveexec_b64 s[2:3], vcc
	s_cbranch_execz .LBB28_6
; %bb.5:
	s_load_dwordx2 s[8:9], s[0:1], 0x60
	s_waitcnt lgkmcnt(0)
	v_lshl_add_u64 v[4:5], v[6:7], 3, s[8:9]
	global_load_dwordx2 v[4:5], v[4:5], off
	s_waitcnt vmcnt(0)
	v_subrev_co_u32_e32 v4, vcc, s12, v4
	s_nop 1
	v_subbrev_co_u32_e32 v5, vcc, 0, v5, vcc
.LBB28_6:
	s_or_b64 exec, exec, s[2:3]
	v_cmp_lt_i64_e64 s[2:3], s[10:11], 1
	s_and_b64 vcc, exec, s[2:3]
	s_cbranch_vccnz .LBB28_25
; %bb.7:
	s_load_dwordx2 s[2:3], s[0:1], 0x68
	s_load_dwordx2 s[16:17], s[0:1], 0x58
	s_load_dwordx2 s[8:9], s[0:1], 0x48
	s_load_dwordx2 s[14:15], s[0:1], 0x38
	s_load_dword s18, s[0:1], 0x0
	v_and_b32_e32 v6, 3, v0
	v_lshlrev_b32_e32 v10, 2, v8
	s_movk_i32 s0, 0xf0
	v_and_or_b32 v29, v0, s0, v10
	v_mad_u64_u32 v[12:13], s[0:1], v6, s6, 0
	v_mov_b32_e32 v16, v13
	v_or_b32_e32 v0, v29, v6
	v_mad_u64_u32 v[16:17], s[0:1], v6, s7, v[16:17]
	v_lshlrev_b32_e32 v30, 2, v0
	v_mov_b32_e32 v0, 0
	v_mov_b32_e32 v13, v16
	s_waitcnt lgkmcnt(0)
	v_lshl_add_u64 v[12:13], v[12:13], 2, s[16:17]
	v_mov_b32_e32 v11, v0
	v_lshl_add_u64 v[10:11], v[12:13], 0, v[10:11]
	v_mad_u64_u32 v[12:13], s[0:1], v8, s6, 0
	v_mov_b32_e32 v7, v0
	v_mov_b32_e32 v16, v13
	v_cmp_gt_i64_e32 vcc, s[6:7], v[6:7]
	v_mad_u64_u32 v[8:9], s[0:1], v8, s7, v[16:17]
	v_mbcnt_lo_u32_b32 v1, -1, 0
	s_and_b64 s[4:5], s[4:5], vcc
	v_mov_b32_e32 v13, v8
	v_mbcnt_hi_u32_b32 v1, -1, v1
	s_cmp_eq_u32 s18, 0
	s_mul_i32 s18, s6, s7
	s_mul_hi_u32 s19, s6, s6
	v_lshl_add_u64 v[8:9], v[12:13], 2, s[16:17]
	v_lshlrev_b32_e32 v12, 2, v6
	v_mov_b32_e32 v13, v0
	s_mov_b32 s29, 0
	v_lshlrev_b32_e32 v1, 2, v1
	v_lshl_add_u64 v[8:9], v[8:9], 0, v[12:13]
	s_cselect_b64 vcc, -1, 0
	s_add_i32 s0, s19, s18
	v_or_b32_e32 v31, 12, v1
	s_mov_b32 s13, s29
	s_add_i32 s30, s0, s18
	s_mul_i32 s31, s6, s6
	v_or_b32_e32 v32, 60, v1
	v_cndmask_b32_e32 v9, v11, v9, vcc
	v_cndmask_b32_e32 v8, v10, v8, vcc
	s_mov_b64 s[16:17], 0
	v_mov_b64_e32 v[10:11], 0
	s_ashr_i32 s18, s7, 31
	v_mov_b32_e32 v33, 1
	s_branch .LBB28_10
.LBB28_8:                               ;   in Loop: Header=BB28_10 Depth=1
	s_or_b64 exec, exec, s[20:21]
	v_mov_b64_e32 v[16:17], 1
.LBB28_9:                               ;   in Loop: Header=BB28_10 Depth=1
	s_or_b64 exec, exec, s[0:1]
	v_mov_b32_dpp v10, v12 row_shr:1 row_mask:0xf bank_mask:0xf
	v_mov_b32_dpp v11, v13 row_shr:1 row_mask:0xf bank_mask:0xf
	v_cmp_lt_i64_e32 vcc, v[10:11], v[12:13]
	v_lshl_add_u64 v[4:5], v[16:17], 0, v[4:5]
	s_waitcnt lgkmcnt(0)
	v_cndmask_b32_e32 v11, v13, v11, vcc
	v_cndmask_b32_e32 v10, v12, v10, vcc
	s_nop 0
	v_mov_b32_dpp v13, v11 row_shr:2 row_mask:0xf bank_mask:0xf
	v_mov_b32_dpp v12, v10 row_shr:2 row_mask:0xf bank_mask:0xf
	v_cmp_lt_i64_e32 vcc, v[12:13], v[10:11]
	s_nop 1
	v_cndmask_b32_e32 v11, v11, v13, vcc
	v_cndmask_b32_e32 v10, v10, v12, vcc
	s_nop 0
	v_mov_b32_dpp v13, v11 row_shr:4 row_mask:0xf bank_mask:0xe
	v_mov_b32_dpp v12, v10 row_shr:4 row_mask:0xf bank_mask:0xe
	v_cmp_lt_i64_e32 vcc, v[12:13], v[10:11]
	s_nop 1
	;; [unrolled: 7-line block ×3, first 2 shown]
	v_cndmask_b32_e32 v1, v11, v13, vcc
	v_cndmask_b32_e32 v10, v10, v12, vcc
	ds_bpermute_b32 v10, v32, v10
	ds_bpermute_b32 v11, v32, v1
	s_waitcnt lgkmcnt(0)
	v_cmp_le_i64_e32 vcc, s[10:11], v[10:11]
	s_or_b64 s[16:17], vcc, s[16:17]
	s_andn2_b64 exec, exec, s[16:17]
	s_cbranch_execz .LBB28_25
.LBB28_10:                              ; =>This Loop Header: Depth=1
                                        ;     Child Loop BB28_13 Depth 2
	v_lshl_add_u64 v[14:15], v[14:15], 0, v[6:7]
	v_cmp_lt_i64_e32 vcc, v[14:15], v[2:3]
	v_mov_b64_e32 v[12:13], s[10:11]
	v_mov_b64_e32 v[26:27], v[2:3]
	ds_write_b8 v28, v0 offset:1024
	ds_write_b32 v30, v0
	s_waitcnt lgkmcnt(0)
	s_and_saveexec_b64 s[20:21], vcc
	s_cbranch_execz .LBB28_22
; %bb.11:                               ;   in Loop: Header=BB28_10 Depth=1
	v_mad_u64_u32 v[16:17], s[0:1], v10, s6, 0
	v_lshl_add_u64 v[18:19], v[14:15], 2, s[14:15]
	v_lshl_add_u64 v[20:21], v[14:15], 3, s[8:9]
	s_mov_b64 s[22:23], 0
	v_mov_b64_e32 v[12:13], s[10:11]
	v_mov_b64_e32 v[22:23], v[2:3]
	s_branch .LBB28_13
.LBB28_12:                              ;   in Loop: Header=BB28_13 Depth=2
	s_or_b64 exec, exec, s[0:1]
	v_lshl_add_u64 v[14:15], v[14:15], 0, 4
	v_cmp_ge_i64_e64 s[0:1], v[14:15], v[2:3]
	s_xor_b64 s[24:25], vcc, -1
	s_or_b64 s[0:1], s[24:25], s[0:1]
	s_and_b64 s[0:1], exec, s[0:1]
	v_lshl_add_u64 v[18:19], v[18:19], 0, 16
	v_lshl_add_u64 v[20:21], v[20:21], 0, 32
	s_or_b64 s[22:23], s[0:1], s[22:23]
	v_mov_b64_e32 v[22:23], v[26:27]
	s_andn2_b64 exec, exec, s[22:23]
	s_cbranch_execz .LBB28_21
.LBB28_13:                              ;   Parent Loop BB28_10 Depth=1
                                        ; =>  This Inner Loop Header: Depth=2
	global_load_dwordx2 v[24:25], v[20:21], off
	v_mov_b32_e32 v1, s29
                                        ; implicit-def: $vgpr26_vgpr27
	s_waitcnt vmcnt(0)
	v_subrev_co_u32_e32 v24, vcc, s28, v24
	s_nop 1
	v_subb_co_u32_e32 v25, vcc, v25, v1, vcc
	v_or_b32_e32 v1, s7, v25
	v_cmp_ne_u64_e32 vcc, 0, v[0:1]
	s_and_saveexec_b64 s[0:1], vcc
	s_xor_b64 s[24:25], exec, s[0:1]
	s_cbranch_execz .LBB28_15
; %bb.14:                               ;   in Loop: Header=BB28_13 Depth=2
	s_add_u32 s0, s6, s18
	s_mov_b32 s19, s18
	s_addc_u32 s1, s7, s18
	s_xor_b64 s[26:27], s[0:1], s[18:19]
	v_cvt_f32_u32_e32 v1, s26
	v_cvt_f32_u32_e32 v17, s27
	s_sub_u32 s0, 0, s26
	s_subb_u32 s1, 0, s27
	v_mov_b32_e32 v35, v0
	v_fmac_f32_e32 v1, 0x4f800000, v17
	v_rcp_f32_e32 v1, v1
	s_nop 0
	v_mul_f32_e32 v1, 0x5f7ffffc, v1
	v_mul_f32_e32 v17, 0x2f800000, v1
	v_trunc_f32_e32 v17, v17
	v_fmac_f32_e32 v1, 0xcf800000, v17
	v_cvt_u32_f32_e32 v17, v17
	v_cvt_u32_f32_e32 v1, v1
	v_mul_lo_u32 v26, s0, v17
	v_mul_hi_u32 v34, s0, v1
	v_mul_lo_u32 v27, s1, v1
	v_add_u32_e32 v26, v34, v26
	v_mul_lo_u32 v36, s0, v1
	v_add_u32_e32 v37, v26, v27
	v_mul_hi_u32 v27, v1, v37
	v_mul_lo_u32 v26, v1, v37
	v_mul_hi_u32 v34, v1, v36
	v_lshl_add_u64 v[26:27], v[34:35], 0, v[26:27]
	v_mul_hi_u32 v35, v17, v36
	v_mul_lo_u32 v36, v17, v36
	v_add_co_u32_e32 v26, vcc, v26, v36
	v_mul_hi_u32 v34, v17, v37
	s_nop 0
	v_addc_co_u32_e32 v26, vcc, v27, v35, vcc
	v_mov_b32_e32 v27, v0
	s_nop 0
	v_addc_co_u32_e32 v35, vcc, 0, v34, vcc
	v_mul_lo_u32 v34, v17, v37
	v_lshl_add_u64 v[26:27], v[26:27], 0, v[34:35]
	v_add_co_u32_e32 v1, vcc, v1, v26
	v_mul_lo_u32 v34, s0, v1
	s_nop 0
	v_addc_co_u32_e32 v17, vcc, v17, v27, vcc
	v_mul_lo_u32 v26, s0, v17
	v_mul_hi_u32 v27, s0, v1
	v_add_u32_e32 v26, v27, v26
	v_mul_lo_u32 v27, s1, v1
	v_add_u32_e32 v36, v26, v27
	v_mul_hi_u32 v38, v17, v34
	v_mul_lo_u32 v39, v17, v34
	v_mul_hi_u32 v27, v1, v36
	v_mul_lo_u32 v26, v1, v36
	v_mul_hi_u32 v34, v1, v34
	v_mov_b32_e32 v35, v0
	v_lshl_add_u64 v[26:27], v[34:35], 0, v[26:27]
	v_add_co_u32_e32 v26, vcc, v26, v39
	v_mul_hi_u32 v37, v17, v36
	s_nop 0
	v_addc_co_u32_e32 v26, vcc, v27, v38, vcc
	v_mul_lo_u32 v34, v17, v36
	s_nop 0
	v_addc_co_u32_e32 v35, vcc, 0, v37, vcc
	v_mov_b32_e32 v27, v0
	v_lshl_add_u64 v[26:27], v[26:27], 0, v[34:35]
	v_add_co_u32_e32 v1, vcc, v1, v26
	v_ashrrev_i32_e32 v26, 31, v25
	s_nop 0
	v_addc_co_u32_e32 v17, vcc, v17, v27, vcc
	v_mov_b32_e32 v27, v26
	v_lshl_add_u64 v[34:35], v[24:25], 0, v[26:27]
	v_xor_b32_e32 v27, v34, v26
	v_xor_b32_e32 v25, v35, v26
	v_mad_u64_u32 v[34:35], s[0:1], v27, v17, 0
	v_mul_hi_u32 v36, v27, v1
	v_mov_b32_e32 v37, v0
	v_lshl_add_u64 v[34:35], v[36:37], 0, v[34:35]
	v_mad_u64_u32 v[38:39], s[0:1], v25, v1, 0
	v_add_co_u32_e32 v1, vcc, v34, v38
	v_mad_u64_u32 v[36:37], s[0:1], v25, v17, 0
	s_nop 0
	v_addc_co_u32_e32 v34, vcc, v35, v39, vcc
	v_mov_b32_e32 v35, v0
	s_nop 0
	v_addc_co_u32_e32 v37, vcc, 0, v37, vcc
	v_lshl_add_u64 v[34:35], v[34:35], 0, v[36:37]
	v_mul_lo_u32 v1, s27, v34
	v_mul_lo_u32 v17, s26, v35
	v_mad_u64_u32 v[36:37], s[0:1], s26, v34, 0
	v_add3_u32 v1, v37, v17, v1
	v_sub_u32_e32 v17, v25, v1
	v_mov_b32_e32 v37, s27
	v_sub_co_u32_e32 v27, vcc, v27, v36
	v_lshl_add_u64 v[38:39], v[34:35], 0, 1
	s_nop 0
	v_subb_co_u32_e64 v17, s[0:1], v17, v37, vcc
	v_subrev_co_u32_e64 v36, s[0:1], s26, v27
	v_subb_co_u32_e32 v1, vcc, v25, v1, vcc
	s_nop 0
	v_subbrev_co_u32_e64 v17, s[0:1], 0, v17, s[0:1]
	v_cmp_le_u32_e64 s[0:1], s27, v17
	v_cmp_le_u32_e32 vcc, s27, v1
	s_nop 0
	v_cndmask_b32_e64 v37, 0, -1, s[0:1]
	v_cmp_le_u32_e64 s[0:1], s26, v36
	v_cndmask_b32_e64 v25, 0, -1, vcc
	v_cmp_le_u32_e32 vcc, s26, v27
	v_cndmask_b32_e64 v36, 0, -1, s[0:1]
	v_cmp_eq_u32_e64 s[0:1], s27, v17
	v_cndmask_b32_e64 v27, 0, -1, vcc
	v_cmp_eq_u32_e32 vcc, s27, v1
	v_cndmask_b32_e64 v17, v37, v36, s[0:1]
	v_lshl_add_u64 v[36:37], v[34:35], 0, 2
	v_cmp_ne_u32_e64 s[0:1], 0, v17
	v_cndmask_b32_e32 v1, v25, v27, vcc
	v_cmp_ne_u32_e32 vcc, 0, v1
	v_cndmask_b32_e64 v17, v39, v37, s[0:1]
	v_xor_b32_e32 v25, s18, v26
	v_cndmask_b32_e32 v1, v35, v17, vcc
	v_cndmask_b32_e64 v17, v38, v36, s[0:1]
	v_cndmask_b32_e32 v17, v34, v17, vcc
	v_xor_b32_e32 v17, v17, v25
	v_xor_b32_e32 v1, v1, v25
	v_sub_co_u32_e32 v26, vcc, v17, v25
	s_nop 1
	v_subb_co_u32_e32 v27, vcc, v1, v25, vcc
.LBB28_15:                              ;   in Loop: Header=BB28_13 Depth=2
	s_andn2_saveexec_b64 s[0:1], s[24:25]
	s_cbranch_execz .LBB28_17
; %bb.16:                               ;   in Loop: Header=BB28_13 Depth=2
	v_cvt_f32_u32_e32 v1, s6
	s_sub_i32 s19, 0, s6
	v_mov_b32_e32 v27, v0
	v_rcp_iflag_f32_e32 v1, v1
	s_nop 0
	v_mul_f32_e32 v1, 0x4f7ffffe, v1
	v_cvt_u32_f32_e32 v1, v1
	v_mul_lo_u32 v17, s19, v1
	v_mul_hi_u32 v17, v1, v17
	v_add_u32_e32 v1, v1, v17
	v_mul_hi_u32 v1, v24, v1
	v_mul_lo_u32 v17, v1, s6
	v_sub_u32_e32 v17, v24, v17
	v_add_u32_e32 v25, 1, v1
	v_subrev_u32_e32 v26, s6, v17
	v_cmp_le_u32_e32 vcc, s6, v17
	s_nop 1
	v_cndmask_b32_e32 v17, v17, v26, vcc
	v_cndmask_b32_e32 v1, v1, v25, vcc
	v_add_u32_e32 v25, 1, v1
	v_cmp_le_u32_e32 vcc, s6, v17
	s_nop 1
	v_cndmask_b32_e32 v26, v1, v25, vcc
.LBB28_17:                              ;   in Loop: Header=BB28_13 Depth=2
	s_or_b64 exec, exec, s[0:1]
	v_cmp_eq_u64_e32 vcc, v[26:27], v[10:11]
	v_cmp_ne_u64_e64 s[0:1], v[26:27], v[10:11]
	s_and_saveexec_b64 s[24:25], s[0:1]
	s_xor_b64 s[24:25], exec, s[24:25]
; %bb.18:                               ;   in Loop: Header=BB28_13 Depth=2
	v_cmp_lt_i64_e64 s[0:1], v[26:27], v[12:13]
                                        ; implicit-def: $vgpr24_vgpr25
                                        ; implicit-def: $vgpr22_vgpr23
	s_nop 1
	v_cndmask_b32_e64 v13, v13, v27, s[0:1]
	v_cndmask_b32_e64 v12, v12, v26, s[0:1]
; %bb.19:                               ;   in Loop: Header=BB28_13 Depth=2
	s_or_saveexec_b64 s[0:1], s[24:25]
	v_mov_b64_e32 v[26:27], v[14:15]
	s_xor_b64 exec, exec, s[0:1]
	s_cbranch_execz .LBB28_12
; %bb.20:                               ;   in Loop: Header=BB28_13 Depth=2
	global_load_dword v1, v[18:19], off
	v_sub_u32_e32 v17, v24, v16
	v_add_lshl_u32 v17, v29, v17, 2
	v_mov_b64_e32 v[26:27], v[22:23]
	ds_write_b8 v28, v33 offset:1024
	s_waitcnt vmcnt(0)
	ds_write_b32 v17, v1
	s_branch .LBB28_12
.LBB28_21:                              ;   in Loop: Header=BB28_10 Depth=1
	s_or_b64 exec, exec, s[22:23]
.LBB28_22:                              ;   in Loop: Header=BB28_10 Depth=1
	s_or_b64 exec, exec, s[20:21]
	v_mov_b32_dpp v14, v26 row_shr:1 row_mask:0xf bank_mask:0xf
	v_mov_b32_dpp v15, v27 row_shr:1 row_mask:0xf bank_mask:0xf
	v_cmp_lt_i64_e32 vcc, v[14:15], v[26:27]
	s_waitcnt lgkmcnt(0)
	s_nop 0
	v_cndmask_b32_e32 v15, v27, v15, vcc
	v_cndmask_b32_e32 v14, v26, v14, vcc
	s_nop 0
	v_mov_b32_dpp v17, v15 row_shr:2 row_mask:0xf bank_mask:0xf
	v_mov_b32_dpp v16, v14 row_shr:2 row_mask:0xf bank_mask:0xf
	v_cmp_lt_i64_e32 vcc, v[16:17], v[14:15]
	s_nop 1
	v_cndmask_b32_e32 v1, v15, v17, vcc
	ds_read_u8 v17, v28 offset:1024
	v_cndmask_b32_e32 v14, v14, v16, vcc
	ds_bpermute_b32 v14, v31, v14
	ds_bpermute_b32 v15, v31, v1
	s_waitcnt lgkmcnt(2)
	v_and_b32_e32 v1, 1, v17
	v_cmp_eq_u32_e32 vcc, 1, v1
	v_mov_b64_e32 v[16:17], 0
	s_and_saveexec_b64 s[0:1], vcc
	s_cbranch_execz .LBB28_9
; %bb.23:                               ;   in Loop: Header=BB28_10 Depth=1
	v_lshl_add_u64 v[10:11], v[10:11], 0, s[12:13]
	v_lshl_add_u64 v[16:17], v[4:5], 3, s[2:3]
	global_store_dwordx2 v[16:17], v[10:11], off
	s_and_saveexec_b64 s[20:21], s[4:5]
	s_cbranch_execz .LBB28_8
; %bb.24:                               ;   in Loop: Header=BB28_10 Depth=1
	ds_read_b32 v1, v30
	v_mul_lo_u32 v16, s30, v4
	v_mul_lo_u32 v17, s31, v5
	v_mad_u64_u32 v[10:11], s[22:23], s31, v4, 0
	v_add3_u32 v11, v11, v17, v16
	v_lshl_add_u64 v[10:11], v[10:11], 2, v[8:9]
	s_waitcnt lgkmcnt(0)
	global_store_dword v[10:11], v1, off
	s_branch .LBB28_8
.LBB28_25:
	s_endpgm
	.section	.rodata,"a",@progbits
	.p2align	6, 0x0
	.amdhsa_kernel _ZN9rocsparseL42csr2bsr_wavefront_per_row_multipass_kernelILj256ELj16ELj4EillEEv20rocsparse_direction_T4_S2_S2_S2_S2_21rocsparse_index_base_PKT2_PKT3_PKS2_S3_PS4_PS7_PS2_
		.amdhsa_group_segment_fixed_size 1040
		.amdhsa_private_segment_fixed_size 0
		.amdhsa_kernarg_size 112
		.amdhsa_user_sgpr_count 2
		.amdhsa_user_sgpr_dispatch_ptr 0
		.amdhsa_user_sgpr_queue_ptr 0
		.amdhsa_user_sgpr_kernarg_segment_ptr 1
		.amdhsa_user_sgpr_dispatch_id 0
		.amdhsa_user_sgpr_kernarg_preload_length 0
		.amdhsa_user_sgpr_kernarg_preload_offset 0
		.amdhsa_user_sgpr_private_segment_size 0
		.amdhsa_uses_dynamic_stack 0
		.amdhsa_enable_private_segment 0
		.amdhsa_system_sgpr_workgroup_id_x 1
		.amdhsa_system_sgpr_workgroup_id_y 0
		.amdhsa_system_sgpr_workgroup_id_z 0
		.amdhsa_system_sgpr_workgroup_info 0
		.amdhsa_system_vgpr_workitem_id 0
		.amdhsa_next_free_vgpr 40
		.amdhsa_next_free_sgpr 32
		.amdhsa_accum_offset 40
		.amdhsa_reserve_vcc 1
		.amdhsa_float_round_mode_32 0
		.amdhsa_float_round_mode_16_64 0
		.amdhsa_float_denorm_mode_32 3
		.amdhsa_float_denorm_mode_16_64 3
		.amdhsa_dx10_clamp 1
		.amdhsa_ieee_mode 1
		.amdhsa_fp16_overflow 0
		.amdhsa_tg_split 0
		.amdhsa_exception_fp_ieee_invalid_op 0
		.amdhsa_exception_fp_denorm_src 0
		.amdhsa_exception_fp_ieee_div_zero 0
		.amdhsa_exception_fp_ieee_overflow 0
		.amdhsa_exception_fp_ieee_underflow 0
		.amdhsa_exception_fp_ieee_inexact 0
		.amdhsa_exception_int_div_zero 0
	.end_amdhsa_kernel
	.section	.text._ZN9rocsparseL42csr2bsr_wavefront_per_row_multipass_kernelILj256ELj16ELj4EillEEv20rocsparse_direction_T4_S2_S2_S2_S2_21rocsparse_index_base_PKT2_PKT3_PKS2_S3_PS4_PS7_PS2_,"axG",@progbits,_ZN9rocsparseL42csr2bsr_wavefront_per_row_multipass_kernelILj256ELj16ELj4EillEEv20rocsparse_direction_T4_S2_S2_S2_S2_21rocsparse_index_base_PKT2_PKT3_PKS2_S3_PS4_PS7_PS2_,comdat
.Lfunc_end28:
	.size	_ZN9rocsparseL42csr2bsr_wavefront_per_row_multipass_kernelILj256ELj16ELj4EillEEv20rocsparse_direction_T4_S2_S2_S2_S2_21rocsparse_index_base_PKT2_PKT3_PKS2_S3_PS4_PS7_PS2_, .Lfunc_end28-_ZN9rocsparseL42csr2bsr_wavefront_per_row_multipass_kernelILj256ELj16ELj4EillEEv20rocsparse_direction_T4_S2_S2_S2_S2_21rocsparse_index_base_PKT2_PKT3_PKS2_S3_PS4_PS7_PS2_
                                        ; -- End function
	.section	.AMDGPU.csdata,"",@progbits
; Kernel info:
; codeLenInByte = 2172
; NumSgprs: 38
; NumVgprs: 40
; NumAgprs: 0
; TotalNumVgprs: 40
; ScratchSize: 0
; MemoryBound: 0
; FloatMode: 240
; IeeeMode: 1
; LDSByteSize: 1040 bytes/workgroup (compile time only)
; SGPRBlocks: 4
; VGPRBlocks: 4
; NumSGPRsForWavesPerEU: 38
; NumVGPRsForWavesPerEU: 40
; AccumOffset: 40
; Occupancy: 8
; WaveLimiterHint : 0
; COMPUTE_PGM_RSRC2:SCRATCH_EN: 0
; COMPUTE_PGM_RSRC2:USER_SGPR: 2
; COMPUTE_PGM_RSRC2:TRAP_HANDLER: 0
; COMPUTE_PGM_RSRC2:TGID_X_EN: 1
; COMPUTE_PGM_RSRC2:TGID_Y_EN: 0
; COMPUTE_PGM_RSRC2:TGID_Z_EN: 0
; COMPUTE_PGM_RSRC2:TIDIG_COMP_CNT: 0
; COMPUTE_PGM_RSRC3_GFX90A:ACCUM_OFFSET: 9
; COMPUTE_PGM_RSRC3_GFX90A:TG_SPLIT: 0
	.section	.text._ZN9rocsparseL42csr2bsr_wavefront_per_row_multipass_kernelILj256ELj64ELj8EillEEv20rocsparse_direction_T4_S2_S2_S2_S2_21rocsparse_index_base_PKT2_PKT3_PKS2_S3_PS4_PS7_PS2_,"axG",@progbits,_ZN9rocsparseL42csr2bsr_wavefront_per_row_multipass_kernelILj256ELj64ELj8EillEEv20rocsparse_direction_T4_S2_S2_S2_S2_21rocsparse_index_base_PKT2_PKT3_PKS2_S3_PS4_PS7_PS2_,comdat
	.globl	_ZN9rocsparseL42csr2bsr_wavefront_per_row_multipass_kernelILj256ELj64ELj8EillEEv20rocsparse_direction_T4_S2_S2_S2_S2_21rocsparse_index_base_PKT2_PKT3_PKS2_S3_PS4_PS7_PS2_ ; -- Begin function _ZN9rocsparseL42csr2bsr_wavefront_per_row_multipass_kernelILj256ELj64ELj8EillEEv20rocsparse_direction_T4_S2_S2_S2_S2_21rocsparse_index_base_PKT2_PKT3_PKS2_S3_PS4_PS7_PS2_
	.p2align	8
	.type	_ZN9rocsparseL42csr2bsr_wavefront_per_row_multipass_kernelILj256ELj64ELj8EillEEv20rocsparse_direction_T4_S2_S2_S2_S2_21rocsparse_index_base_PKT2_PKT3_PKS2_S3_PS4_PS7_PS2_,@function
_ZN9rocsparseL42csr2bsr_wavefront_per_row_multipass_kernelILj256ELj64ELj8EillEEv20rocsparse_direction_T4_S2_S2_S2_S2_21rocsparse_index_base_PKT2_PKT3_PKS2_S3_PS4_PS7_PS2_: ; @_ZN9rocsparseL42csr2bsr_wavefront_per_row_multipass_kernelILj256ELj64ELj8EillEEv20rocsparse_direction_T4_S2_S2_S2_S2_21rocsparse_index_base_PKT2_PKT3_PKS2_S3_PS4_PS7_PS2_
; %bb.0:
	s_load_dwordx2 s[4:5], s[0:1], 0x8
	s_load_dwordx4 s[8:11], s[0:1], 0x18
	s_load_dwordx2 s[6:7], s[0:1], 0x28
	s_load_dword s28, s[0:1], 0x30
	s_load_dwordx2 s[12:13], s[0:1], 0x40
	s_ashr_i32 s3, s2, 31
	v_lshrrev_b32_e32 v28, 6, v0
	s_lshl_b64 s[14:15], s[2:3], 2
	v_bfe_u32 v8, v0, 3, 3
	v_mov_b32_e32 v9, 0
	v_or_b32_e32 v1, s14, v28
	s_waitcnt lgkmcnt(0)
	v_mul_lo_u32 v2, v1, s7
	v_mad_u64_u32 v[4:5], s[16:17], v1, s6, v[8:9]
	s_mul_i32 s3, s15, s6
	v_add3_u32 v5, s3, v5, v2
	v_cmp_gt_i64_e32 vcc, s[4:5], v[4:5]
	v_cmp_gt_i64_e64 s[4:5], s[6:7], v[8:9]
	v_mov_b64_e32 v[2:3], 0
	s_and_b64 s[14:15], s[4:5], vcc
	v_mov_b64_e32 v[14:15], v[2:3]
	s_and_saveexec_b64 s[16:17], s[14:15]
	s_cbranch_execz .LBB29_2
; %bb.1:
	v_lshl_add_u64 v[6:7], v[4:5], 3, s[12:13]
	global_load_dwordx2 v[6:7], v[6:7], off
	s_waitcnt vmcnt(0)
	v_subrev_co_u32_e32 v14, vcc, s28, v6
	s_nop 1
	v_subbrev_co_u32_e32 v15, vcc, 0, v7, vcc
.LBB29_2:
	s_or_b64 exec, exec, s[16:17]
	s_and_saveexec_b64 s[16:17], s[14:15]
	s_cbranch_execz .LBB29_4
; %bb.3:
	v_lshl_add_u64 v[2:3], v[4:5], 3, s[12:13]
	global_load_dwordx2 v[2:3], v[2:3], off offset:8
	s_waitcnt vmcnt(0)
	v_subrev_co_u32_e32 v2, vcc, s28, v2
	s_nop 1
	v_subbrev_co_u32_e32 v3, vcc, 0, v3, vcc
.LBB29_4:
	s_or_b64 exec, exec, s[16:17]
	s_load_dword s12, s[0:1], 0x50
	v_lshl_or_b32 v6, s2, 2, v28
	v_mov_b32_e32 v7, 0
	v_cmp_gt_i64_e32 vcc, s[8:9], v[6:7]
	v_mov_b64_e32 v[4:5], 0
	s_and_saveexec_b64 s[2:3], vcc
	s_cbranch_execz .LBB29_6
; %bb.5:
	s_load_dwordx2 s[8:9], s[0:1], 0x60
	s_waitcnt lgkmcnt(0)
	v_lshl_add_u64 v[4:5], v[6:7], 3, s[8:9]
	global_load_dwordx2 v[4:5], v[4:5], off
	s_waitcnt vmcnt(0)
	v_subrev_co_u32_e32 v4, vcc, s12, v4
	s_nop 1
	v_subbrev_co_u32_e32 v5, vcc, 0, v5, vcc
.LBB29_6:
	s_or_b64 exec, exec, s[2:3]
	v_cmp_lt_i64_e64 s[2:3], s[10:11], 1
	s_and_b64 vcc, exec, s[2:3]
	s_cbranch_vccnz .LBB29_25
; %bb.7:
	v_and_b32_e32 v6, 7, v0
	s_load_dwordx2 s[2:3], s[0:1], 0x68
	s_load_dwordx2 s[16:17], s[0:1], 0x58
	;; [unrolled: 1-line block ×4, first 2 shown]
	s_load_dword s18, s[0:1], 0x0
	v_and_b32_e32 v0, 0xc0, v0
	v_mad_u64_u32 v[10:11], s[0:1], v6, s6, 0
	v_lshl_or_b32 v29, v8, 3, v0
	v_mov_b32_e32 v12, v11
	v_or_b32_e32 v0, v29, v6
	v_mad_u64_u32 v[12:13], s[0:1], v6, s7, v[12:13]
	v_lshlrev_b32_e32 v30, 2, v0
	v_mov_b32_e32 v0, 0
	v_mov_b32_e32 v11, v12
	s_waitcnt lgkmcnt(0)
	v_lshl_add_u64 v[10:11], v[10:11], 2, s[16:17]
	v_lshlrev_b32_e32 v12, 2, v8
	v_mov_b32_e32 v13, v0
	v_lshl_add_u64 v[10:11], v[10:11], 0, v[12:13]
	v_mad_u64_u32 v[12:13], s[0:1], v8, s6, 0
	v_mov_b32_e32 v7, v0
	v_mov_b32_e32 v16, v13
	v_cmp_gt_i64_e32 vcc, s[6:7], v[6:7]
	v_mad_u64_u32 v[8:9], s[0:1], v8, s7, v[16:17]
	v_mbcnt_lo_u32_b32 v1, -1, 0
	s_and_b64 s[4:5], s[4:5], vcc
	v_mov_b32_e32 v13, v8
	v_mbcnt_hi_u32_b32 v1, -1, v1
	s_cmp_eq_u32 s18, 0
	s_mul_i32 s18, s6, s7
	s_mul_hi_u32 s19, s6, s6
	v_lshl_add_u64 v[8:9], v[12:13], 2, s[16:17]
	v_lshlrev_b32_e32 v12, 2, v6
	v_mov_b32_e32 v13, v0
	s_mov_b32 s29, 0
	v_lshlrev_b32_e32 v1, 2, v1
	v_lshl_add_u64 v[8:9], v[8:9], 0, v[12:13]
	s_cselect_b64 vcc, -1, 0
	s_add_i32 s0, s19, s18
	v_or_b32_e32 v31, 28, v1
	s_mov_b32 s13, s29
	s_add_i32 s30, s0, s18
	s_mul_i32 s31, s6, s6
	v_or_b32_e32 v32, 0xfc, v1
	v_cndmask_b32_e32 v9, v11, v9, vcc
	v_cndmask_b32_e32 v8, v10, v8, vcc
	s_mov_b64 s[16:17], 0
	v_mov_b64_e32 v[10:11], 0
	s_ashr_i32 s18, s7, 31
	v_mov_b32_e32 v33, 1
	s_branch .LBB29_10
.LBB29_8:                               ;   in Loop: Header=BB29_10 Depth=1
	s_or_b64 exec, exec, s[20:21]
	v_mov_b64_e32 v[16:17], 1
.LBB29_9:                               ;   in Loop: Header=BB29_10 Depth=1
	s_or_b64 exec, exec, s[0:1]
	v_mov_b32_dpp v10, v12 row_shr:1 row_mask:0xf bank_mask:0xf
	v_mov_b32_dpp v11, v13 row_shr:1 row_mask:0xf bank_mask:0xf
	v_cmp_lt_i64_e32 vcc, v[10:11], v[12:13]
	v_lshl_add_u64 v[4:5], v[16:17], 0, v[4:5]
	s_waitcnt lgkmcnt(0)
	v_cndmask_b32_e32 v11, v13, v11, vcc
	v_cndmask_b32_e32 v10, v12, v10, vcc
	s_nop 0
	v_mov_b32_dpp v13, v11 row_shr:2 row_mask:0xf bank_mask:0xf
	v_mov_b32_dpp v12, v10 row_shr:2 row_mask:0xf bank_mask:0xf
	v_cmp_lt_i64_e32 vcc, v[12:13], v[10:11]
	s_nop 1
	v_cndmask_b32_e32 v11, v11, v13, vcc
	v_cndmask_b32_e32 v10, v10, v12, vcc
	s_nop 0
	v_mov_b32_dpp v13, v11 row_shr:4 row_mask:0xf bank_mask:0xe
	v_mov_b32_dpp v12, v10 row_shr:4 row_mask:0xf bank_mask:0xe
	v_cmp_lt_i64_e32 vcc, v[12:13], v[10:11]
	s_nop 1
	;; [unrolled: 7-line block ×3, first 2 shown]
	v_cndmask_b32_e32 v11, v11, v13, vcc
	v_cndmask_b32_e32 v10, v10, v12, vcc
	s_nop 0
	v_mov_b32_dpp v13, v11 row_bcast:15 row_mask:0xa bank_mask:0xf
	v_mov_b32_dpp v12, v10 row_bcast:15 row_mask:0xa bank_mask:0xf
	v_cmp_lt_i64_e32 vcc, v[12:13], v[10:11]
	s_nop 1
	v_cndmask_b32_e32 v11, v11, v13, vcc
	v_cndmask_b32_e32 v10, v10, v12, vcc
	s_nop 0
	v_mov_b32_dpp v13, v11 row_bcast:31 row_mask:0xc bank_mask:0xf
	v_mov_b32_dpp v12, v10 row_bcast:31 row_mask:0xc bank_mask:0xf
	v_cmp_lt_i64_e32 vcc, v[12:13], v[10:11]
	s_nop 1
	v_cndmask_b32_e32 v1, v11, v13, vcc
	v_cndmask_b32_e32 v10, v10, v12, vcc
	ds_bpermute_b32 v10, v32, v10
	ds_bpermute_b32 v11, v32, v1
	s_waitcnt lgkmcnt(0)
	v_cmp_le_i64_e32 vcc, s[10:11], v[10:11]
	s_or_b64 s[16:17], vcc, s[16:17]
	s_andn2_b64 exec, exec, s[16:17]
	s_cbranch_execz .LBB29_25
.LBB29_10:                              ; =>This Loop Header: Depth=1
                                        ;     Child Loop BB29_13 Depth 2
	v_lshl_add_u64 v[14:15], v[14:15], 0, v[6:7]
	v_cmp_lt_i64_e32 vcc, v[14:15], v[2:3]
	v_mov_b64_e32 v[12:13], s[10:11]
	v_mov_b64_e32 v[26:27], v[2:3]
	ds_write_b8 v28, v0 offset:1024
	ds_write_b32 v30, v0
	s_waitcnt lgkmcnt(0)
	s_and_saveexec_b64 s[20:21], vcc
	s_cbranch_execz .LBB29_22
; %bb.11:                               ;   in Loop: Header=BB29_10 Depth=1
	v_mad_u64_u32 v[16:17], s[0:1], v10, s6, 0
	v_lshl_add_u64 v[18:19], v[14:15], 2, s[14:15]
	v_lshl_add_u64 v[20:21], v[14:15], 3, s[8:9]
	s_mov_b64 s[22:23], 0
	v_mov_b64_e32 v[12:13], s[10:11]
	v_mov_b64_e32 v[22:23], v[2:3]
	s_branch .LBB29_13
.LBB29_12:                              ;   in Loop: Header=BB29_13 Depth=2
	s_or_b64 exec, exec, s[0:1]
	v_lshl_add_u64 v[14:15], v[14:15], 0, 8
	v_cmp_ge_i64_e64 s[0:1], v[14:15], v[2:3]
	s_xor_b64 s[24:25], vcc, -1
	s_or_b64 s[0:1], s[24:25], s[0:1]
	s_and_b64 s[0:1], exec, s[0:1]
	v_lshl_add_u64 v[18:19], v[18:19], 0, 32
	v_lshl_add_u64 v[20:21], v[20:21], 0, 64
	s_or_b64 s[22:23], s[0:1], s[22:23]
	v_mov_b64_e32 v[22:23], v[26:27]
	s_andn2_b64 exec, exec, s[22:23]
	s_cbranch_execz .LBB29_21
.LBB29_13:                              ;   Parent Loop BB29_10 Depth=1
                                        ; =>  This Inner Loop Header: Depth=2
	global_load_dwordx2 v[24:25], v[20:21], off
	v_mov_b32_e32 v1, s29
                                        ; implicit-def: $vgpr26_vgpr27
	s_waitcnt vmcnt(0)
	v_subrev_co_u32_e32 v24, vcc, s28, v24
	s_nop 1
	v_subb_co_u32_e32 v25, vcc, v25, v1, vcc
	v_or_b32_e32 v1, s7, v25
	v_cmp_ne_u64_e32 vcc, 0, v[0:1]
	s_and_saveexec_b64 s[0:1], vcc
	s_xor_b64 s[24:25], exec, s[0:1]
	s_cbranch_execz .LBB29_15
; %bb.14:                               ;   in Loop: Header=BB29_13 Depth=2
	s_add_u32 s0, s6, s18
	s_mov_b32 s19, s18
	s_addc_u32 s1, s7, s18
	s_xor_b64 s[26:27], s[0:1], s[18:19]
	v_cvt_f32_u32_e32 v1, s26
	v_cvt_f32_u32_e32 v17, s27
	s_sub_u32 s0, 0, s26
	s_subb_u32 s1, 0, s27
	v_mov_b32_e32 v35, v0
	v_fmac_f32_e32 v1, 0x4f800000, v17
	v_rcp_f32_e32 v1, v1
	s_nop 0
	v_mul_f32_e32 v1, 0x5f7ffffc, v1
	v_mul_f32_e32 v17, 0x2f800000, v1
	v_trunc_f32_e32 v17, v17
	v_fmac_f32_e32 v1, 0xcf800000, v17
	v_cvt_u32_f32_e32 v17, v17
	v_cvt_u32_f32_e32 v1, v1
	v_mul_lo_u32 v26, s0, v17
	v_mul_hi_u32 v34, s0, v1
	v_mul_lo_u32 v27, s1, v1
	v_add_u32_e32 v26, v34, v26
	v_mul_lo_u32 v36, s0, v1
	v_add_u32_e32 v37, v26, v27
	v_mul_hi_u32 v27, v1, v37
	v_mul_lo_u32 v26, v1, v37
	v_mul_hi_u32 v34, v1, v36
	v_lshl_add_u64 v[26:27], v[34:35], 0, v[26:27]
	v_mul_hi_u32 v35, v17, v36
	v_mul_lo_u32 v36, v17, v36
	v_add_co_u32_e32 v26, vcc, v26, v36
	v_mul_hi_u32 v34, v17, v37
	s_nop 0
	v_addc_co_u32_e32 v26, vcc, v27, v35, vcc
	v_mov_b32_e32 v27, v0
	s_nop 0
	v_addc_co_u32_e32 v35, vcc, 0, v34, vcc
	v_mul_lo_u32 v34, v17, v37
	v_lshl_add_u64 v[26:27], v[26:27], 0, v[34:35]
	v_add_co_u32_e32 v1, vcc, v1, v26
	v_mul_lo_u32 v34, s0, v1
	s_nop 0
	v_addc_co_u32_e32 v17, vcc, v17, v27, vcc
	v_mul_lo_u32 v26, s0, v17
	v_mul_hi_u32 v27, s0, v1
	v_add_u32_e32 v26, v27, v26
	v_mul_lo_u32 v27, s1, v1
	v_add_u32_e32 v36, v26, v27
	v_mul_hi_u32 v38, v17, v34
	v_mul_lo_u32 v39, v17, v34
	v_mul_hi_u32 v27, v1, v36
	v_mul_lo_u32 v26, v1, v36
	v_mul_hi_u32 v34, v1, v34
	v_mov_b32_e32 v35, v0
	v_lshl_add_u64 v[26:27], v[34:35], 0, v[26:27]
	v_add_co_u32_e32 v26, vcc, v26, v39
	v_mul_hi_u32 v37, v17, v36
	s_nop 0
	v_addc_co_u32_e32 v26, vcc, v27, v38, vcc
	v_mul_lo_u32 v34, v17, v36
	s_nop 0
	v_addc_co_u32_e32 v35, vcc, 0, v37, vcc
	v_mov_b32_e32 v27, v0
	v_lshl_add_u64 v[26:27], v[26:27], 0, v[34:35]
	v_add_co_u32_e32 v1, vcc, v1, v26
	v_ashrrev_i32_e32 v26, 31, v25
	s_nop 0
	v_addc_co_u32_e32 v17, vcc, v17, v27, vcc
	v_mov_b32_e32 v27, v26
	v_lshl_add_u64 v[34:35], v[24:25], 0, v[26:27]
	v_xor_b32_e32 v27, v34, v26
	v_xor_b32_e32 v25, v35, v26
	v_mad_u64_u32 v[34:35], s[0:1], v27, v17, 0
	v_mul_hi_u32 v36, v27, v1
	v_mov_b32_e32 v37, v0
	v_lshl_add_u64 v[34:35], v[36:37], 0, v[34:35]
	v_mad_u64_u32 v[38:39], s[0:1], v25, v1, 0
	v_add_co_u32_e32 v1, vcc, v34, v38
	v_mad_u64_u32 v[36:37], s[0:1], v25, v17, 0
	s_nop 0
	v_addc_co_u32_e32 v34, vcc, v35, v39, vcc
	v_mov_b32_e32 v35, v0
	s_nop 0
	v_addc_co_u32_e32 v37, vcc, 0, v37, vcc
	v_lshl_add_u64 v[34:35], v[34:35], 0, v[36:37]
	v_mul_lo_u32 v1, s27, v34
	v_mul_lo_u32 v17, s26, v35
	v_mad_u64_u32 v[36:37], s[0:1], s26, v34, 0
	v_add3_u32 v1, v37, v17, v1
	v_sub_u32_e32 v17, v25, v1
	v_mov_b32_e32 v37, s27
	v_sub_co_u32_e32 v27, vcc, v27, v36
	v_lshl_add_u64 v[38:39], v[34:35], 0, 1
	s_nop 0
	v_subb_co_u32_e64 v17, s[0:1], v17, v37, vcc
	v_subrev_co_u32_e64 v36, s[0:1], s26, v27
	v_subb_co_u32_e32 v1, vcc, v25, v1, vcc
	s_nop 0
	v_subbrev_co_u32_e64 v17, s[0:1], 0, v17, s[0:1]
	v_cmp_le_u32_e64 s[0:1], s27, v17
	v_cmp_le_u32_e32 vcc, s27, v1
	s_nop 0
	v_cndmask_b32_e64 v37, 0, -1, s[0:1]
	v_cmp_le_u32_e64 s[0:1], s26, v36
	v_cndmask_b32_e64 v25, 0, -1, vcc
	v_cmp_le_u32_e32 vcc, s26, v27
	v_cndmask_b32_e64 v36, 0, -1, s[0:1]
	v_cmp_eq_u32_e64 s[0:1], s27, v17
	v_cndmask_b32_e64 v27, 0, -1, vcc
	v_cmp_eq_u32_e32 vcc, s27, v1
	v_cndmask_b32_e64 v17, v37, v36, s[0:1]
	v_lshl_add_u64 v[36:37], v[34:35], 0, 2
	v_cmp_ne_u32_e64 s[0:1], 0, v17
	v_cndmask_b32_e32 v1, v25, v27, vcc
	v_cmp_ne_u32_e32 vcc, 0, v1
	v_cndmask_b32_e64 v17, v39, v37, s[0:1]
	v_xor_b32_e32 v25, s18, v26
	v_cndmask_b32_e32 v1, v35, v17, vcc
	v_cndmask_b32_e64 v17, v38, v36, s[0:1]
	v_cndmask_b32_e32 v17, v34, v17, vcc
	v_xor_b32_e32 v17, v17, v25
	v_xor_b32_e32 v1, v1, v25
	v_sub_co_u32_e32 v26, vcc, v17, v25
	s_nop 1
	v_subb_co_u32_e32 v27, vcc, v1, v25, vcc
.LBB29_15:                              ;   in Loop: Header=BB29_13 Depth=2
	s_andn2_saveexec_b64 s[0:1], s[24:25]
	s_cbranch_execz .LBB29_17
; %bb.16:                               ;   in Loop: Header=BB29_13 Depth=2
	v_cvt_f32_u32_e32 v1, s6
	s_sub_i32 s19, 0, s6
	v_mov_b32_e32 v27, v0
	v_rcp_iflag_f32_e32 v1, v1
	s_nop 0
	v_mul_f32_e32 v1, 0x4f7ffffe, v1
	v_cvt_u32_f32_e32 v1, v1
	v_mul_lo_u32 v17, s19, v1
	v_mul_hi_u32 v17, v1, v17
	v_add_u32_e32 v1, v1, v17
	v_mul_hi_u32 v1, v24, v1
	v_mul_lo_u32 v17, v1, s6
	v_sub_u32_e32 v17, v24, v17
	v_add_u32_e32 v25, 1, v1
	v_subrev_u32_e32 v26, s6, v17
	v_cmp_le_u32_e32 vcc, s6, v17
	s_nop 1
	v_cndmask_b32_e32 v17, v17, v26, vcc
	v_cndmask_b32_e32 v1, v1, v25, vcc
	v_add_u32_e32 v25, 1, v1
	v_cmp_le_u32_e32 vcc, s6, v17
	s_nop 1
	v_cndmask_b32_e32 v26, v1, v25, vcc
.LBB29_17:                              ;   in Loop: Header=BB29_13 Depth=2
	s_or_b64 exec, exec, s[0:1]
	v_cmp_eq_u64_e32 vcc, v[26:27], v[10:11]
	v_cmp_ne_u64_e64 s[0:1], v[26:27], v[10:11]
	s_and_saveexec_b64 s[24:25], s[0:1]
	s_xor_b64 s[24:25], exec, s[24:25]
; %bb.18:                               ;   in Loop: Header=BB29_13 Depth=2
	v_cmp_lt_i64_e64 s[0:1], v[26:27], v[12:13]
                                        ; implicit-def: $vgpr24_vgpr25
                                        ; implicit-def: $vgpr22_vgpr23
	s_nop 1
	v_cndmask_b32_e64 v13, v13, v27, s[0:1]
	v_cndmask_b32_e64 v12, v12, v26, s[0:1]
; %bb.19:                               ;   in Loop: Header=BB29_13 Depth=2
	s_or_saveexec_b64 s[0:1], s[24:25]
	v_mov_b64_e32 v[26:27], v[14:15]
	s_xor_b64 exec, exec, s[0:1]
	s_cbranch_execz .LBB29_12
; %bb.20:                               ;   in Loop: Header=BB29_13 Depth=2
	global_load_dword v1, v[18:19], off
	v_sub_u32_e32 v17, v24, v16
	v_add_lshl_u32 v17, v29, v17, 2
	v_mov_b64_e32 v[26:27], v[22:23]
	ds_write_b8 v28, v33 offset:1024
	s_waitcnt vmcnt(0)
	ds_write_b32 v17, v1
	s_branch .LBB29_12
.LBB29_21:                              ;   in Loop: Header=BB29_10 Depth=1
	s_or_b64 exec, exec, s[22:23]
.LBB29_22:                              ;   in Loop: Header=BB29_10 Depth=1
	s_or_b64 exec, exec, s[20:21]
	v_mov_b32_dpp v14, v26 row_shr:1 row_mask:0xf bank_mask:0xf
	v_mov_b32_dpp v15, v27 row_shr:1 row_mask:0xf bank_mask:0xf
	v_cmp_lt_i64_e32 vcc, v[14:15], v[26:27]
	s_waitcnt lgkmcnt(0)
	s_nop 0
	v_cndmask_b32_e32 v15, v27, v15, vcc
	v_cndmask_b32_e32 v14, v26, v14, vcc
	s_nop 0
	v_mov_b32_dpp v17, v15 row_shr:2 row_mask:0xf bank_mask:0xf
	v_mov_b32_dpp v16, v14 row_shr:2 row_mask:0xf bank_mask:0xf
	v_cmp_lt_i64_e32 vcc, v[16:17], v[14:15]
	s_nop 1
	v_cndmask_b32_e32 v15, v15, v17, vcc
	v_cndmask_b32_e32 v14, v14, v16, vcc
	s_nop 0
	v_mov_b32_dpp v17, v15 row_shr:4 row_mask:0xf bank_mask:0xe
	v_mov_b32_dpp v16, v14 row_shr:4 row_mask:0xf bank_mask:0xe
	v_cmp_lt_i64_e32 vcc, v[16:17], v[14:15]
	s_nop 1
	v_cndmask_b32_e32 v1, v15, v17, vcc
	ds_read_u8 v17, v28 offset:1024
	v_cndmask_b32_e32 v14, v14, v16, vcc
	ds_bpermute_b32 v14, v31, v14
	ds_bpermute_b32 v15, v31, v1
	s_waitcnt lgkmcnt(2)
	v_and_b32_e32 v1, 1, v17
	v_cmp_eq_u32_e32 vcc, 1, v1
	v_mov_b64_e32 v[16:17], 0
	s_and_saveexec_b64 s[0:1], vcc
	s_cbranch_execz .LBB29_9
; %bb.23:                               ;   in Loop: Header=BB29_10 Depth=1
	v_lshl_add_u64 v[10:11], v[10:11], 0, s[12:13]
	v_lshl_add_u64 v[16:17], v[4:5], 3, s[2:3]
	global_store_dwordx2 v[16:17], v[10:11], off
	s_and_saveexec_b64 s[20:21], s[4:5]
	s_cbranch_execz .LBB29_8
; %bb.24:                               ;   in Loop: Header=BB29_10 Depth=1
	ds_read_b32 v1, v30
	v_mul_lo_u32 v16, s30, v4
	v_mul_lo_u32 v17, s31, v5
	v_mad_u64_u32 v[10:11], s[22:23], s31, v4, 0
	v_add3_u32 v11, v11, v17, v16
	v_lshl_add_u64 v[10:11], v[10:11], 2, v[8:9]
	s_waitcnt lgkmcnt(0)
	global_store_dword v[10:11], v1, off
	s_branch .LBB29_8
.LBB29_25:
	s_endpgm
	.section	.rodata,"a",@progbits
	.p2align	6, 0x0
	.amdhsa_kernel _ZN9rocsparseL42csr2bsr_wavefront_per_row_multipass_kernelILj256ELj64ELj8EillEEv20rocsparse_direction_T4_S2_S2_S2_S2_21rocsparse_index_base_PKT2_PKT3_PKS2_S3_PS4_PS7_PS2_
		.amdhsa_group_segment_fixed_size 1028
		.amdhsa_private_segment_fixed_size 0
		.amdhsa_kernarg_size 112
		.amdhsa_user_sgpr_count 2
		.amdhsa_user_sgpr_dispatch_ptr 0
		.amdhsa_user_sgpr_queue_ptr 0
		.amdhsa_user_sgpr_kernarg_segment_ptr 1
		.amdhsa_user_sgpr_dispatch_id 0
		.amdhsa_user_sgpr_kernarg_preload_length 0
		.amdhsa_user_sgpr_kernarg_preload_offset 0
		.amdhsa_user_sgpr_private_segment_size 0
		.amdhsa_uses_dynamic_stack 0
		.amdhsa_enable_private_segment 0
		.amdhsa_system_sgpr_workgroup_id_x 1
		.amdhsa_system_sgpr_workgroup_id_y 0
		.amdhsa_system_sgpr_workgroup_id_z 0
		.amdhsa_system_sgpr_workgroup_info 0
		.amdhsa_system_vgpr_workitem_id 0
		.amdhsa_next_free_vgpr 40
		.amdhsa_next_free_sgpr 32
		.amdhsa_accum_offset 40
		.amdhsa_reserve_vcc 1
		.amdhsa_float_round_mode_32 0
		.amdhsa_float_round_mode_16_64 0
		.amdhsa_float_denorm_mode_32 3
		.amdhsa_float_denorm_mode_16_64 3
		.amdhsa_dx10_clamp 1
		.amdhsa_ieee_mode 1
		.amdhsa_fp16_overflow 0
		.amdhsa_tg_split 0
		.amdhsa_exception_fp_ieee_invalid_op 0
		.amdhsa_exception_fp_denorm_src 0
		.amdhsa_exception_fp_ieee_div_zero 0
		.amdhsa_exception_fp_ieee_overflow 0
		.amdhsa_exception_fp_ieee_underflow 0
		.amdhsa_exception_fp_ieee_inexact 0
		.amdhsa_exception_int_div_zero 0
	.end_amdhsa_kernel
	.section	.text._ZN9rocsparseL42csr2bsr_wavefront_per_row_multipass_kernelILj256ELj64ELj8EillEEv20rocsparse_direction_T4_S2_S2_S2_S2_21rocsparse_index_base_PKT2_PKT3_PKS2_S3_PS4_PS7_PS2_,"axG",@progbits,_ZN9rocsparseL42csr2bsr_wavefront_per_row_multipass_kernelILj256ELj64ELj8EillEEv20rocsparse_direction_T4_S2_S2_S2_S2_21rocsparse_index_base_PKT2_PKT3_PKS2_S3_PS4_PS7_PS2_,comdat
.Lfunc_end29:
	.size	_ZN9rocsparseL42csr2bsr_wavefront_per_row_multipass_kernelILj256ELj64ELj8EillEEv20rocsparse_direction_T4_S2_S2_S2_S2_21rocsparse_index_base_PKT2_PKT3_PKS2_S3_PS4_PS7_PS2_, .Lfunc_end29-_ZN9rocsparseL42csr2bsr_wavefront_per_row_multipass_kernelILj256ELj64ELj8EillEEv20rocsparse_direction_T4_S2_S2_S2_S2_21rocsparse_index_base_PKT2_PKT3_PKS2_S3_PS4_PS7_PS2_
                                        ; -- End function
	.section	.AMDGPU.csdata,"",@progbits
; Kernel info:
; codeLenInByte = 2288
; NumSgprs: 38
; NumVgprs: 40
; NumAgprs: 0
; TotalNumVgprs: 40
; ScratchSize: 0
; MemoryBound: 0
; FloatMode: 240
; IeeeMode: 1
; LDSByteSize: 1028 bytes/workgroup (compile time only)
; SGPRBlocks: 4
; VGPRBlocks: 4
; NumSGPRsForWavesPerEU: 38
; NumVGPRsForWavesPerEU: 40
; AccumOffset: 40
; Occupancy: 8
; WaveLimiterHint : 0
; COMPUTE_PGM_RSRC2:SCRATCH_EN: 0
; COMPUTE_PGM_RSRC2:USER_SGPR: 2
; COMPUTE_PGM_RSRC2:TRAP_HANDLER: 0
; COMPUTE_PGM_RSRC2:TGID_X_EN: 1
; COMPUTE_PGM_RSRC2:TGID_Y_EN: 0
; COMPUTE_PGM_RSRC2:TGID_Z_EN: 0
; COMPUTE_PGM_RSRC2:TIDIG_COMP_CNT: 0
; COMPUTE_PGM_RSRC3_GFX90A:ACCUM_OFFSET: 9
; COMPUTE_PGM_RSRC3_GFX90A:TG_SPLIT: 0
	.section	.text._ZN9rocsparseL42csr2bsr_wavefront_per_row_multipass_kernelILj256ELj32ELj8EillEEv20rocsparse_direction_T4_S2_S2_S2_S2_21rocsparse_index_base_PKT2_PKT3_PKS2_S3_PS4_PS7_PS2_,"axG",@progbits,_ZN9rocsparseL42csr2bsr_wavefront_per_row_multipass_kernelILj256ELj32ELj8EillEEv20rocsparse_direction_T4_S2_S2_S2_S2_21rocsparse_index_base_PKT2_PKT3_PKS2_S3_PS4_PS7_PS2_,comdat
	.globl	_ZN9rocsparseL42csr2bsr_wavefront_per_row_multipass_kernelILj256ELj32ELj8EillEEv20rocsparse_direction_T4_S2_S2_S2_S2_21rocsparse_index_base_PKT2_PKT3_PKS2_S3_PS4_PS7_PS2_ ; -- Begin function _ZN9rocsparseL42csr2bsr_wavefront_per_row_multipass_kernelILj256ELj32ELj8EillEEv20rocsparse_direction_T4_S2_S2_S2_S2_21rocsparse_index_base_PKT2_PKT3_PKS2_S3_PS4_PS7_PS2_
	.p2align	8
	.type	_ZN9rocsparseL42csr2bsr_wavefront_per_row_multipass_kernelILj256ELj32ELj8EillEEv20rocsparse_direction_T4_S2_S2_S2_S2_21rocsparse_index_base_PKT2_PKT3_PKS2_S3_PS4_PS7_PS2_,@function
_ZN9rocsparseL42csr2bsr_wavefront_per_row_multipass_kernelILj256ELj32ELj8EillEEv20rocsparse_direction_T4_S2_S2_S2_S2_21rocsparse_index_base_PKT2_PKT3_PKS2_S3_PS4_PS7_PS2_: ; @_ZN9rocsparseL42csr2bsr_wavefront_per_row_multipass_kernelILj256ELj32ELj8EillEEv20rocsparse_direction_T4_S2_S2_S2_S2_21rocsparse_index_base_PKT2_PKT3_PKS2_S3_PS4_PS7_PS2_
; %bb.0:
	s_load_dwordx2 s[4:5], s[0:1], 0x8
	s_load_dwordx4 s[8:11], s[0:1], 0x18
	s_load_dwordx2 s[6:7], s[0:1], 0x28
	s_load_dword s33, s[0:1], 0x30
	s_load_dwordx2 s[12:13], s[0:1], 0x40
	s_ashr_i32 s3, s2, 31
	v_lshrrev_b32_e32 v34, 5, v0
	s_lshl_b64 s[14:15], s[2:3], 3
	v_bfe_u32 v10, v0, 2, 3
	v_mov_b32_e32 v11, 0
	v_or_b32_e32 v1, s14, v34
	s_waitcnt lgkmcnt(0)
	v_mul_lo_u32 v2, v1, s7
	v_mad_u64_u32 v[4:5], s[16:17], v1, s6, v[10:11]
	s_mul_i32 s3, s15, s6
	v_add3_u32 v5, s3, v5, v2
	v_cmp_gt_i64_e32 vcc, s[4:5], v[4:5]
	v_cmp_gt_i64_e64 s[4:5], s[6:7], v[10:11]
	v_mov_b64_e32 v[2:3], 0
	s_and_b64 s[14:15], s[4:5], vcc
	v_mov_b64_e32 v[20:21], v[2:3]
	s_and_saveexec_b64 s[16:17], s[14:15]
	s_cbranch_execz .LBB30_2
; %bb.1:
	v_lshl_add_u64 v[6:7], v[4:5], 3, s[12:13]
	global_load_dwordx2 v[6:7], v[6:7], off
	s_waitcnt vmcnt(0)
	v_subrev_co_u32_e32 v20, vcc, s33, v6
	s_nop 1
	v_subbrev_co_u32_e32 v21, vcc, 0, v7, vcc
.LBB30_2:
	s_or_b64 exec, exec, s[16:17]
	s_and_saveexec_b64 s[16:17], s[14:15]
	s_cbranch_execz .LBB30_4
; %bb.3:
	v_lshl_add_u64 v[2:3], v[4:5], 3, s[12:13]
	global_load_dwordx2 v[2:3], v[2:3], off offset:8
	s_waitcnt vmcnt(0)
	v_subrev_co_u32_e32 v2, vcc, s33, v2
	s_nop 1
	v_subbrev_co_u32_e32 v3, vcc, 0, v3, vcc
.LBB30_4:
	s_or_b64 exec, exec, s[16:17]
	s_load_dword s12, s[0:1], 0x50
	v_lshl_or_b32 v6, s2, 3, v34
	v_mov_b32_e32 v7, 0
	v_cmp_gt_i64_e32 vcc, s[8:9], v[6:7]
	v_mov_b64_e32 v[4:5], 0
	s_and_saveexec_b64 s[2:3], vcc
	s_cbranch_execz .LBB30_6
; %bb.5:
	s_load_dwordx2 s[8:9], s[0:1], 0x60
	s_waitcnt lgkmcnt(0)
	v_lshl_add_u64 v[4:5], v[6:7], 3, s[8:9]
	global_load_dwordx2 v[4:5], v[4:5], off
	s_waitcnt vmcnt(0)
	v_subrev_co_u32_e32 v4, vcc, s12, v4
	s_nop 1
	v_subbrev_co_u32_e32 v5, vcc, 0, v5, vcc
.LBB30_6:
	s_or_b64 exec, exec, s[2:3]
	v_cmp_lt_i64_e64 s[2:3], s[10:11], 1
	s_and_b64 vcc, exec, s[2:3]
	s_cbranch_vccnz .LBB30_34
; %bb.7:
	s_mul_i32 s8, s6, s7
	s_mul_hi_u32 s9, s6, s6
	s_load_dwordx2 s[2:3], s[0:1], 0x68
	s_load_dwordx2 s[18:19], s[0:1], 0x58
	s_add_i32 s9, s9, s8
	s_add_i32 s34, s9, s8
	s_load_dwordx2 s[8:9], s[0:1], 0x48
	s_load_dwordx2 s[14:15], s[0:1], 0x38
	s_load_dword s16, s[0:1], 0x0
	v_mad_u64_u32 v[12:13], s[0:1], v10, s6, 0
	v_lshlrev_b32_e32 v1, 6, v34
	v_mov_b32_e32 v14, v13
	v_lshlrev_b32_e32 v8, 2, v10
	v_lshl_or_b32 v35, v10, 3, v1
	v_mad_u64_u32 v[10:11], s[0:1], v10, s7, v[14:15]
	v_and_b32_e32 v0, 3, v0
	v_mov_b32_e32 v13, v10
	s_waitcnt lgkmcnt(0)
	v_lshl_add_u64 v[10:11], v[12:13], 2, s[18:19]
	v_mad_u64_u32 v[12:13], s[0:1], v0, s6, 0
	v_mov_b32_e32 v6, 0
	v_mov_b32_e32 v14, v13
	;; [unrolled: 1-line block ×3, first 2 shown]
	v_mbcnt_lo_u32_b32 v7, -1, 0
	v_mad_u64_u32 v[14:15], s[0:1], v0, s7, v[14:15]
	v_or_b32_e32 v16, 4, v0
	v_lshl_add_u64 v[8:9], s[18:19], 0, v[8:9]
	v_mbcnt_hi_u32_b32 v7, -1, v7
	v_mov_b32_e32 v13, v14
	v_mad_u64_u32 v[14:15], s[18:19], v16, s6, 0
	v_mov_b32_e32 v1, v6
	v_lshlrev_b32_e32 v7, 2, v7
	v_mov_b32_e32 v17, v6
	v_mov_b32_e32 v18, v15
	s_mov_b32 s36, 0
	v_or_b32_e32 v36, 12, v7
	s_cmp_lg_u32 s16, 0
	v_or_b32_e32 v37, 0x7c, v7
	v_or_b32_e32 v7, v35, v0
	v_cmp_gt_u64_e32 vcc, s[6:7], v[0:1]
	v_cmp_gt_u64_e64 s[0:1], s[6:7], v[16:17]
	v_mad_u64_u32 v[16:17], s[18:19], v16, s7, v[18:19]
	s_mul_i32 s35, s6, s6
	s_mov_b32 s13, s36
	s_cselect_b64 s[16:17], -1, 0
	v_lshlrev_b32_e32 v38, 2, v7
	v_mov_b32_e32 v15, v16
	s_and_b64 s[18:19], s[4:5], vcc
	s_and_b64 s[4:5], s[4:5], s[0:1]
	s_mov_b64 s[20:21], 0
	v_mov_b64_e32 v[18:19], 0
	s_ashr_i32 s22, s7, 31
	v_mov_b32_e32 v39, 1
	s_branch .LBB30_11
.LBB30_8:                               ;   in Loop: Header=BB30_11 Depth=1
	v_mov_b64_e32 v[22:23], s[26:27]
.LBB30_9:                               ;   in Loop: Header=BB30_11 Depth=1
	s_or_b64 exec, exec, s[24:25]
.LBB30_10:                              ;   in Loop: Header=BB30_11 Depth=1
	s_or_b64 exec, exec, s[0:1]
	v_mov_b32_dpp v18, v16 row_shr:1 row_mask:0xf bank_mask:0xf
	v_mov_b32_dpp v19, v17 row_shr:1 row_mask:0xf bank_mask:0xf
	v_cmp_lt_i64_e32 vcc, v[18:19], v[16:17]
	v_lshl_add_u64 v[4:5], v[22:23], 0, v[4:5]
	s_waitcnt lgkmcnt(0)
	v_cndmask_b32_e32 v17, v17, v19, vcc
	v_cndmask_b32_e32 v16, v16, v18, vcc
	s_nop 0
	v_mov_b32_dpp v19, v17 row_shr:2 row_mask:0xf bank_mask:0xf
	v_mov_b32_dpp v18, v16 row_shr:2 row_mask:0xf bank_mask:0xf
	v_cmp_lt_i64_e32 vcc, v[18:19], v[16:17]
	s_nop 1
	v_cndmask_b32_e32 v17, v17, v19, vcc
	v_cndmask_b32_e32 v16, v16, v18, vcc
	s_nop 0
	v_mov_b32_dpp v19, v17 row_shr:4 row_mask:0xf bank_mask:0xe
	v_mov_b32_dpp v18, v16 row_shr:4 row_mask:0xf bank_mask:0xe
	v_cmp_lt_i64_e32 vcc, v[18:19], v[16:17]
	s_nop 1
	;; [unrolled: 7-line block ×3, first 2 shown]
	v_cndmask_b32_e32 v17, v17, v19, vcc
	v_cndmask_b32_e32 v16, v16, v18, vcc
	s_nop 0
	v_mov_b32_dpp v19, v17 row_bcast:15 row_mask:0xa bank_mask:0xf
	v_mov_b32_dpp v18, v16 row_bcast:15 row_mask:0xa bank_mask:0xf
	v_cmp_lt_i64_e32 vcc, v[18:19], v[16:17]
	s_nop 1
	v_cndmask_b32_e32 v7, v17, v19, vcc
	v_cndmask_b32_e32 v16, v16, v18, vcc
	ds_bpermute_b32 v18, v37, v16
	ds_bpermute_b32 v19, v37, v7
	s_waitcnt lgkmcnt(0)
	v_cmp_le_i64_e32 vcc, s[10:11], v[18:19]
	s_or_b64 s[20:21], vcc, s[20:21]
	s_andn2_b64 exec, exec, s[20:21]
	s_cbranch_execz .LBB30_34
.LBB30_11:                              ; =>This Loop Header: Depth=1
                                        ;     Child Loop BB30_14 Depth 2
	v_lshl_add_u64 v[20:21], v[20:21], 0, v[0:1]
	v_cmp_lt_i64_e32 vcc, v[20:21], v[2:3]
	v_mov_b64_e32 v[16:17], s[10:11]
	v_mov_b64_e32 v[32:33], v[2:3]
	ds_write_b8 v34, v6 offset:2048
	ds_write2_b32 v38, v6, v6 offset1:4
	s_waitcnt lgkmcnt(0)
	s_and_saveexec_b64 s[24:25], vcc
	s_cbranch_execz .LBB30_23
; %bb.12:                               ;   in Loop: Header=BB30_11 Depth=1
	v_mad_u64_u32 v[22:23], s[0:1], v18, s6, 0
	v_lshl_add_u64 v[24:25], v[20:21], 2, s[14:15]
	v_lshl_add_u64 v[26:27], v[20:21], 3, s[8:9]
	s_mov_b64 s[26:27], 0
	v_mov_b64_e32 v[16:17], s[10:11]
	v_mov_b64_e32 v[28:29], v[2:3]
	s_branch .LBB30_14
.LBB30_13:                              ;   in Loop: Header=BB30_14 Depth=2
	s_or_b64 exec, exec, s[0:1]
	v_lshl_add_u64 v[20:21], v[20:21], 0, 4
	v_cmp_ge_i64_e64 s[0:1], v[20:21], v[2:3]
	s_xor_b64 s[28:29], vcc, -1
	s_or_b64 s[0:1], s[28:29], s[0:1]
	s_and_b64 s[0:1], exec, s[0:1]
	v_lshl_add_u64 v[24:25], v[24:25], 0, 16
	v_lshl_add_u64 v[26:27], v[26:27], 0, 32
	s_or_b64 s[26:27], s[0:1], s[26:27]
	v_mov_b64_e32 v[28:29], v[32:33]
	s_andn2_b64 exec, exec, s[26:27]
	s_cbranch_execz .LBB30_22
.LBB30_14:                              ;   Parent Loop BB30_11 Depth=1
                                        ; =>  This Inner Loop Header: Depth=2
	global_load_dwordx2 v[30:31], v[26:27], off
	v_mov_b32_e32 v7, s36
                                        ; implicit-def: $vgpr32_vgpr33
	s_waitcnt vmcnt(0)
	v_subrev_co_u32_e32 v30, vcc, s33, v30
	s_nop 1
	v_subb_co_u32_e32 v31, vcc, v31, v7, vcc
	v_or_b32_e32 v7, s7, v31
	v_cmp_ne_u64_e32 vcc, 0, v[6:7]
	s_and_saveexec_b64 s[0:1], vcc
	s_xor_b64 s[28:29], exec, s[0:1]
	s_cbranch_execz .LBB30_16
; %bb.15:                               ;   in Loop: Header=BB30_14 Depth=2
	s_add_u32 s0, s6, s22
	s_mov_b32 s23, s22
	s_addc_u32 s1, s7, s22
	s_xor_b64 s[30:31], s[0:1], s[22:23]
	v_cvt_f32_u32_e32 v7, s30
	v_cvt_f32_u32_e32 v23, s31
	s_sub_u32 s0, 0, s30
	s_subb_u32 s1, 0, s31
	v_mov_b32_e32 v41, v6
	v_fmac_f32_e32 v7, 0x4f800000, v23
	v_rcp_f32_e32 v7, v7
	s_nop 0
	v_mul_f32_e32 v7, 0x5f7ffffc, v7
	v_mul_f32_e32 v23, 0x2f800000, v7
	v_trunc_f32_e32 v23, v23
	v_fmac_f32_e32 v7, 0xcf800000, v23
	v_cvt_u32_f32_e32 v23, v23
	v_cvt_u32_f32_e32 v7, v7
	v_mul_lo_u32 v32, s0, v23
	v_mul_hi_u32 v40, s0, v7
	v_mul_lo_u32 v33, s1, v7
	v_add_u32_e32 v32, v40, v32
	v_mul_lo_u32 v42, s0, v7
	v_add_u32_e32 v43, v32, v33
	v_mul_hi_u32 v33, v7, v43
	v_mul_lo_u32 v32, v7, v43
	v_mul_hi_u32 v40, v7, v42
	v_lshl_add_u64 v[32:33], v[40:41], 0, v[32:33]
	v_mul_hi_u32 v41, v23, v42
	v_mul_lo_u32 v42, v23, v42
	v_add_co_u32_e32 v32, vcc, v32, v42
	v_mul_hi_u32 v40, v23, v43
	s_nop 0
	v_addc_co_u32_e32 v32, vcc, v33, v41, vcc
	v_mov_b32_e32 v33, v6
	s_nop 0
	v_addc_co_u32_e32 v41, vcc, 0, v40, vcc
	v_mul_lo_u32 v40, v23, v43
	v_lshl_add_u64 v[32:33], v[32:33], 0, v[40:41]
	v_add_co_u32_e32 v7, vcc, v7, v32
	v_mul_lo_u32 v40, s0, v7
	s_nop 0
	v_addc_co_u32_e32 v23, vcc, v23, v33, vcc
	v_mul_lo_u32 v32, s0, v23
	v_mul_hi_u32 v33, s0, v7
	v_add_u32_e32 v32, v33, v32
	v_mul_lo_u32 v33, s1, v7
	v_add_u32_e32 v42, v32, v33
	v_mul_hi_u32 v44, v23, v40
	v_mul_lo_u32 v45, v23, v40
	v_mul_hi_u32 v33, v7, v42
	v_mul_lo_u32 v32, v7, v42
	v_mul_hi_u32 v40, v7, v40
	v_mov_b32_e32 v41, v6
	v_lshl_add_u64 v[32:33], v[40:41], 0, v[32:33]
	v_add_co_u32_e32 v32, vcc, v32, v45
	v_mul_hi_u32 v43, v23, v42
	s_nop 0
	v_addc_co_u32_e32 v32, vcc, v33, v44, vcc
	v_mul_lo_u32 v40, v23, v42
	s_nop 0
	v_addc_co_u32_e32 v41, vcc, 0, v43, vcc
	v_mov_b32_e32 v33, v6
	v_lshl_add_u64 v[32:33], v[32:33], 0, v[40:41]
	v_add_co_u32_e32 v7, vcc, v7, v32
	v_ashrrev_i32_e32 v32, 31, v31
	s_nop 0
	v_addc_co_u32_e32 v23, vcc, v23, v33, vcc
	v_mov_b32_e32 v33, v32
	v_lshl_add_u64 v[40:41], v[30:31], 0, v[32:33]
	v_xor_b32_e32 v33, v40, v32
	v_xor_b32_e32 v31, v41, v32
	v_mad_u64_u32 v[40:41], s[0:1], v33, v23, 0
	v_mul_hi_u32 v42, v33, v7
	v_mov_b32_e32 v43, v6
	v_lshl_add_u64 v[40:41], v[42:43], 0, v[40:41]
	v_mad_u64_u32 v[44:45], s[0:1], v31, v7, 0
	v_add_co_u32_e32 v7, vcc, v40, v44
	v_mad_u64_u32 v[42:43], s[0:1], v31, v23, 0
	s_nop 0
	v_addc_co_u32_e32 v40, vcc, v41, v45, vcc
	v_mov_b32_e32 v41, v6
	s_nop 0
	v_addc_co_u32_e32 v43, vcc, 0, v43, vcc
	v_lshl_add_u64 v[40:41], v[40:41], 0, v[42:43]
	v_mul_lo_u32 v7, s31, v40
	v_mul_lo_u32 v23, s30, v41
	v_mad_u64_u32 v[42:43], s[0:1], s30, v40, 0
	v_add3_u32 v7, v43, v23, v7
	v_sub_u32_e32 v23, v31, v7
	v_mov_b32_e32 v43, s31
	v_sub_co_u32_e32 v33, vcc, v33, v42
	v_lshl_add_u64 v[44:45], v[40:41], 0, 1
	s_nop 0
	v_subb_co_u32_e64 v23, s[0:1], v23, v43, vcc
	v_subrev_co_u32_e64 v42, s[0:1], s30, v33
	v_subb_co_u32_e32 v7, vcc, v31, v7, vcc
	s_nop 0
	v_subbrev_co_u32_e64 v23, s[0:1], 0, v23, s[0:1]
	v_cmp_le_u32_e64 s[0:1], s31, v23
	v_cmp_le_u32_e32 vcc, s31, v7
	s_nop 0
	v_cndmask_b32_e64 v43, 0, -1, s[0:1]
	v_cmp_le_u32_e64 s[0:1], s30, v42
	v_cndmask_b32_e64 v31, 0, -1, vcc
	v_cmp_le_u32_e32 vcc, s30, v33
	v_cndmask_b32_e64 v42, 0, -1, s[0:1]
	v_cmp_eq_u32_e64 s[0:1], s31, v23
	v_cndmask_b32_e64 v33, 0, -1, vcc
	v_cmp_eq_u32_e32 vcc, s31, v7
	v_cndmask_b32_e64 v23, v43, v42, s[0:1]
	v_lshl_add_u64 v[42:43], v[40:41], 0, 2
	v_cmp_ne_u32_e64 s[0:1], 0, v23
	v_cndmask_b32_e32 v7, v31, v33, vcc
	v_cmp_ne_u32_e32 vcc, 0, v7
	v_cndmask_b32_e64 v23, v45, v43, s[0:1]
	v_xor_b32_e32 v31, s22, v32
	v_cndmask_b32_e32 v7, v41, v23, vcc
	v_cndmask_b32_e64 v23, v44, v42, s[0:1]
	v_cndmask_b32_e32 v23, v40, v23, vcc
	v_xor_b32_e32 v23, v23, v31
	v_xor_b32_e32 v7, v7, v31
	v_sub_co_u32_e32 v32, vcc, v23, v31
	s_nop 1
	v_subb_co_u32_e32 v33, vcc, v7, v31, vcc
.LBB30_16:                              ;   in Loop: Header=BB30_14 Depth=2
	s_andn2_saveexec_b64 s[0:1], s[28:29]
	s_cbranch_execz .LBB30_18
; %bb.17:                               ;   in Loop: Header=BB30_14 Depth=2
	v_cvt_f32_u32_e32 v7, s6
	s_sub_i32 s23, 0, s6
	v_mov_b32_e32 v33, v6
	v_rcp_iflag_f32_e32 v7, v7
	s_nop 0
	v_mul_f32_e32 v7, 0x4f7ffffe, v7
	v_cvt_u32_f32_e32 v7, v7
	v_mul_lo_u32 v23, s23, v7
	v_mul_hi_u32 v23, v7, v23
	v_add_u32_e32 v7, v7, v23
	v_mul_hi_u32 v7, v30, v7
	v_mul_lo_u32 v23, v7, s6
	v_sub_u32_e32 v23, v30, v23
	v_add_u32_e32 v31, 1, v7
	v_subrev_u32_e32 v32, s6, v23
	v_cmp_le_u32_e32 vcc, s6, v23
	s_nop 1
	v_cndmask_b32_e32 v23, v23, v32, vcc
	v_cndmask_b32_e32 v7, v7, v31, vcc
	v_add_u32_e32 v31, 1, v7
	v_cmp_le_u32_e32 vcc, s6, v23
	s_nop 1
	v_cndmask_b32_e32 v32, v7, v31, vcc
.LBB30_18:                              ;   in Loop: Header=BB30_14 Depth=2
	s_or_b64 exec, exec, s[0:1]
	v_cmp_eq_u64_e32 vcc, v[32:33], v[18:19]
	v_cmp_ne_u64_e64 s[0:1], v[32:33], v[18:19]
	s_and_saveexec_b64 s[28:29], s[0:1]
	s_xor_b64 s[28:29], exec, s[28:29]
; %bb.19:                               ;   in Loop: Header=BB30_14 Depth=2
	v_cmp_lt_i64_e64 s[0:1], v[32:33], v[16:17]
                                        ; implicit-def: $vgpr30_vgpr31
                                        ; implicit-def: $vgpr28_vgpr29
	s_nop 1
	v_cndmask_b32_e64 v17, v17, v33, s[0:1]
	v_cndmask_b32_e64 v16, v16, v32, s[0:1]
; %bb.20:                               ;   in Loop: Header=BB30_14 Depth=2
	s_or_saveexec_b64 s[0:1], s[28:29]
	v_mov_b64_e32 v[32:33], v[20:21]
	s_xor_b64 exec, exec, s[0:1]
	s_cbranch_execz .LBB30_13
; %bb.21:                               ;   in Loop: Header=BB30_14 Depth=2
	global_load_dword v7, v[24:25], off
	v_sub_u32_e32 v23, v30, v22
	v_add_lshl_u32 v23, v35, v23, 2
	v_mov_b64_e32 v[32:33], v[28:29]
	ds_write_b8 v34, v39 offset:2048
	s_waitcnt vmcnt(0)
	ds_write_b32 v23, v7
	s_branch .LBB30_13
.LBB30_22:                              ;   in Loop: Header=BB30_11 Depth=1
	s_or_b64 exec, exec, s[26:27]
.LBB30_23:                              ;   in Loop: Header=BB30_11 Depth=1
	s_or_b64 exec, exec, s[24:25]
	v_mov_b32_dpp v20, v32 row_shr:1 row_mask:0xf bank_mask:0xf
	v_mov_b32_dpp v21, v33 row_shr:1 row_mask:0xf bank_mask:0xf
	v_cmp_lt_i64_e32 vcc, v[20:21], v[32:33]
	s_waitcnt lgkmcnt(0)
	s_nop 0
	v_cndmask_b32_e32 v21, v33, v21, vcc
	v_cndmask_b32_e32 v20, v32, v20, vcc
	s_nop 0
	v_mov_b32_dpp v23, v21 row_shr:2 row_mask:0xf bank_mask:0xf
	v_mov_b32_dpp v22, v20 row_shr:2 row_mask:0xf bank_mask:0xf
	v_cmp_lt_i64_e32 vcc, v[22:23], v[20:21]
	s_nop 1
	v_cndmask_b32_e32 v7, v21, v23, vcc
	ds_read_u8 v23, v34 offset:2048
	v_cndmask_b32_e32 v20, v20, v22, vcc
	ds_bpermute_b32 v20, v36, v20
	ds_bpermute_b32 v21, v36, v7
	s_waitcnt lgkmcnt(2)
	v_and_b32_e32 v7, 1, v23
	v_cmp_eq_u32_e32 vcc, 1, v7
	v_mov_b64_e32 v[22:23], 0
	s_and_saveexec_b64 s[0:1], vcc
	s_cbranch_execz .LBB30_10
; %bb.24:                               ;   in Loop: Header=BB30_11 Depth=1
	v_lshl_add_u64 v[18:19], v[18:19], 0, s[12:13]
	v_lshl_add_u64 v[22:23], v[4:5], 3, s[2:3]
	global_store_dwordx2 v[22:23], v[18:19], off
	v_mul_lo_u32 v7, s34, v4
	v_mul_lo_u32 v22, s35, v5
	v_mad_u64_u32 v[18:19], s[24:25], s35, v4, 0
	v_add3_u32 v19, v19, v22, v7
	v_lshlrev_b64 v[18:19], 2, v[18:19]
	v_lshl_add_u64 v[24:25], v[8:9], 0, v[18:19]
	v_lshl_add_u64 v[18:19], v[10:11], 0, v[18:19]
	s_and_saveexec_b64 s[24:25], s[18:19]
	s_cbranch_execz .LBB30_28
; %bb.25:                               ;   in Loop: Header=BB30_11 Depth=1
	s_and_b64 vcc, exec, s[16:17]
	s_cbranch_vccz .LBB30_31
; %bb.26:                               ;   in Loop: Header=BB30_11 Depth=1
	ds_read_b32 v7, v38
	v_lshl_add_u64 v[22:23], v[12:13], 2, v[24:25]
	s_waitcnt lgkmcnt(0)
	global_store_dword v[22:23], v7, off
	s_cbranch_execnz .LBB30_28
.LBB30_27:                              ;   in Loop: Header=BB30_11 Depth=1
	ds_read_b32 v7, v38
	v_lshlrev_b32_e32 v22, 2, v0
	v_mov_b32_e32 v23, v6
	v_lshl_add_u64 v[22:23], v[18:19], 0, v[22:23]
	s_waitcnt lgkmcnt(0)
	global_store_dword v[22:23], v7, off
.LBB30_28:                              ;   in Loop: Header=BB30_11 Depth=1
	s_or_b64 exec, exec, s[24:25]
	v_mov_b64_e32 v[22:23], 1
	s_and_saveexec_b64 s[24:25], s[4:5]
	s_cbranch_execz .LBB30_9
; %bb.29:                               ;   in Loop: Header=BB30_11 Depth=1
	s_andn2_b64 vcc, exec, s[16:17]
	s_cbranch_vccnz .LBB30_32
; %bb.30:                               ;   in Loop: Header=BB30_11 Depth=1
	ds_read_b32 v7, v38 offset:16
	v_lshl_add_u64 v[22:23], v[14:15], 2, v[24:25]
	s_mov_b64 s[26:27], 1
	s_waitcnt lgkmcnt(0)
	global_store_dword v[22:23], v7, off
	s_cbranch_execnz .LBB30_8
	s_branch .LBB30_33
.LBB30_31:                              ;   in Loop: Header=BB30_11 Depth=1
	s_branch .LBB30_27
.LBB30_32:                              ;   in Loop: Header=BB30_11 Depth=1
                                        ; implicit-def: $sgpr26_sgpr27
.LBB30_33:                              ;   in Loop: Header=BB30_11 Depth=1
	ds_read_b32 v7, v38 offset:16
	v_lshlrev_b32_e32 v22, 2, v0
	v_mov_b32_e32 v23, v6
	v_lshl_add_u64 v[18:19], v[18:19], 0, v[22:23]
	s_mov_b64 s[26:27], 1
	s_waitcnt lgkmcnt(0)
	global_store_dword v[18:19], v7, off offset:16
	s_branch .LBB30_8
.LBB30_34:
	s_endpgm
	.section	.rodata,"a",@progbits
	.p2align	6, 0x0
	.amdhsa_kernel _ZN9rocsparseL42csr2bsr_wavefront_per_row_multipass_kernelILj256ELj32ELj8EillEEv20rocsparse_direction_T4_S2_S2_S2_S2_21rocsparse_index_base_PKT2_PKT3_PKS2_S3_PS4_PS7_PS2_
		.amdhsa_group_segment_fixed_size 2056
		.amdhsa_private_segment_fixed_size 0
		.amdhsa_kernarg_size 112
		.amdhsa_user_sgpr_count 2
		.amdhsa_user_sgpr_dispatch_ptr 0
		.amdhsa_user_sgpr_queue_ptr 0
		.amdhsa_user_sgpr_kernarg_segment_ptr 1
		.amdhsa_user_sgpr_dispatch_id 0
		.amdhsa_user_sgpr_kernarg_preload_length 0
		.amdhsa_user_sgpr_kernarg_preload_offset 0
		.amdhsa_user_sgpr_private_segment_size 0
		.amdhsa_uses_dynamic_stack 0
		.amdhsa_enable_private_segment 0
		.amdhsa_system_sgpr_workgroup_id_x 1
		.amdhsa_system_sgpr_workgroup_id_y 0
		.amdhsa_system_sgpr_workgroup_id_z 0
		.amdhsa_system_sgpr_workgroup_info 0
		.amdhsa_system_vgpr_workitem_id 0
		.amdhsa_next_free_vgpr 46
		.amdhsa_next_free_sgpr 37
		.amdhsa_accum_offset 48
		.amdhsa_reserve_vcc 1
		.amdhsa_float_round_mode_32 0
		.amdhsa_float_round_mode_16_64 0
		.amdhsa_float_denorm_mode_32 3
		.amdhsa_float_denorm_mode_16_64 3
		.amdhsa_dx10_clamp 1
		.amdhsa_ieee_mode 1
		.amdhsa_fp16_overflow 0
		.amdhsa_tg_split 0
		.amdhsa_exception_fp_ieee_invalid_op 0
		.amdhsa_exception_fp_denorm_src 0
		.amdhsa_exception_fp_ieee_div_zero 0
		.amdhsa_exception_fp_ieee_overflow 0
		.amdhsa_exception_fp_ieee_underflow 0
		.amdhsa_exception_fp_ieee_inexact 0
		.amdhsa_exception_int_div_zero 0
	.end_amdhsa_kernel
	.section	.text._ZN9rocsparseL42csr2bsr_wavefront_per_row_multipass_kernelILj256ELj32ELj8EillEEv20rocsparse_direction_T4_S2_S2_S2_S2_21rocsparse_index_base_PKT2_PKT3_PKS2_S3_PS4_PS7_PS2_,"axG",@progbits,_ZN9rocsparseL42csr2bsr_wavefront_per_row_multipass_kernelILj256ELj32ELj8EillEEv20rocsparse_direction_T4_S2_S2_S2_S2_21rocsparse_index_base_PKT2_PKT3_PKS2_S3_PS4_PS7_PS2_,comdat
.Lfunc_end30:
	.size	_ZN9rocsparseL42csr2bsr_wavefront_per_row_multipass_kernelILj256ELj32ELj8EillEEv20rocsparse_direction_T4_S2_S2_S2_S2_21rocsparse_index_base_PKT2_PKT3_PKS2_S3_PS4_PS7_PS2_, .Lfunc_end30-_ZN9rocsparseL42csr2bsr_wavefront_per_row_multipass_kernelILj256ELj32ELj8EillEEv20rocsparse_direction_T4_S2_S2_S2_S2_21rocsparse_index_base_PKT2_PKT3_PKS2_S3_PS4_PS7_PS2_
                                        ; -- End function
	.section	.AMDGPU.csdata,"",@progbits
; Kernel info:
; codeLenInByte = 2404
; NumSgprs: 43
; NumVgprs: 46
; NumAgprs: 0
; TotalNumVgprs: 46
; ScratchSize: 0
; MemoryBound: 0
; FloatMode: 240
; IeeeMode: 1
; LDSByteSize: 2056 bytes/workgroup (compile time only)
; SGPRBlocks: 5
; VGPRBlocks: 5
; NumSGPRsForWavesPerEU: 43
; NumVGPRsForWavesPerEU: 46
; AccumOffset: 48
; Occupancy: 8
; WaveLimiterHint : 0
; COMPUTE_PGM_RSRC2:SCRATCH_EN: 0
; COMPUTE_PGM_RSRC2:USER_SGPR: 2
; COMPUTE_PGM_RSRC2:TRAP_HANDLER: 0
; COMPUTE_PGM_RSRC2:TGID_X_EN: 1
; COMPUTE_PGM_RSRC2:TGID_Y_EN: 0
; COMPUTE_PGM_RSRC2:TGID_Z_EN: 0
; COMPUTE_PGM_RSRC2:TIDIG_COMP_CNT: 0
; COMPUTE_PGM_RSRC3_GFX90A:ACCUM_OFFSET: 11
; COMPUTE_PGM_RSRC3_GFX90A:TG_SPLIT: 0
	.section	.text._ZN9rocsparseL42csr2bsr_wavefront_per_row_multipass_kernelILj256ELj64ELj16EillEEv20rocsparse_direction_T4_S2_S2_S2_S2_21rocsparse_index_base_PKT2_PKT3_PKS2_S3_PS4_PS7_PS2_,"axG",@progbits,_ZN9rocsparseL42csr2bsr_wavefront_per_row_multipass_kernelILj256ELj64ELj16EillEEv20rocsparse_direction_T4_S2_S2_S2_S2_21rocsparse_index_base_PKT2_PKT3_PKS2_S3_PS4_PS7_PS2_,comdat
	.globl	_ZN9rocsparseL42csr2bsr_wavefront_per_row_multipass_kernelILj256ELj64ELj16EillEEv20rocsparse_direction_T4_S2_S2_S2_S2_21rocsparse_index_base_PKT2_PKT3_PKS2_S3_PS4_PS7_PS2_ ; -- Begin function _ZN9rocsparseL42csr2bsr_wavefront_per_row_multipass_kernelILj256ELj64ELj16EillEEv20rocsparse_direction_T4_S2_S2_S2_S2_21rocsparse_index_base_PKT2_PKT3_PKS2_S3_PS4_PS7_PS2_
	.p2align	8
	.type	_ZN9rocsparseL42csr2bsr_wavefront_per_row_multipass_kernelILj256ELj64ELj16EillEEv20rocsparse_direction_T4_S2_S2_S2_S2_21rocsparse_index_base_PKT2_PKT3_PKS2_S3_PS4_PS7_PS2_,@function
_ZN9rocsparseL42csr2bsr_wavefront_per_row_multipass_kernelILj256ELj64ELj16EillEEv20rocsparse_direction_T4_S2_S2_S2_S2_21rocsparse_index_base_PKT2_PKT3_PKS2_S3_PS4_PS7_PS2_: ; @_ZN9rocsparseL42csr2bsr_wavefront_per_row_multipass_kernelILj256ELj64ELj16EillEEv20rocsparse_direction_T4_S2_S2_S2_S2_21rocsparse_index_base_PKT2_PKT3_PKS2_S3_PS4_PS7_PS2_
; %bb.0:
	s_load_dwordx2 s[4:5], s[0:1], 0x8
	s_load_dwordx4 s[8:11], s[0:1], 0x18
	s_load_dwordx2 s[12:13], s[0:1], 0x28
	s_load_dword s33, s[0:1], 0x30
	s_load_dwordx2 s[6:7], s[0:1], 0x40
	s_ashr_i32 s3, s2, 31
	v_lshrrev_b32_e32 v38, 6, v0
	s_lshl_b64 s[14:15], s[2:3], 2
	v_bfe_u32 v10, v0, 2, 4
	v_mov_b32_e32 v11, 0
	v_or_b32_e32 v1, s14, v38
	s_waitcnt lgkmcnt(0)
	v_mul_lo_u32 v2, v1, s13
	v_mad_u64_u32 v[4:5], s[16:17], v1, s12, v[10:11]
	s_mul_i32 s3, s15, s12
	v_add3_u32 v5, s3, v5, v2
	v_cmp_gt_i64_e32 vcc, s[4:5], v[4:5]
	v_cmp_gt_i64_e64 s[4:5], s[12:13], v[10:11]
	v_mov_b64_e32 v[2:3], 0
	s_and_b64 s[14:15], s[4:5], vcc
	v_mov_b64_e32 v[22:23], v[2:3]
	s_and_saveexec_b64 s[16:17], s[14:15]
	s_cbranch_execz .LBB31_2
; %bb.1:
	v_lshl_add_u64 v[6:7], v[4:5], 3, s[6:7]
	global_load_dwordx2 v[6:7], v[6:7], off
	s_waitcnt vmcnt(0)
	v_subrev_co_u32_e32 v22, vcc, s33, v6
	s_nop 1
	v_subbrev_co_u32_e32 v23, vcc, 0, v7, vcc
.LBB31_2:
	s_or_b64 exec, exec, s[16:17]
	s_and_saveexec_b64 s[16:17], s[14:15]
	s_cbranch_execz .LBB31_4
; %bb.3:
	v_lshl_add_u64 v[2:3], v[4:5], 3, s[6:7]
	global_load_dwordx2 v[2:3], v[2:3], off offset:8
	s_waitcnt vmcnt(0)
	v_subrev_co_u32_e32 v2, vcc, s33, v2
	s_nop 1
	v_subbrev_co_u32_e32 v3, vcc, 0, v3, vcc
.LBB31_4:
	s_or_b64 exec, exec, s[16:17]
	s_load_dword s14, s[0:1], 0x50
	v_lshl_or_b32 v6, s2, 2, v38
	v_mov_b32_e32 v7, 0
	v_cmp_gt_i64_e32 vcc, s[8:9], v[6:7]
	v_mov_b64_e32 v[4:5], 0
	s_and_saveexec_b64 s[2:3], vcc
	s_cbranch_execz .LBB31_6
; %bb.5:
	s_load_dwordx2 s[6:7], s[0:1], 0x60
	s_waitcnt lgkmcnt(0)
	v_lshl_add_u64 v[4:5], v[6:7], 3, s[6:7]
	global_load_dwordx2 v[4:5], v[4:5], off
	s_waitcnt vmcnt(0)
	v_subrev_co_u32_e32 v4, vcc, s14, v4
	s_nop 1
	v_subbrev_co_u32_e32 v5, vcc, 0, v5, vcc
.LBB31_6:
	s_or_b64 exec, exec, s[2:3]
	v_cmp_lt_i64_e64 s[2:3], s[10:11], 1
	s_and_b64 vcc, exec, s[2:3]
	s_cbranch_vccnz .LBB31_44
; %bb.7:
	s_mul_i32 s2, s12, s13
	s_mul_hi_u32 s3, s12, s12
	s_add_i32 s3, s3, s2
	s_load_dwordx2 s[8:9], s[0:1], 0x68
	s_add_i32 s38, s3, s2
	s_load_dwordx2 s[2:3], s[0:1], 0x58
	s_load_dwordx2 s[16:17], s[0:1], 0x48
	;; [unrolled: 1-line block ×3, first 2 shown]
	s_load_dword s6, s[0:1], 0x0
	v_mad_u64_u32 v[12:13], s[0:1], v10, s12, 0
	v_lshlrev_b32_e32 v1, 8, v38
	v_mov_b32_e32 v14, v13
	v_lshlrev_b32_e32 v8, 2, v10
	v_lshl_or_b32 v39, v10, 4, v1
	v_mad_u64_u32 v[10:11], s[0:1], v10, s13, v[14:15]
	v_and_b32_e32 v0, 3, v0
	v_mov_b32_e32 v13, v10
	s_waitcnt lgkmcnt(0)
	v_lshl_add_u64 v[10:11], v[12:13], 2, s[2:3]
	v_mad_u64_u32 v[12:13], s[0:1], v0, s12, 0
	v_mov_b32_e32 v6, 0
	v_mov_b32_e32 v14, v13
	;; [unrolled: 1-line block ×3, first 2 shown]
	v_mad_u64_u32 v[14:15], s[0:1], v0, s13, v[14:15]
	v_or_b32_e32 v16, 4, v0
	v_lshl_add_u64 v[8:9], s[2:3], 0, v[8:9]
	v_mov_b32_e32 v13, v14
	v_mad_u64_u32 v[14:15], s[2:3], v16, s12, 0
	v_mov_b32_e32 v17, v6
	v_mov_b32_e32 v18, v15
	v_cmp_gt_u64_e64 s[0:1], s[12:13], v[16:17]
	v_mad_u64_u32 v[16:17], s[2:3], v16, s13, v[18:19]
	v_or_b32_e32 v18, 8, v0
	s_cmp_lg_u32 s6, 0
	v_mov_b32_e32 v15, v16
	v_mad_u64_u32 v[16:17], s[6:7], v18, s12, 0
	v_mov_b32_e32 v19, v6
	v_mov_b32_e32 v20, v17
	v_mbcnt_lo_u32_b32 v7, -1, 0
	v_cmp_gt_u64_e64 s[2:3], s[12:13], v[18:19]
	v_mad_u64_u32 v[18:19], s[6:7], v18, s13, v[20:21]
	v_or_b32_e32 v20, 12, v0
	v_mbcnt_hi_u32_b32 v7, -1, v7
	v_mov_b32_e32 v17, v18
	v_mad_u64_u32 v[18:19], s[22:23], v20, s12, 0
	v_mov_b32_e32 v1, v6
	v_lshlrev_b32_e32 v7, 2, v7
	v_mov_b32_e32 v21, v6
	v_mov_b32_e32 v24, v19
	s_mov_b32 s40, 0
	v_or_b32_e32 v40, 12, v7
	v_or_b32_e32 v41, 0xfc, v7
	v_or_b32_e32 v7, v39, v0
	v_cmp_gt_u64_e32 vcc, s[12:13], v[0:1]
	v_cmp_gt_u64_e64 s[6:7], s[12:13], v[20:21]
	v_mad_u64_u32 v[20:21], s[22:23], v20, s13, v[24:25]
	s_mul_i32 s39, s12, s12
	s_mov_b32 s15, s40
	s_cselect_b64 s[20:21], -1, 0
	v_lshlrev_b32_e32 v42, 2, v7
	v_mov_b32_e32 v19, v20
	s_and_b64 s[22:23], s[4:5], vcc
	s_and_b64 s[24:25], s[4:5], s[0:1]
	s_and_b64 s[2:3], s[4:5], s[2:3]
	;; [unrolled: 1-line block ×3, first 2 shown]
	s_mov_b64 s[6:7], 0
	v_mov_b64_e32 v[24:25], 0
	v_mov_b32_e32 v43, 1
	s_branch .LBB31_11
.LBB31_8:                               ;   in Loop: Header=BB31_11 Depth=1
	v_mov_b64_e32 v[28:29], s[0:1]
.LBB31_9:                               ;   in Loop: Header=BB31_11 Depth=1
	s_or_b64 exec, exec, s[28:29]
.LBB31_10:                              ;   in Loop: Header=BB31_11 Depth=1
	s_or_b64 exec, exec, s[26:27]
	v_mov_b32_dpp v24, v20 row_shr:1 row_mask:0xf bank_mask:0xf
	v_mov_b32_dpp v25, v21 row_shr:1 row_mask:0xf bank_mask:0xf
	v_cmp_lt_i64_e32 vcc, v[24:25], v[20:21]
	v_lshl_add_u64 v[4:5], v[28:29], 0, v[4:5]
	s_waitcnt lgkmcnt(0)
	v_cndmask_b32_e32 v21, v21, v25, vcc
	v_cndmask_b32_e32 v20, v20, v24, vcc
	s_nop 0
	v_mov_b32_dpp v25, v21 row_shr:2 row_mask:0xf bank_mask:0xf
	v_mov_b32_dpp v24, v20 row_shr:2 row_mask:0xf bank_mask:0xf
	v_cmp_lt_i64_e32 vcc, v[24:25], v[20:21]
	s_nop 1
	v_cndmask_b32_e32 v21, v21, v25, vcc
	v_cndmask_b32_e32 v20, v20, v24, vcc
	s_nop 0
	v_mov_b32_dpp v25, v21 row_shr:4 row_mask:0xf bank_mask:0xe
	v_mov_b32_dpp v24, v20 row_shr:4 row_mask:0xf bank_mask:0xe
	v_cmp_lt_i64_e32 vcc, v[24:25], v[20:21]
	s_nop 1
	;; [unrolled: 7-line block ×3, first 2 shown]
	v_cndmask_b32_e32 v21, v21, v25, vcc
	v_cndmask_b32_e32 v20, v20, v24, vcc
	s_nop 0
	v_mov_b32_dpp v25, v21 row_bcast:15 row_mask:0xa bank_mask:0xf
	v_mov_b32_dpp v24, v20 row_bcast:15 row_mask:0xa bank_mask:0xf
	v_cmp_lt_i64_e32 vcc, v[24:25], v[20:21]
	s_nop 1
	v_cndmask_b32_e32 v21, v21, v25, vcc
	v_cndmask_b32_e32 v20, v20, v24, vcc
	s_nop 0
	v_mov_b32_dpp v25, v21 row_bcast:31 row_mask:0xc bank_mask:0xf
	v_mov_b32_dpp v24, v20 row_bcast:31 row_mask:0xc bank_mask:0xf
	v_cmp_lt_i64_e32 vcc, v[24:25], v[20:21]
	s_nop 1
	v_cndmask_b32_e32 v7, v21, v25, vcc
	v_cndmask_b32_e32 v20, v20, v24, vcc
	ds_bpermute_b32 v24, v41, v20
	ds_bpermute_b32 v25, v41, v7
	s_waitcnt lgkmcnt(0)
	v_cmp_le_i64_e32 vcc, s[10:11], v[24:25]
	s_or_b64 s[6:7], vcc, s[6:7]
	s_andn2_b64 exec, exec, s[6:7]
	s_cbranch_execz .LBB31_44
.LBB31_11:                              ; =>This Loop Header: Depth=1
                                        ;     Child Loop BB31_14 Depth 2
	v_lshl_add_u64 v[22:23], v[22:23], 0, v[0:1]
	v_cmp_lt_i64_e32 vcc, v[22:23], v[2:3]
	v_mov_b64_e32 v[20:21], s[10:11]
	v_mov_b64_e32 v[36:37], v[2:3]
	ds_write_b8 v38, v6 offset:4096
	ds_write2_b32 v42, v6, v6 offset1:4
	ds_write2_b32 v42, v6, v6 offset0:8 offset1:12
	s_waitcnt lgkmcnt(0)
	s_and_saveexec_b64 s[26:27], vcc
	s_cbranch_execz .LBB31_23
; %bb.12:                               ;   in Loop: Header=BB31_11 Depth=1
	v_mad_u64_u32 v[26:27], s[0:1], v24, s12, 0
	v_lshl_add_u64 v[28:29], v[22:23], 2, s[18:19]
	v_lshl_add_u64 v[30:31], v[22:23], 3, s[16:17]
	s_mov_b64 s[28:29], 0
	v_mov_b64_e32 v[20:21], s[10:11]
	v_mov_b64_e32 v[32:33], v[2:3]
	s_branch .LBB31_14
.LBB31_13:                              ;   in Loop: Header=BB31_14 Depth=2
	s_or_b64 exec, exec, s[0:1]
	v_lshl_add_u64 v[22:23], v[22:23], 0, 4
	v_cmp_ge_i64_e64 s[0:1], v[22:23], v[2:3]
	s_xor_b64 s[30:31], vcc, -1
	s_or_b64 s[0:1], s[30:31], s[0:1]
	s_and_b64 s[0:1], exec, s[0:1]
	v_lshl_add_u64 v[28:29], v[28:29], 0, 16
	v_lshl_add_u64 v[30:31], v[30:31], 0, 32
	s_or_b64 s[28:29], s[0:1], s[28:29]
	v_mov_b64_e32 v[32:33], v[36:37]
	s_andn2_b64 exec, exec, s[28:29]
	s_cbranch_execz .LBB31_22
.LBB31_14:                              ;   Parent Loop BB31_11 Depth=1
                                        ; =>  This Inner Loop Header: Depth=2
	global_load_dwordx2 v[34:35], v[30:31], off
	v_mov_b32_e32 v7, s40
                                        ; implicit-def: $vgpr36_vgpr37
	s_waitcnt vmcnt(0)
	v_subrev_co_u32_e32 v34, vcc, s33, v34
	s_nop 1
	v_subb_co_u32_e32 v35, vcc, v35, v7, vcc
	v_or_b32_e32 v7, s13, v35
	v_cmp_ne_u64_e32 vcc, 0, v[6:7]
	s_and_saveexec_b64 s[0:1], vcc
	s_xor_b64 s[30:31], exec, s[0:1]
	s_cbranch_execz .LBB31_16
; %bb.15:                               ;   in Loop: Header=BB31_14 Depth=2
	s_ashr_i32 s34, s13, 31
	s_add_u32 s0, s12, s34
	s_mov_b32 s35, s34
	s_addc_u32 s1, s13, s34
	s_xor_b64 s[36:37], s[0:1], s[34:35]
	v_cvt_f32_u32_e32 v7, s36
	v_cvt_f32_u32_e32 v27, s37
	s_sub_u32 s0, 0, s36
	s_subb_u32 s1, 0, s37
	v_mov_b32_e32 v45, v6
	v_fmac_f32_e32 v7, 0x4f800000, v27
	v_rcp_f32_e32 v7, v7
	s_nop 0
	v_mul_f32_e32 v7, 0x5f7ffffc, v7
	v_mul_f32_e32 v27, 0x2f800000, v7
	v_trunc_f32_e32 v27, v27
	v_fmac_f32_e32 v7, 0xcf800000, v27
	v_cvt_u32_f32_e32 v27, v27
	v_cvt_u32_f32_e32 v7, v7
	v_mul_lo_u32 v36, s0, v27
	v_mul_hi_u32 v44, s0, v7
	v_mul_lo_u32 v37, s1, v7
	v_add_u32_e32 v36, v44, v36
	v_mul_lo_u32 v46, s0, v7
	v_add_u32_e32 v47, v36, v37
	v_mul_hi_u32 v37, v7, v47
	v_mul_lo_u32 v36, v7, v47
	v_mul_hi_u32 v44, v7, v46
	v_lshl_add_u64 v[36:37], v[44:45], 0, v[36:37]
	v_mul_hi_u32 v45, v27, v46
	v_mul_lo_u32 v46, v27, v46
	v_add_co_u32_e32 v36, vcc, v36, v46
	v_mul_hi_u32 v44, v27, v47
	s_nop 0
	v_addc_co_u32_e32 v36, vcc, v37, v45, vcc
	v_mov_b32_e32 v37, v6
	s_nop 0
	v_addc_co_u32_e32 v45, vcc, 0, v44, vcc
	v_mul_lo_u32 v44, v27, v47
	v_lshl_add_u64 v[36:37], v[36:37], 0, v[44:45]
	v_add_co_u32_e32 v7, vcc, v7, v36
	v_mul_lo_u32 v44, s0, v7
	s_nop 0
	v_addc_co_u32_e32 v27, vcc, v27, v37, vcc
	v_mul_lo_u32 v36, s0, v27
	v_mul_hi_u32 v37, s0, v7
	v_add_u32_e32 v36, v37, v36
	v_mul_lo_u32 v37, s1, v7
	v_add_u32_e32 v46, v36, v37
	v_mul_hi_u32 v48, v27, v44
	v_mul_lo_u32 v49, v27, v44
	v_mul_hi_u32 v37, v7, v46
	v_mul_lo_u32 v36, v7, v46
	v_mul_hi_u32 v44, v7, v44
	v_mov_b32_e32 v45, v6
	v_lshl_add_u64 v[36:37], v[44:45], 0, v[36:37]
	v_add_co_u32_e32 v36, vcc, v36, v49
	v_mul_hi_u32 v47, v27, v46
	s_nop 0
	v_addc_co_u32_e32 v36, vcc, v37, v48, vcc
	v_mul_lo_u32 v44, v27, v46
	s_nop 0
	v_addc_co_u32_e32 v45, vcc, 0, v47, vcc
	v_mov_b32_e32 v37, v6
	v_lshl_add_u64 v[36:37], v[36:37], 0, v[44:45]
	v_add_co_u32_e32 v7, vcc, v7, v36
	v_ashrrev_i32_e32 v36, 31, v35
	s_nop 0
	v_addc_co_u32_e32 v27, vcc, v27, v37, vcc
	v_mov_b32_e32 v37, v36
	v_lshl_add_u64 v[44:45], v[34:35], 0, v[36:37]
	v_xor_b32_e32 v37, v44, v36
	v_xor_b32_e32 v35, v45, v36
	v_mad_u64_u32 v[44:45], s[0:1], v37, v27, 0
	v_mul_hi_u32 v46, v37, v7
	v_mov_b32_e32 v47, v6
	v_lshl_add_u64 v[44:45], v[46:47], 0, v[44:45]
	v_mad_u64_u32 v[48:49], s[0:1], v35, v7, 0
	v_add_co_u32_e32 v7, vcc, v44, v48
	v_mad_u64_u32 v[46:47], s[0:1], v35, v27, 0
	s_nop 0
	v_addc_co_u32_e32 v44, vcc, v45, v49, vcc
	v_mov_b32_e32 v45, v6
	s_nop 0
	v_addc_co_u32_e32 v47, vcc, 0, v47, vcc
	v_lshl_add_u64 v[44:45], v[44:45], 0, v[46:47]
	v_mul_lo_u32 v7, s37, v44
	v_mul_lo_u32 v27, s36, v45
	v_mad_u64_u32 v[46:47], s[0:1], s36, v44, 0
	v_add3_u32 v7, v47, v27, v7
	v_sub_u32_e32 v27, v35, v7
	v_mov_b32_e32 v47, s37
	v_sub_co_u32_e32 v37, vcc, v37, v46
	v_lshl_add_u64 v[48:49], v[44:45], 0, 1
	s_nop 0
	v_subb_co_u32_e64 v27, s[0:1], v27, v47, vcc
	v_subrev_co_u32_e64 v46, s[0:1], s36, v37
	v_subb_co_u32_e32 v7, vcc, v35, v7, vcc
	s_nop 0
	v_subbrev_co_u32_e64 v27, s[0:1], 0, v27, s[0:1]
	v_cmp_le_u32_e64 s[0:1], s37, v27
	v_cmp_le_u32_e32 vcc, s37, v7
	s_nop 0
	v_cndmask_b32_e64 v47, 0, -1, s[0:1]
	v_cmp_le_u32_e64 s[0:1], s36, v46
	v_cndmask_b32_e64 v35, 0, -1, vcc
	v_cmp_le_u32_e32 vcc, s36, v37
	v_cndmask_b32_e64 v46, 0, -1, s[0:1]
	v_cmp_eq_u32_e64 s[0:1], s37, v27
	v_cndmask_b32_e64 v37, 0, -1, vcc
	v_cmp_eq_u32_e32 vcc, s37, v7
	v_cndmask_b32_e64 v27, v47, v46, s[0:1]
	v_lshl_add_u64 v[46:47], v[44:45], 0, 2
	v_cmp_ne_u32_e64 s[0:1], 0, v27
	v_cndmask_b32_e32 v7, v35, v37, vcc
	v_cmp_ne_u32_e32 vcc, 0, v7
	v_cndmask_b32_e64 v27, v49, v47, s[0:1]
	v_xor_b32_e32 v35, s34, v36
	v_cndmask_b32_e32 v7, v45, v27, vcc
	v_cndmask_b32_e64 v27, v48, v46, s[0:1]
	v_cndmask_b32_e32 v27, v44, v27, vcc
	v_xor_b32_e32 v27, v27, v35
	v_xor_b32_e32 v7, v7, v35
	v_sub_co_u32_e32 v36, vcc, v27, v35
	s_nop 1
	v_subb_co_u32_e32 v37, vcc, v7, v35, vcc
.LBB31_16:                              ;   in Loop: Header=BB31_14 Depth=2
	s_andn2_saveexec_b64 s[0:1], s[30:31]
	s_cbranch_execz .LBB31_18
; %bb.17:                               ;   in Loop: Header=BB31_14 Depth=2
	v_cvt_f32_u32_e32 v7, s12
	s_sub_i32 s30, 0, s12
	v_mov_b32_e32 v37, v6
	v_rcp_iflag_f32_e32 v7, v7
	s_nop 0
	v_mul_f32_e32 v7, 0x4f7ffffe, v7
	v_cvt_u32_f32_e32 v7, v7
	v_mul_lo_u32 v27, s30, v7
	v_mul_hi_u32 v27, v7, v27
	v_add_u32_e32 v7, v7, v27
	v_mul_hi_u32 v7, v34, v7
	v_mul_lo_u32 v27, v7, s12
	v_sub_u32_e32 v27, v34, v27
	v_add_u32_e32 v35, 1, v7
	v_subrev_u32_e32 v36, s12, v27
	v_cmp_le_u32_e32 vcc, s12, v27
	s_nop 1
	v_cndmask_b32_e32 v27, v27, v36, vcc
	v_cndmask_b32_e32 v7, v7, v35, vcc
	v_add_u32_e32 v35, 1, v7
	v_cmp_le_u32_e32 vcc, s12, v27
	s_nop 1
	v_cndmask_b32_e32 v36, v7, v35, vcc
.LBB31_18:                              ;   in Loop: Header=BB31_14 Depth=2
	s_or_b64 exec, exec, s[0:1]
	v_cmp_eq_u64_e32 vcc, v[36:37], v[24:25]
	v_cmp_ne_u64_e64 s[0:1], v[36:37], v[24:25]
	s_and_saveexec_b64 s[30:31], s[0:1]
	s_xor_b64 s[30:31], exec, s[30:31]
; %bb.19:                               ;   in Loop: Header=BB31_14 Depth=2
	v_cmp_lt_i64_e64 s[0:1], v[36:37], v[20:21]
                                        ; implicit-def: $vgpr34_vgpr35
                                        ; implicit-def: $vgpr32_vgpr33
	s_nop 1
	v_cndmask_b32_e64 v21, v21, v37, s[0:1]
	v_cndmask_b32_e64 v20, v20, v36, s[0:1]
; %bb.20:                               ;   in Loop: Header=BB31_14 Depth=2
	s_or_saveexec_b64 s[0:1], s[30:31]
	v_mov_b64_e32 v[36:37], v[22:23]
	s_xor_b64 exec, exec, s[0:1]
	s_cbranch_execz .LBB31_13
; %bb.21:                               ;   in Loop: Header=BB31_14 Depth=2
	global_load_dword v7, v[28:29], off
	v_sub_u32_e32 v27, v34, v26
	v_add_lshl_u32 v27, v39, v27, 2
	v_mov_b64_e32 v[36:37], v[32:33]
	ds_write_b8 v38, v43 offset:4096
	s_waitcnt vmcnt(0)
	ds_write_b32 v27, v7
	s_branch .LBB31_13
.LBB31_22:                              ;   in Loop: Header=BB31_11 Depth=1
	s_or_b64 exec, exec, s[28:29]
.LBB31_23:                              ;   in Loop: Header=BB31_11 Depth=1
	s_or_b64 exec, exec, s[26:27]
	v_mov_b32_dpp v22, v36 row_shr:1 row_mask:0xf bank_mask:0xf
	v_mov_b32_dpp v23, v37 row_shr:1 row_mask:0xf bank_mask:0xf
	v_cmp_lt_i64_e32 vcc, v[22:23], v[36:37]
	s_waitcnt lgkmcnt(0)
	v_mov_b64_e32 v[28:29], 0
	v_cndmask_b32_e32 v23, v37, v23, vcc
	v_cndmask_b32_e32 v22, v36, v22, vcc
	s_nop 0
	v_mov_b32_dpp v27, v23 row_shr:2 row_mask:0xf bank_mask:0xf
	v_mov_b32_dpp v26, v22 row_shr:2 row_mask:0xf bank_mask:0xf
	v_cmp_lt_i64_e32 vcc, v[26:27], v[22:23]
	s_nop 1
	v_cndmask_b32_e32 v7, v23, v27, vcc
	ds_read_u8 v27, v38 offset:4096
	v_cndmask_b32_e32 v22, v22, v26, vcc
	ds_bpermute_b32 v22, v40, v22
	ds_bpermute_b32 v23, v40, v7
	s_waitcnt lgkmcnt(2)
	v_and_b32_e32 v7, 1, v27
	v_cmp_eq_u32_e32 vcc, 1, v7
	s_and_saveexec_b64 s[26:27], vcc
	s_cbranch_execz .LBB31_10
; %bb.24:                               ;   in Loop: Header=BB31_11 Depth=1
	v_lshl_add_u64 v[24:25], v[24:25], 0, s[14:15]
	v_lshl_add_u64 v[26:27], v[4:5], 3, s[8:9]
	global_store_dwordx2 v[26:27], v[24:25], off
	v_mul_lo_u32 v7, s38, v4
	v_mul_lo_u32 v26, s39, v5
	v_mad_u64_u32 v[24:25], s[0:1], s39, v4, 0
	v_add3_u32 v25, v25, v26, v7
	v_lshlrev_b64 v[24:25], 2, v[24:25]
	v_lshl_add_u64 v[26:27], v[8:9], 0, v[24:25]
	v_lshl_add_u64 v[24:25], v[10:11], 0, v[24:25]
	s_and_saveexec_b64 s[0:1], s[22:23]
	s_cbranch_execz .LBB31_28
; %bb.25:                               ;   in Loop: Header=BB31_11 Depth=1
	s_and_b64 vcc, exec, s[20:21]
	s_cbranch_vccz .LBB31_39
; %bb.26:                               ;   in Loop: Header=BB31_11 Depth=1
	ds_read_b32 v7, v42
	v_lshl_add_u64 v[28:29], v[12:13], 2, v[26:27]
	s_waitcnt lgkmcnt(0)
	global_store_dword v[28:29], v7, off
	s_cbranch_execnz .LBB31_28
.LBB31_27:                              ;   in Loop: Header=BB31_11 Depth=1
	ds_read_b32 v7, v42
	v_lshlrev_b32_e32 v28, 2, v0
	v_mov_b32_e32 v29, v6
	v_lshl_add_u64 v[28:29], v[24:25], 0, v[28:29]
	s_waitcnt lgkmcnt(0)
	global_store_dword v[28:29], v7, off
.LBB31_28:                              ;   in Loop: Header=BB31_11 Depth=1
	s_or_b64 exec, exec, s[0:1]
	v_cndmask_b32_e64 v7, 0, 1, s[20:21]
	v_cmp_ne_u32_e64 s[0:1], 1, v7
	s_and_saveexec_b64 s[28:29], s[24:25]
	s_cbranch_execz .LBB31_32
; %bb.29:                               ;   in Loop: Header=BB31_11 Depth=1
	s_and_b64 vcc, exec, s[0:1]
	s_cbranch_vccnz .LBB31_40
; %bb.30:                               ;   in Loop: Header=BB31_11 Depth=1
	ds_read_b32 v7, v42 offset:16
	v_lshl_add_u64 v[28:29], v[14:15], 2, v[26:27]
	s_waitcnt lgkmcnt(0)
	global_store_dword v[28:29], v7, off
	s_cbranch_execnz .LBB31_32
.LBB31_31:                              ;   in Loop: Header=BB31_11 Depth=1
	ds_read_b32 v7, v42 offset:16
	v_lshlrev_b32_e32 v28, 2, v0
	v_mov_b32_e32 v29, v6
	v_lshl_add_u64 v[28:29], v[24:25], 0, v[28:29]
	s_waitcnt lgkmcnt(0)
	global_store_dword v[28:29], v7, off offset:16
.LBB31_32:                              ;   in Loop: Header=BB31_11 Depth=1
	s_or_b64 exec, exec, s[28:29]
	s_and_saveexec_b64 s[28:29], s[2:3]
	s_cbranch_execz .LBB31_36
; %bb.33:                               ;   in Loop: Header=BB31_11 Depth=1
	s_and_b64 vcc, exec, s[0:1]
	s_cbranch_vccnz .LBB31_41
; %bb.34:                               ;   in Loop: Header=BB31_11 Depth=1
	ds_read_b32 v7, v42 offset:32
	v_lshl_add_u64 v[28:29], v[16:17], 2, v[26:27]
	s_waitcnt lgkmcnt(0)
	global_store_dword v[28:29], v7, off
	s_cbranch_execnz .LBB31_36
.LBB31_35:                              ;   in Loop: Header=BB31_11 Depth=1
	ds_read_b32 v7, v42 offset:32
	v_lshlrev_b32_e32 v28, 2, v0
	v_mov_b32_e32 v29, v6
	v_lshl_add_u64 v[28:29], v[24:25], 0, v[28:29]
	s_waitcnt lgkmcnt(0)
	global_store_dword v[28:29], v7, off offset:32
.LBB31_36:                              ;   in Loop: Header=BB31_11 Depth=1
	s_or_b64 exec, exec, s[28:29]
	v_mov_b64_e32 v[28:29], 1
	s_and_saveexec_b64 s[28:29], s[4:5]
	s_cbranch_execz .LBB31_9
; %bb.37:                               ;   in Loop: Header=BB31_11 Depth=1
	s_and_b64 vcc, exec, s[0:1]
	s_cbranch_vccnz .LBB31_42
; %bb.38:                               ;   in Loop: Header=BB31_11 Depth=1
	ds_read_b32 v7, v42 offset:48
	v_lshl_add_u64 v[26:27], v[18:19], 2, v[26:27]
	s_mov_b64 s[0:1], 1
	s_waitcnt lgkmcnt(0)
	global_store_dword v[26:27], v7, off
	s_cbranch_execnz .LBB31_8
	s_branch .LBB31_43
.LBB31_39:                              ;   in Loop: Header=BB31_11 Depth=1
	s_branch .LBB31_27
.LBB31_40:                              ;   in Loop: Header=BB31_11 Depth=1
	s_branch .LBB31_31
.LBB31_41:                              ;   in Loop: Header=BB31_11 Depth=1
	s_branch .LBB31_35
.LBB31_42:                              ;   in Loop: Header=BB31_11 Depth=1
                                        ; implicit-def: $sgpr0_sgpr1
.LBB31_43:                              ;   in Loop: Header=BB31_11 Depth=1
	ds_read_b32 v7, v42 offset:48
	v_lshlrev_b32_e32 v26, 2, v0
	v_mov_b32_e32 v27, v6
	v_lshl_add_u64 v[24:25], v[24:25], 0, v[26:27]
	s_mov_b64 s[0:1], 1
	s_waitcnt lgkmcnt(0)
	global_store_dword v[24:25], v7, off offset:48
	s_branch .LBB31_8
.LBB31_44:
	s_endpgm
	.section	.rodata,"a",@progbits
	.p2align	6, 0x0
	.amdhsa_kernel _ZN9rocsparseL42csr2bsr_wavefront_per_row_multipass_kernelILj256ELj64ELj16EillEEv20rocsparse_direction_T4_S2_S2_S2_S2_21rocsparse_index_base_PKT2_PKT3_PKS2_S3_PS4_PS7_PS2_
		.amdhsa_group_segment_fixed_size 4100
		.amdhsa_private_segment_fixed_size 0
		.amdhsa_kernarg_size 112
		.amdhsa_user_sgpr_count 2
		.amdhsa_user_sgpr_dispatch_ptr 0
		.amdhsa_user_sgpr_queue_ptr 0
		.amdhsa_user_sgpr_kernarg_segment_ptr 1
		.amdhsa_user_sgpr_dispatch_id 0
		.amdhsa_user_sgpr_kernarg_preload_length 0
		.amdhsa_user_sgpr_kernarg_preload_offset 0
		.amdhsa_user_sgpr_private_segment_size 0
		.amdhsa_uses_dynamic_stack 0
		.amdhsa_enable_private_segment 0
		.amdhsa_system_sgpr_workgroup_id_x 1
		.amdhsa_system_sgpr_workgroup_id_y 0
		.amdhsa_system_sgpr_workgroup_id_z 0
		.amdhsa_system_sgpr_workgroup_info 0
		.amdhsa_system_vgpr_workitem_id 0
		.amdhsa_next_free_vgpr 50
		.amdhsa_next_free_sgpr 41
		.amdhsa_accum_offset 52
		.amdhsa_reserve_vcc 1
		.amdhsa_float_round_mode_32 0
		.amdhsa_float_round_mode_16_64 0
		.amdhsa_float_denorm_mode_32 3
		.amdhsa_float_denorm_mode_16_64 3
		.amdhsa_dx10_clamp 1
		.amdhsa_ieee_mode 1
		.amdhsa_fp16_overflow 0
		.amdhsa_tg_split 0
		.amdhsa_exception_fp_ieee_invalid_op 0
		.amdhsa_exception_fp_denorm_src 0
		.amdhsa_exception_fp_ieee_div_zero 0
		.amdhsa_exception_fp_ieee_overflow 0
		.amdhsa_exception_fp_ieee_underflow 0
		.amdhsa_exception_fp_ieee_inexact 0
		.amdhsa_exception_int_div_zero 0
	.end_amdhsa_kernel
	.section	.text._ZN9rocsparseL42csr2bsr_wavefront_per_row_multipass_kernelILj256ELj64ELj16EillEEv20rocsparse_direction_T4_S2_S2_S2_S2_21rocsparse_index_base_PKT2_PKT3_PKS2_S3_PS4_PS7_PS2_,"axG",@progbits,_ZN9rocsparseL42csr2bsr_wavefront_per_row_multipass_kernelILj256ELj64ELj16EillEEv20rocsparse_direction_T4_S2_S2_S2_S2_21rocsparse_index_base_PKT2_PKT3_PKS2_S3_PS4_PS7_PS2_,comdat
.Lfunc_end31:
	.size	_ZN9rocsparseL42csr2bsr_wavefront_per_row_multipass_kernelILj256ELj64ELj16EillEEv20rocsparse_direction_T4_S2_S2_S2_S2_21rocsparse_index_base_PKT2_PKT3_PKS2_S3_PS4_PS7_PS2_, .Lfunc_end31-_ZN9rocsparseL42csr2bsr_wavefront_per_row_multipass_kernelILj256ELj64ELj16EillEEv20rocsparse_direction_T4_S2_S2_S2_S2_21rocsparse_index_base_PKT2_PKT3_PKS2_S3_PS4_PS7_PS2_
                                        ; -- End function
	.section	.AMDGPU.csdata,"",@progbits
; Kernel info:
; codeLenInByte = 2732
; NumSgprs: 47
; NumVgprs: 50
; NumAgprs: 0
; TotalNumVgprs: 50
; ScratchSize: 0
; MemoryBound: 0
; FloatMode: 240
; IeeeMode: 1
; LDSByteSize: 4100 bytes/workgroup (compile time only)
; SGPRBlocks: 5
; VGPRBlocks: 6
; NumSGPRsForWavesPerEU: 47
; NumVGPRsForWavesPerEU: 50
; AccumOffset: 52
; Occupancy: 8
; WaveLimiterHint : 0
; COMPUTE_PGM_RSRC2:SCRATCH_EN: 0
; COMPUTE_PGM_RSRC2:USER_SGPR: 2
; COMPUTE_PGM_RSRC2:TRAP_HANDLER: 0
; COMPUTE_PGM_RSRC2:TGID_X_EN: 1
; COMPUTE_PGM_RSRC2:TGID_Y_EN: 0
; COMPUTE_PGM_RSRC2:TGID_Z_EN: 0
; COMPUTE_PGM_RSRC2:TIDIG_COMP_CNT: 0
; COMPUTE_PGM_RSRC3_GFX90A:ACCUM_OFFSET: 12
; COMPUTE_PGM_RSRC3_GFX90A:TG_SPLIT: 0
	.section	.text._ZN9rocsparseL42csr2bsr_wavefront_per_row_multipass_kernelILj256ELj32ELj16EillEEv20rocsparse_direction_T4_S2_S2_S2_S2_21rocsparse_index_base_PKT2_PKT3_PKS2_S3_PS4_PS7_PS2_,"axG",@progbits,_ZN9rocsparseL42csr2bsr_wavefront_per_row_multipass_kernelILj256ELj32ELj16EillEEv20rocsparse_direction_T4_S2_S2_S2_S2_21rocsparse_index_base_PKT2_PKT3_PKS2_S3_PS4_PS7_PS2_,comdat
	.globl	_ZN9rocsparseL42csr2bsr_wavefront_per_row_multipass_kernelILj256ELj32ELj16EillEEv20rocsparse_direction_T4_S2_S2_S2_S2_21rocsparse_index_base_PKT2_PKT3_PKS2_S3_PS4_PS7_PS2_ ; -- Begin function _ZN9rocsparseL42csr2bsr_wavefront_per_row_multipass_kernelILj256ELj32ELj16EillEEv20rocsparse_direction_T4_S2_S2_S2_S2_21rocsparse_index_base_PKT2_PKT3_PKS2_S3_PS4_PS7_PS2_
	.p2align	8
	.type	_ZN9rocsparseL42csr2bsr_wavefront_per_row_multipass_kernelILj256ELj32ELj16EillEEv20rocsparse_direction_T4_S2_S2_S2_S2_21rocsparse_index_base_PKT2_PKT3_PKS2_S3_PS4_PS7_PS2_,@function
_ZN9rocsparseL42csr2bsr_wavefront_per_row_multipass_kernelILj256ELj32ELj16EillEEv20rocsparse_direction_T4_S2_S2_S2_S2_21rocsparse_index_base_PKT2_PKT3_PKS2_S3_PS4_PS7_PS2_: ; @_ZN9rocsparseL42csr2bsr_wavefront_per_row_multipass_kernelILj256ELj32ELj16EillEEv20rocsparse_direction_T4_S2_S2_S2_S2_21rocsparse_index_base_PKT2_PKT3_PKS2_S3_PS4_PS7_PS2_
; %bb.0:
	s_load_dwordx2 s[4:5], s[0:1], 0x8
	s_load_dwordx4 s[16:19], s[0:1], 0x18
	s_load_dwordx2 s[20:21], s[0:1], 0x28
	s_load_dword s33, s[0:1], 0x30
	s_load_dwordx2 s[6:7], s[0:1], 0x40
	s_ashr_i32 s3, s2, 31
	v_lshrrev_b32_e32 v46, 5, v0
	s_lshl_b64 s[8:9], s[2:3], 3
	v_bfe_u32 v10, v0, 1, 4
	v_mov_b32_e32 v11, 0
	v_or_b32_e32 v1, s8, v46
	s_waitcnt lgkmcnt(0)
	v_mul_lo_u32 v2, v1, s21
	v_mad_u64_u32 v[4:5], s[10:11], v1, s20, v[10:11]
	s_mul_i32 s3, s9, s20
	v_add3_u32 v5, s3, v5, v2
	v_cmp_gt_i64_e32 vcc, s[4:5], v[4:5]
	v_cmp_gt_i64_e64 s[4:5], s[20:21], v[10:11]
	v_mov_b64_e32 v[2:3], 0
	s_and_b64 s[8:9], s[4:5], vcc
	v_mov_b64_e32 v[30:31], v[2:3]
	s_and_saveexec_b64 s[10:11], s[8:9]
	s_cbranch_execz .LBB32_2
; %bb.1:
	v_lshl_add_u64 v[6:7], v[4:5], 3, s[6:7]
	global_load_dwordx2 v[6:7], v[6:7], off
	s_waitcnt vmcnt(0)
	v_subrev_co_u32_e32 v30, vcc, s33, v6
	s_nop 1
	v_subbrev_co_u32_e32 v31, vcc, 0, v7, vcc
.LBB32_2:
	s_or_b64 exec, exec, s[10:11]
	s_and_saveexec_b64 s[10:11], s[8:9]
	s_cbranch_execz .LBB32_4
; %bb.3:
	v_lshl_add_u64 v[2:3], v[4:5], 3, s[6:7]
	global_load_dwordx2 v[2:3], v[2:3], off offset:8
	s_waitcnt vmcnt(0)
	v_subrev_co_u32_e32 v2, vcc, s33, v2
	s_nop 1
	v_subbrev_co_u32_e32 v3, vcc, 0, v3, vcc
.LBB32_4:
	s_or_b64 exec, exec, s[10:11]
	s_load_dword s22, s[0:1], 0x50
	v_lshl_or_b32 v6, s2, 3, v46
	v_mov_b32_e32 v7, 0
	v_cmp_gt_i64_e32 vcc, s[16:17], v[6:7]
	v_mov_b64_e32 v[4:5], 0
	s_and_saveexec_b64 s[2:3], vcc
	s_cbranch_execz .LBB32_6
; %bb.5:
	s_load_dwordx2 s[6:7], s[0:1], 0x60
	s_waitcnt lgkmcnt(0)
	v_lshl_add_u64 v[4:5], v[6:7], 3, s[6:7]
	global_load_dwordx2 v[4:5], v[4:5], off
	s_waitcnt vmcnt(0)
	v_subrev_co_u32_e32 v4, vcc, s22, v4
	s_nop 1
	v_subbrev_co_u32_e32 v5, vcc, 0, v5, vcc
.LBB32_6:
	s_or_b64 exec, exec, s[2:3]
	v_cmp_lt_i64_e64 s[2:3], s[18:19], 1
	s_and_b64 vcc, exec, s[2:3]
	s_cbranch_vccnz .LBB32_64
; %bb.7:
	s_mul_i32 s2, s20, s21
	s_mul_hi_u32 s3, s20, s20
	s_add_i32 s3, s3, s2
	s_load_dwordx2 s[16:17], s[0:1], 0x68
	s_add_i32 s46, s3, s2
	s_load_dwordx2 s[2:3], s[0:1], 0x58
	s_load_dwordx2 s[24:25], s[0:1], 0x48
	;; [unrolled: 1-line block ×3, first 2 shown]
	s_load_dword s6, s[0:1], 0x0
	v_mad_u64_u32 v[12:13], s[0:1], v10, s20, 0
	v_lshlrev_b32_e32 v1, 8, v46
	v_mov_b32_e32 v14, v13
	v_lshlrev_b32_e32 v8, 2, v10
	v_mov_b32_e32 v6, 0
	v_and_b32_e32 v0, 1, v0
	v_lshl_or_b32 v47, v10, 4, v1
	v_mad_u64_u32 v[10:11], s[0:1], v10, s21, v[14:15]
	v_mov_b32_e32 v9, v6
	v_mov_b32_e32 v13, v10
	v_or_b32_e32 v16, 2, v0
	s_waitcnt lgkmcnt(0)
	v_lshl_add_u64 v[8:9], s[2:3], 0, v[8:9]
	v_lshl_add_u64 v[10:11], v[12:13], 2, s[2:3]
	v_mad_u64_u32 v[14:15], s[2:3], v16, s20, 0
	v_mov_b32_e32 v17, v6
	v_mov_b32_e32 v18, v15
	v_cmp_gt_u64_e64 s[0:1], s[20:21], v[16:17]
	v_mad_u64_u32 v[16:17], s[2:3], v16, s21, v[18:19]
	v_or_b32_e32 v18, 4, v0
	s_cmp_lg_u32 s6, 0
	v_mov_b32_e32 v15, v16
	v_mad_u64_u32 v[16:17], s[6:7], v18, s20, 0
	v_mov_b32_e32 v19, v6
	v_mov_b32_e32 v20, v17
	v_cmp_gt_u64_e64 s[2:3], s[20:21], v[18:19]
	v_mad_u64_u32 v[18:19], s[6:7], v18, s21, v[20:21]
	v_or_b32_e32 v20, 6, v0
	v_mov_b32_e32 v17, v18
	v_mad_u64_u32 v[18:19], s[8:9], v20, s20, 0
	v_mov_b32_e32 v21, v6
	v_mov_b32_e32 v22, v19
	v_cmp_gt_u64_e64 s[6:7], s[20:21], v[20:21]
	v_mad_u64_u32 v[20:21], s[8:9], v20, s21, v[22:23]
	v_or_b32_e32 v22, 8, v0
	v_mov_b32_e32 v19, v20
	v_mad_u64_u32 v[20:21], s[10:11], v22, s20, 0
	v_mov_b32_e32 v23, v6
	v_mov_b32_e32 v24, v21
	v_cmp_gt_u64_e64 s[8:9], s[20:21], v[22:23]
	v_mad_u64_u32 v[22:23], s[10:11], v22, s21, v[24:25]
	v_or_b32_e32 v24, 10, v0
	v_mov_b32_e32 v21, v22
	v_mad_u64_u32 v[22:23], s[12:13], v24, s20, 0
	v_mov_b32_e32 v25, v6
	v_mov_b32_e32 v26, v23
	v_cmp_gt_u64_e64 s[10:11], s[20:21], v[24:25]
	v_mad_u64_u32 v[24:25], s[12:13], v24, s21, v[26:27]
	v_or_b32_e32 v26, 12, v0
	v_mov_b32_e32 v23, v24
	v_mad_u64_u32 v[24:25], s[14:15], v26, s20, 0
	v_mov_b32_e32 v27, v6
	v_mov_b32_e32 v28, v25
	v_mbcnt_lo_u32_b32 v7, -1, 0
	v_cmp_gt_u64_e64 s[12:13], s[20:21], v[26:27]
	v_mad_u64_u32 v[26:27], s[14:15], v26, s21, v[28:29]
	v_or_b32_e32 v28, 14, v0
	v_mbcnt_hi_u32_b32 v7, -1, v7
	v_mov_b32_e32 v25, v26
	v_mad_u64_u32 v[26:27], s[30:31], v28, s20, 0
	v_mov_b32_e32 v1, v6
	v_lshlrev_b32_e32 v7, 2, v7
	v_mov_b32_e32 v29, v6
	v_mov_b32_e32 v32, v27
	s_mov_b32 s48, 0
	v_or_b32_e32 v48, 4, v7
	v_or_b32_e32 v49, 0x7c, v7
	;; [unrolled: 1-line block ×3, first 2 shown]
	v_cmp_gt_u64_e32 vcc, s[20:21], v[0:1]
	v_cmp_gt_u64_e64 s[14:15], s[20:21], v[28:29]
	v_mad_u64_u32 v[28:29], s[30:31], v28, s21, v[32:33]
	s_mul_i32 s47, s20, s20
	s_mov_b32 s23, s48
	s_cselect_b64 s[28:29], -1, 0
	v_lshlrev_b32_e32 v50, 2, v7
	v_mul_lo_u32 v13, v0, s21
	v_mul_lo_u32 v12, v0, s20
	v_mov_b32_e32 v27, v28
	s_and_b64 s[30:31], s[4:5], vcc
	s_and_b64 s[34:35], s[4:5], s[0:1]
	s_and_b64 s[2:3], s[4:5], s[2:3]
	;; [unrolled: 1-line block ×7, first 2 shown]
	s_mov_b64 s[14:15], 0
	v_mov_b64_e32 v[32:33], 0
	v_mov_b32_e32 v51, 1
	s_branch .LBB32_11
.LBB32_8:                               ;   in Loop: Header=BB32_11 Depth=1
	v_mov_b64_e32 v[36:37], s[0:1]
.LBB32_9:                               ;   in Loop: Header=BB32_11 Depth=1
	s_or_b64 exec, exec, s[38:39]
.LBB32_10:                              ;   in Loop: Header=BB32_11 Depth=1
	s_or_b64 exec, exec, s[36:37]
	v_mov_b32_dpp v32, v28 row_shr:1 row_mask:0xf bank_mask:0xf
	v_mov_b32_dpp v33, v29 row_shr:1 row_mask:0xf bank_mask:0xf
	v_cmp_lt_i64_e32 vcc, v[32:33], v[28:29]
	v_lshl_add_u64 v[4:5], v[36:37], 0, v[4:5]
	s_waitcnt lgkmcnt(0)
	v_cndmask_b32_e32 v29, v29, v33, vcc
	v_cndmask_b32_e32 v28, v28, v32, vcc
	s_nop 0
	v_mov_b32_dpp v33, v29 row_shr:2 row_mask:0xf bank_mask:0xf
	v_mov_b32_dpp v32, v28 row_shr:2 row_mask:0xf bank_mask:0xf
	v_cmp_lt_i64_e32 vcc, v[32:33], v[28:29]
	s_nop 1
	v_cndmask_b32_e32 v29, v29, v33, vcc
	v_cndmask_b32_e32 v28, v28, v32, vcc
	s_nop 0
	v_mov_b32_dpp v33, v29 row_shr:4 row_mask:0xf bank_mask:0xe
	v_mov_b32_dpp v32, v28 row_shr:4 row_mask:0xf bank_mask:0xe
	v_cmp_lt_i64_e32 vcc, v[32:33], v[28:29]
	s_nop 1
	v_cndmask_b32_e32 v29, v29, v33, vcc
	v_cndmask_b32_e32 v28, v28, v32, vcc
	s_nop 0
	v_mov_b32_dpp v33, v29 row_shr:8 row_mask:0xf bank_mask:0xc
	v_mov_b32_dpp v32, v28 row_shr:8 row_mask:0xf bank_mask:0xc
	v_cmp_lt_i64_e32 vcc, v[32:33], v[28:29]
	s_nop 1
	v_cndmask_b32_e32 v29, v29, v33, vcc
	v_cndmask_b32_e32 v28, v28, v32, vcc
	s_nop 0
	v_mov_b32_dpp v33, v29 row_bcast:15 row_mask:0xa bank_mask:0xf
	v_mov_b32_dpp v32, v28 row_bcast:15 row_mask:0xa bank_mask:0xf
	v_cmp_lt_i64_e32 vcc, v[32:33], v[28:29]
	s_nop 1
	v_cndmask_b32_e32 v7, v29, v33, vcc
	v_cndmask_b32_e32 v28, v28, v32, vcc
	ds_bpermute_b32 v32, v49, v28
	ds_bpermute_b32 v33, v49, v7
	s_waitcnt lgkmcnt(0)
	v_cmp_le_i64_e32 vcc, s[18:19], v[32:33]
	s_or_b64 s[14:15], vcc, s[14:15]
	s_andn2_b64 exec, exec, s[14:15]
	s_cbranch_execz .LBB32_64
.LBB32_11:                              ; =>This Loop Header: Depth=1
                                        ;     Child Loop BB32_14 Depth 2
	v_lshl_add_u64 v[30:31], v[30:31], 0, v[0:1]
	v_cmp_lt_i64_e32 vcc, v[30:31], v[2:3]
	v_mov_b64_e32 v[28:29], s[18:19]
	v_mov_b64_e32 v[44:45], v[2:3]
	ds_write_b8 v46, v6 offset:8192
	ds_write2_b32 v50, v6, v6 offset1:2
	ds_write2_b32 v50, v6, v6 offset0:4 offset1:6
	ds_write2_b32 v50, v6, v6 offset0:8 offset1:10
	;; [unrolled: 1-line block ×3, first 2 shown]
	s_waitcnt lgkmcnt(0)
	s_and_saveexec_b64 s[36:37], vcc
	s_cbranch_execz .LBB32_23
; %bb.12:                               ;   in Loop: Header=BB32_11 Depth=1
	v_mad_u64_u32 v[34:35], s[0:1], v32, s20, 0
	v_lshl_add_u64 v[36:37], v[30:31], 2, s[26:27]
	v_lshl_add_u64 v[38:39], v[30:31], 3, s[24:25]
	s_mov_b64 s[38:39], 0
	v_mov_b64_e32 v[28:29], s[18:19]
	v_mov_b64_e32 v[40:41], v[2:3]
	s_branch .LBB32_14
.LBB32_13:                              ;   in Loop: Header=BB32_14 Depth=2
	s_or_b64 exec, exec, s[0:1]
	v_lshl_add_u64 v[30:31], v[30:31], 0, 2
	v_cmp_ge_i64_e64 s[0:1], v[30:31], v[2:3]
	s_xor_b64 s[40:41], vcc, -1
	s_or_b64 s[0:1], s[40:41], s[0:1]
	s_and_b64 s[0:1], exec, s[0:1]
	v_lshl_add_u64 v[36:37], v[36:37], 0, 8
	v_lshl_add_u64 v[38:39], v[38:39], 0, 16
	s_or_b64 s[38:39], s[0:1], s[38:39]
	v_mov_b64_e32 v[40:41], v[44:45]
	s_andn2_b64 exec, exec, s[38:39]
	s_cbranch_execz .LBB32_22
.LBB32_14:                              ;   Parent Loop BB32_11 Depth=1
                                        ; =>  This Inner Loop Header: Depth=2
	global_load_dwordx2 v[42:43], v[38:39], off
	v_mov_b32_e32 v7, s48
                                        ; implicit-def: $vgpr44_vgpr45
	s_waitcnt vmcnt(0)
	v_subrev_co_u32_e32 v42, vcc, s33, v42
	s_nop 1
	v_subb_co_u32_e32 v43, vcc, v43, v7, vcc
	v_or_b32_e32 v7, s21, v43
	v_cmp_ne_u64_e32 vcc, 0, v[6:7]
	s_and_saveexec_b64 s[0:1], vcc
	s_xor_b64 s[40:41], exec, s[0:1]
	s_cbranch_execz .LBB32_16
; %bb.15:                               ;   in Loop: Header=BB32_14 Depth=2
	s_ashr_i32 s42, s21, 31
	s_add_u32 s0, s20, s42
	s_mov_b32 s43, s42
	s_addc_u32 s1, s21, s42
	s_xor_b64 s[44:45], s[0:1], s[42:43]
	v_cvt_f32_u32_e32 v7, s44
	v_cvt_f32_u32_e32 v35, s45
	s_sub_u32 s0, 0, s44
	s_subb_u32 s1, 0, s45
	v_mov_b32_e32 v53, v6
	v_fmac_f32_e32 v7, 0x4f800000, v35
	v_rcp_f32_e32 v7, v7
	s_nop 0
	v_mul_f32_e32 v7, 0x5f7ffffc, v7
	v_mul_f32_e32 v35, 0x2f800000, v7
	v_trunc_f32_e32 v35, v35
	v_fmac_f32_e32 v7, 0xcf800000, v35
	v_cvt_u32_f32_e32 v35, v35
	v_cvt_u32_f32_e32 v7, v7
	v_mul_lo_u32 v44, s0, v35
	v_mul_hi_u32 v52, s0, v7
	v_mul_lo_u32 v45, s1, v7
	v_add_u32_e32 v44, v52, v44
	v_mul_lo_u32 v54, s0, v7
	v_add_u32_e32 v55, v44, v45
	v_mul_hi_u32 v45, v7, v55
	v_mul_lo_u32 v44, v7, v55
	v_mul_hi_u32 v52, v7, v54
	v_lshl_add_u64 v[44:45], v[52:53], 0, v[44:45]
	v_mul_hi_u32 v53, v35, v54
	v_mul_lo_u32 v54, v35, v54
	v_add_co_u32_e32 v44, vcc, v44, v54
	v_mul_hi_u32 v52, v35, v55
	s_nop 0
	v_addc_co_u32_e32 v44, vcc, v45, v53, vcc
	v_mov_b32_e32 v45, v6
	s_nop 0
	v_addc_co_u32_e32 v53, vcc, 0, v52, vcc
	v_mul_lo_u32 v52, v35, v55
	v_lshl_add_u64 v[44:45], v[44:45], 0, v[52:53]
	v_add_co_u32_e32 v7, vcc, v7, v44
	v_mul_lo_u32 v52, s0, v7
	s_nop 0
	v_addc_co_u32_e32 v35, vcc, v35, v45, vcc
	v_mul_lo_u32 v44, s0, v35
	v_mul_hi_u32 v45, s0, v7
	v_add_u32_e32 v44, v45, v44
	v_mul_lo_u32 v45, s1, v7
	v_add_u32_e32 v54, v44, v45
	v_mul_hi_u32 v56, v35, v52
	v_mul_lo_u32 v57, v35, v52
	v_mul_hi_u32 v45, v7, v54
	v_mul_lo_u32 v44, v7, v54
	v_mul_hi_u32 v52, v7, v52
	v_mov_b32_e32 v53, v6
	v_lshl_add_u64 v[44:45], v[52:53], 0, v[44:45]
	v_add_co_u32_e32 v44, vcc, v44, v57
	v_mul_hi_u32 v55, v35, v54
	s_nop 0
	v_addc_co_u32_e32 v44, vcc, v45, v56, vcc
	v_mul_lo_u32 v52, v35, v54
	s_nop 0
	v_addc_co_u32_e32 v53, vcc, 0, v55, vcc
	v_mov_b32_e32 v45, v6
	v_lshl_add_u64 v[44:45], v[44:45], 0, v[52:53]
	v_add_co_u32_e32 v7, vcc, v7, v44
	v_ashrrev_i32_e32 v44, 31, v43
	s_nop 0
	v_addc_co_u32_e32 v35, vcc, v35, v45, vcc
	v_mov_b32_e32 v45, v44
	v_lshl_add_u64 v[52:53], v[42:43], 0, v[44:45]
	v_xor_b32_e32 v45, v52, v44
	v_xor_b32_e32 v43, v53, v44
	v_mad_u64_u32 v[52:53], s[0:1], v45, v35, 0
	v_mul_hi_u32 v54, v45, v7
	v_mov_b32_e32 v55, v6
	v_lshl_add_u64 v[52:53], v[54:55], 0, v[52:53]
	v_mad_u64_u32 v[56:57], s[0:1], v43, v7, 0
	v_add_co_u32_e32 v7, vcc, v52, v56
	v_mad_u64_u32 v[54:55], s[0:1], v43, v35, 0
	s_nop 0
	v_addc_co_u32_e32 v52, vcc, v53, v57, vcc
	v_mov_b32_e32 v53, v6
	s_nop 0
	v_addc_co_u32_e32 v55, vcc, 0, v55, vcc
	v_lshl_add_u64 v[52:53], v[52:53], 0, v[54:55]
	v_mul_lo_u32 v7, s45, v52
	v_mul_lo_u32 v35, s44, v53
	v_mad_u64_u32 v[54:55], s[0:1], s44, v52, 0
	v_add3_u32 v7, v55, v35, v7
	v_sub_u32_e32 v35, v43, v7
	v_mov_b32_e32 v55, s45
	v_sub_co_u32_e32 v45, vcc, v45, v54
	v_lshl_add_u64 v[56:57], v[52:53], 0, 1
	s_nop 0
	v_subb_co_u32_e64 v35, s[0:1], v35, v55, vcc
	v_subrev_co_u32_e64 v54, s[0:1], s44, v45
	v_subb_co_u32_e32 v7, vcc, v43, v7, vcc
	s_nop 0
	v_subbrev_co_u32_e64 v35, s[0:1], 0, v35, s[0:1]
	v_cmp_le_u32_e64 s[0:1], s45, v35
	v_cmp_le_u32_e32 vcc, s45, v7
	s_nop 0
	v_cndmask_b32_e64 v55, 0, -1, s[0:1]
	v_cmp_le_u32_e64 s[0:1], s44, v54
	v_cndmask_b32_e64 v43, 0, -1, vcc
	v_cmp_le_u32_e32 vcc, s44, v45
	v_cndmask_b32_e64 v54, 0, -1, s[0:1]
	v_cmp_eq_u32_e64 s[0:1], s45, v35
	v_cndmask_b32_e64 v45, 0, -1, vcc
	v_cmp_eq_u32_e32 vcc, s45, v7
	v_cndmask_b32_e64 v35, v55, v54, s[0:1]
	v_lshl_add_u64 v[54:55], v[52:53], 0, 2
	v_cmp_ne_u32_e64 s[0:1], 0, v35
	v_cndmask_b32_e32 v7, v43, v45, vcc
	v_cmp_ne_u32_e32 vcc, 0, v7
	v_cndmask_b32_e64 v35, v57, v55, s[0:1]
	v_xor_b32_e32 v43, s42, v44
	v_cndmask_b32_e32 v7, v53, v35, vcc
	v_cndmask_b32_e64 v35, v56, v54, s[0:1]
	v_cndmask_b32_e32 v35, v52, v35, vcc
	v_xor_b32_e32 v35, v35, v43
	v_xor_b32_e32 v7, v7, v43
	v_sub_co_u32_e32 v44, vcc, v35, v43
	s_nop 1
	v_subb_co_u32_e32 v45, vcc, v7, v43, vcc
.LBB32_16:                              ;   in Loop: Header=BB32_14 Depth=2
	s_andn2_saveexec_b64 s[0:1], s[40:41]
	s_cbranch_execz .LBB32_18
; %bb.17:                               ;   in Loop: Header=BB32_14 Depth=2
	v_cvt_f32_u32_e32 v7, s20
	s_sub_i32 s40, 0, s20
	v_mov_b32_e32 v45, v6
	v_rcp_iflag_f32_e32 v7, v7
	s_nop 0
	v_mul_f32_e32 v7, 0x4f7ffffe, v7
	v_cvt_u32_f32_e32 v7, v7
	v_mul_lo_u32 v35, s40, v7
	v_mul_hi_u32 v35, v7, v35
	v_add_u32_e32 v7, v7, v35
	v_mul_hi_u32 v7, v42, v7
	v_mul_lo_u32 v35, v7, s20
	v_sub_u32_e32 v35, v42, v35
	v_add_u32_e32 v43, 1, v7
	v_subrev_u32_e32 v44, s20, v35
	v_cmp_le_u32_e32 vcc, s20, v35
	s_nop 1
	v_cndmask_b32_e32 v35, v35, v44, vcc
	v_cndmask_b32_e32 v7, v7, v43, vcc
	v_add_u32_e32 v43, 1, v7
	v_cmp_le_u32_e32 vcc, s20, v35
	s_nop 1
	v_cndmask_b32_e32 v44, v7, v43, vcc
.LBB32_18:                              ;   in Loop: Header=BB32_14 Depth=2
	s_or_b64 exec, exec, s[0:1]
	v_cmp_eq_u64_e32 vcc, v[44:45], v[32:33]
	v_cmp_ne_u64_e64 s[0:1], v[44:45], v[32:33]
	s_and_saveexec_b64 s[40:41], s[0:1]
	s_xor_b64 s[40:41], exec, s[40:41]
; %bb.19:                               ;   in Loop: Header=BB32_14 Depth=2
	v_cmp_lt_i64_e64 s[0:1], v[44:45], v[28:29]
                                        ; implicit-def: $vgpr42_vgpr43
                                        ; implicit-def: $vgpr40_vgpr41
	s_nop 1
	v_cndmask_b32_e64 v29, v29, v45, s[0:1]
	v_cndmask_b32_e64 v28, v28, v44, s[0:1]
; %bb.20:                               ;   in Loop: Header=BB32_14 Depth=2
	s_or_saveexec_b64 s[0:1], s[40:41]
	v_mov_b64_e32 v[44:45], v[30:31]
	s_xor_b64 exec, exec, s[0:1]
	s_cbranch_execz .LBB32_13
; %bb.21:                               ;   in Loop: Header=BB32_14 Depth=2
	global_load_dword v7, v[36:37], off
	v_sub_u32_e32 v35, v42, v34
	v_add_lshl_u32 v35, v47, v35, 2
	v_mov_b64_e32 v[44:45], v[40:41]
	ds_write_b8 v46, v51 offset:8192
	s_waitcnt vmcnt(0)
	ds_write_b32 v35, v7
	s_branch .LBB32_13
.LBB32_22:                              ;   in Loop: Header=BB32_11 Depth=1
	s_or_b64 exec, exec, s[38:39]
.LBB32_23:                              ;   in Loop: Header=BB32_11 Depth=1
	s_or_b64 exec, exec, s[36:37]
	v_mov_b32_dpp v30, v44 row_shr:1 row_mask:0xf bank_mask:0xf
	v_mov_b32_dpp v31, v45 row_shr:1 row_mask:0xf bank_mask:0xf
	s_waitcnt lgkmcnt(0)
	v_cmp_lt_i64_e32 vcc, v[30:31], v[44:45]
	ds_read_u8 v34, v46 offset:8192
	v_mov_b64_e32 v[36:37], 0
	v_cndmask_b32_e32 v7, v45, v31, vcc
	v_cndmask_b32_e32 v30, v44, v30, vcc
	ds_bpermute_b32 v30, v48, v30
	ds_bpermute_b32 v31, v48, v7
	s_waitcnt lgkmcnt(2)
	v_and_b32_e32 v7, 1, v34
	v_cmp_eq_u32_e32 vcc, 1, v7
	s_and_saveexec_b64 s[36:37], vcc
	s_cbranch_execz .LBB32_10
; %bb.24:                               ;   in Loop: Header=BB32_11 Depth=1
	v_lshl_add_u64 v[32:33], v[32:33], 0, s[22:23]
	v_lshl_add_u64 v[34:35], v[4:5], 3, s[16:17]
	global_store_dwordx2 v[34:35], v[32:33], off
	v_mul_lo_u32 v7, s46, v4
	v_mul_lo_u32 v34, s47, v5
	v_mad_u64_u32 v[32:33], s[0:1], s47, v4, 0
	v_add3_u32 v33, v33, v34, v7
	v_lshlrev_b64 v[32:33], 2, v[32:33]
	v_lshl_add_u64 v[34:35], v[8:9], 0, v[32:33]
	v_lshl_add_u64 v[32:33], v[10:11], 0, v[32:33]
	s_and_saveexec_b64 s[0:1], s[30:31]
	s_cbranch_execz .LBB32_28
; %bb.25:                               ;   in Loop: Header=BB32_11 Depth=1
	s_and_b64 vcc, exec, s[28:29]
	s_cbranch_vccz .LBB32_55
; %bb.26:                               ;   in Loop: Header=BB32_11 Depth=1
	ds_read_b32 v7, v50
	v_lshl_add_u64 v[36:37], v[12:13], 2, v[34:35]
	s_waitcnt lgkmcnt(0)
	global_store_dword v[36:37], v7, off
	s_cbranch_execnz .LBB32_28
.LBB32_27:                              ;   in Loop: Header=BB32_11 Depth=1
	ds_read_b32 v7, v50
	v_lshlrev_b32_e32 v36, 2, v0
	v_mov_b32_e32 v37, v6
	v_lshl_add_u64 v[36:37], v[32:33], 0, v[36:37]
	s_waitcnt lgkmcnt(0)
	global_store_dword v[36:37], v7, off
.LBB32_28:                              ;   in Loop: Header=BB32_11 Depth=1
	s_or_b64 exec, exec, s[0:1]
	v_cndmask_b32_e64 v7, 0, 1, s[28:29]
	v_cmp_ne_u32_e64 s[0:1], 1, v7
	s_and_saveexec_b64 s[38:39], s[34:35]
	s_cbranch_execz .LBB32_32
; %bb.29:                               ;   in Loop: Header=BB32_11 Depth=1
	s_and_b64 vcc, exec, s[0:1]
	s_cbranch_vccnz .LBB32_56
; %bb.30:                               ;   in Loop: Header=BB32_11 Depth=1
	ds_read_b32 v7, v50 offset:8
	v_lshl_add_u64 v[36:37], v[14:15], 2, v[34:35]
	s_waitcnt lgkmcnt(0)
	global_store_dword v[36:37], v7, off
	s_cbranch_execnz .LBB32_32
.LBB32_31:                              ;   in Loop: Header=BB32_11 Depth=1
	ds_read_b32 v7, v50 offset:8
	v_lshlrev_b32_e32 v36, 2, v0
	v_mov_b32_e32 v37, v6
	v_lshl_add_u64 v[36:37], v[32:33], 0, v[36:37]
	s_waitcnt lgkmcnt(0)
	global_store_dword v[36:37], v7, off offset:8
.LBB32_32:                              ;   in Loop: Header=BB32_11 Depth=1
	s_or_b64 exec, exec, s[38:39]
	s_and_saveexec_b64 s[38:39], s[2:3]
	s_cbranch_execz .LBB32_36
; %bb.33:                               ;   in Loop: Header=BB32_11 Depth=1
	s_and_b64 vcc, exec, s[0:1]
	s_cbranch_vccnz .LBB32_57
; %bb.34:                               ;   in Loop: Header=BB32_11 Depth=1
	ds_read_b32 v7, v50 offset:16
	v_lshl_add_u64 v[36:37], v[16:17], 2, v[34:35]
	s_waitcnt lgkmcnt(0)
	global_store_dword v[36:37], v7, off
	s_cbranch_execnz .LBB32_36
.LBB32_35:                              ;   in Loop: Header=BB32_11 Depth=1
	ds_read_b32 v7, v50 offset:16
	v_lshlrev_b32_e32 v36, 2, v0
	v_mov_b32_e32 v37, v6
	v_lshl_add_u64 v[36:37], v[32:33], 0, v[36:37]
	s_waitcnt lgkmcnt(0)
	global_store_dword v[36:37], v7, off offset:16
.LBB32_36:                              ;   in Loop: Header=BB32_11 Depth=1
	s_or_b64 exec, exec, s[38:39]
	s_and_saveexec_b64 s[38:39], s[6:7]
	s_cbranch_execz .LBB32_40
; %bb.37:                               ;   in Loop: Header=BB32_11 Depth=1
	s_and_b64 vcc, exec, s[0:1]
	s_cbranch_vccnz .LBB32_58
; %bb.38:                               ;   in Loop: Header=BB32_11 Depth=1
	ds_read_b32 v7, v50 offset:24
	v_lshl_add_u64 v[36:37], v[18:19], 2, v[34:35]
	s_waitcnt lgkmcnt(0)
	global_store_dword v[36:37], v7, off
	s_cbranch_execnz .LBB32_40
.LBB32_39:                              ;   in Loop: Header=BB32_11 Depth=1
	ds_read_b32 v7, v50 offset:24
	v_lshlrev_b32_e32 v36, 2, v0
	v_mov_b32_e32 v37, v6
	v_lshl_add_u64 v[36:37], v[32:33], 0, v[36:37]
	s_waitcnt lgkmcnt(0)
	global_store_dword v[36:37], v7, off offset:24
.LBB32_40:                              ;   in Loop: Header=BB32_11 Depth=1
	s_or_b64 exec, exec, s[38:39]
	s_and_saveexec_b64 s[38:39], s[8:9]
	s_cbranch_execz .LBB32_44
; %bb.41:                               ;   in Loop: Header=BB32_11 Depth=1
	s_and_b64 vcc, exec, s[0:1]
	s_cbranch_vccnz .LBB32_59
; %bb.42:                               ;   in Loop: Header=BB32_11 Depth=1
	ds_read_b32 v7, v50 offset:32
	v_lshl_add_u64 v[36:37], v[20:21], 2, v[34:35]
	s_waitcnt lgkmcnt(0)
	global_store_dword v[36:37], v7, off
	s_cbranch_execnz .LBB32_44
.LBB32_43:                              ;   in Loop: Header=BB32_11 Depth=1
	ds_read_b32 v7, v50 offset:32
	v_lshlrev_b32_e32 v36, 2, v0
	v_mov_b32_e32 v37, v6
	v_lshl_add_u64 v[36:37], v[32:33], 0, v[36:37]
	s_waitcnt lgkmcnt(0)
	global_store_dword v[36:37], v7, off offset:32
.LBB32_44:                              ;   in Loop: Header=BB32_11 Depth=1
	s_or_b64 exec, exec, s[38:39]
	s_and_saveexec_b64 s[38:39], s[10:11]
	s_cbranch_execz .LBB32_48
; %bb.45:                               ;   in Loop: Header=BB32_11 Depth=1
	s_and_b64 vcc, exec, s[0:1]
	s_cbranch_vccnz .LBB32_60
; %bb.46:                               ;   in Loop: Header=BB32_11 Depth=1
	ds_read_b32 v7, v50 offset:40
	v_lshl_add_u64 v[36:37], v[22:23], 2, v[34:35]
	s_waitcnt lgkmcnt(0)
	global_store_dword v[36:37], v7, off
	s_cbranch_execnz .LBB32_48
.LBB32_47:                              ;   in Loop: Header=BB32_11 Depth=1
	ds_read_b32 v7, v50 offset:40
	v_lshlrev_b32_e32 v36, 2, v0
	v_mov_b32_e32 v37, v6
	v_lshl_add_u64 v[36:37], v[32:33], 0, v[36:37]
	s_waitcnt lgkmcnt(0)
	global_store_dword v[36:37], v7, off offset:40
.LBB32_48:                              ;   in Loop: Header=BB32_11 Depth=1
	s_or_b64 exec, exec, s[38:39]
	s_and_saveexec_b64 s[38:39], s[12:13]
	s_cbranch_execz .LBB32_52
; %bb.49:                               ;   in Loop: Header=BB32_11 Depth=1
	s_and_b64 vcc, exec, s[0:1]
	s_cbranch_vccnz .LBB32_61
; %bb.50:                               ;   in Loop: Header=BB32_11 Depth=1
	ds_read_b32 v7, v50 offset:48
	v_lshl_add_u64 v[36:37], v[24:25], 2, v[34:35]
	s_waitcnt lgkmcnt(0)
	global_store_dword v[36:37], v7, off
	s_cbranch_execnz .LBB32_52
.LBB32_51:                              ;   in Loop: Header=BB32_11 Depth=1
	ds_read_b32 v7, v50 offset:48
	v_lshlrev_b32_e32 v36, 2, v0
	v_mov_b32_e32 v37, v6
	v_lshl_add_u64 v[36:37], v[32:33], 0, v[36:37]
	s_waitcnt lgkmcnt(0)
	global_store_dword v[36:37], v7, off offset:48
.LBB32_52:                              ;   in Loop: Header=BB32_11 Depth=1
	s_or_b64 exec, exec, s[38:39]
	v_mov_b64_e32 v[36:37], 1
	s_and_saveexec_b64 s[38:39], s[4:5]
	s_cbranch_execz .LBB32_9
; %bb.53:                               ;   in Loop: Header=BB32_11 Depth=1
	s_and_b64 vcc, exec, s[0:1]
	s_cbranch_vccnz .LBB32_62
; %bb.54:                               ;   in Loop: Header=BB32_11 Depth=1
	ds_read_b32 v7, v50 offset:56
	v_lshl_add_u64 v[34:35], v[26:27], 2, v[34:35]
	s_mov_b64 s[0:1], 1
	s_waitcnt lgkmcnt(0)
	global_store_dword v[34:35], v7, off
	s_cbranch_execnz .LBB32_8
	s_branch .LBB32_63
.LBB32_55:                              ;   in Loop: Header=BB32_11 Depth=1
	s_branch .LBB32_27
.LBB32_56:                              ;   in Loop: Header=BB32_11 Depth=1
	s_branch .LBB32_31
.LBB32_57:                              ;   in Loop: Header=BB32_11 Depth=1
	s_branch .LBB32_35
.LBB32_58:                              ;   in Loop: Header=BB32_11 Depth=1
	s_branch .LBB32_39
.LBB32_59:                              ;   in Loop: Header=BB32_11 Depth=1
	s_branch .LBB32_43
.LBB32_60:                              ;   in Loop: Header=BB32_11 Depth=1
	s_branch .LBB32_47
.LBB32_61:                              ;   in Loop: Header=BB32_11 Depth=1
	s_branch .LBB32_51
.LBB32_62:                              ;   in Loop: Header=BB32_11 Depth=1
                                        ; implicit-def: $sgpr0_sgpr1
.LBB32_63:                              ;   in Loop: Header=BB32_11 Depth=1
	ds_read_b32 v7, v50 offset:56
	v_lshlrev_b32_e32 v34, 2, v0
	v_mov_b32_e32 v35, v6
	v_lshl_add_u64 v[32:33], v[32:33], 0, v[34:35]
	s_mov_b64 s[0:1], 1
	s_waitcnt lgkmcnt(0)
	global_store_dword v[32:33], v7, off offset:56
	s_branch .LBB32_8
.LBB32_64:
	s_endpgm
	.section	.rodata,"a",@progbits
	.p2align	6, 0x0
	.amdhsa_kernel _ZN9rocsparseL42csr2bsr_wavefront_per_row_multipass_kernelILj256ELj32ELj16EillEEv20rocsparse_direction_T4_S2_S2_S2_S2_21rocsparse_index_base_PKT2_PKT3_PKS2_S3_PS4_PS7_PS2_
		.amdhsa_group_segment_fixed_size 8200
		.amdhsa_private_segment_fixed_size 0
		.amdhsa_kernarg_size 112
		.amdhsa_user_sgpr_count 2
		.amdhsa_user_sgpr_dispatch_ptr 0
		.amdhsa_user_sgpr_queue_ptr 0
		.amdhsa_user_sgpr_kernarg_segment_ptr 1
		.amdhsa_user_sgpr_dispatch_id 0
		.amdhsa_user_sgpr_kernarg_preload_length 0
		.amdhsa_user_sgpr_kernarg_preload_offset 0
		.amdhsa_user_sgpr_private_segment_size 0
		.amdhsa_uses_dynamic_stack 0
		.amdhsa_enable_private_segment 0
		.amdhsa_system_sgpr_workgroup_id_x 1
		.amdhsa_system_sgpr_workgroup_id_y 0
		.amdhsa_system_sgpr_workgroup_id_z 0
		.amdhsa_system_sgpr_workgroup_info 0
		.amdhsa_system_vgpr_workitem_id 0
		.amdhsa_next_free_vgpr 58
		.amdhsa_next_free_sgpr 49
		.amdhsa_accum_offset 60
		.amdhsa_reserve_vcc 1
		.amdhsa_float_round_mode_32 0
		.amdhsa_float_round_mode_16_64 0
		.amdhsa_float_denorm_mode_32 3
		.amdhsa_float_denorm_mode_16_64 3
		.amdhsa_dx10_clamp 1
		.amdhsa_ieee_mode 1
		.amdhsa_fp16_overflow 0
		.amdhsa_tg_split 0
		.amdhsa_exception_fp_ieee_invalid_op 0
		.amdhsa_exception_fp_denorm_src 0
		.amdhsa_exception_fp_ieee_div_zero 0
		.amdhsa_exception_fp_ieee_overflow 0
		.amdhsa_exception_fp_ieee_underflow 0
		.amdhsa_exception_fp_ieee_inexact 0
		.amdhsa_exception_int_div_zero 0
	.end_amdhsa_kernel
	.section	.text._ZN9rocsparseL42csr2bsr_wavefront_per_row_multipass_kernelILj256ELj32ELj16EillEEv20rocsparse_direction_T4_S2_S2_S2_S2_21rocsparse_index_base_PKT2_PKT3_PKS2_S3_PS4_PS7_PS2_,"axG",@progbits,_ZN9rocsparseL42csr2bsr_wavefront_per_row_multipass_kernelILj256ELj32ELj16EillEEv20rocsparse_direction_T4_S2_S2_S2_S2_21rocsparse_index_base_PKT2_PKT3_PKS2_S3_PS4_PS7_PS2_,comdat
.Lfunc_end32:
	.size	_ZN9rocsparseL42csr2bsr_wavefront_per_row_multipass_kernelILj256ELj32ELj16EillEEv20rocsparse_direction_T4_S2_S2_S2_S2_21rocsparse_index_base_PKT2_PKT3_PKS2_S3_PS4_PS7_PS2_, .Lfunc_end32-_ZN9rocsparseL42csr2bsr_wavefront_per_row_multipass_kernelILj256ELj32ELj16EillEEv20rocsparse_direction_T4_S2_S2_S2_S2_21rocsparse_index_base_PKT2_PKT3_PKS2_S3_PS4_PS7_PS2_
                                        ; -- End function
	.section	.AMDGPU.csdata,"",@progbits
; Kernel info:
; codeLenInByte = 3212
; NumSgprs: 55
; NumVgprs: 58
; NumAgprs: 0
; TotalNumVgprs: 58
; ScratchSize: 0
; MemoryBound: 0
; FloatMode: 240
; IeeeMode: 1
; LDSByteSize: 8200 bytes/workgroup (compile time only)
; SGPRBlocks: 6
; VGPRBlocks: 7
; NumSGPRsForWavesPerEU: 55
; NumVGPRsForWavesPerEU: 58
; AccumOffset: 60
; Occupancy: 7
; WaveLimiterHint : 0
; COMPUTE_PGM_RSRC2:SCRATCH_EN: 0
; COMPUTE_PGM_RSRC2:USER_SGPR: 2
; COMPUTE_PGM_RSRC2:TRAP_HANDLER: 0
; COMPUTE_PGM_RSRC2:TGID_X_EN: 1
; COMPUTE_PGM_RSRC2:TGID_Y_EN: 0
; COMPUTE_PGM_RSRC2:TGID_Z_EN: 0
; COMPUTE_PGM_RSRC2:TIDIG_COMP_CNT: 0
; COMPUTE_PGM_RSRC3_GFX90A:ACCUM_OFFSET: 14
; COMPUTE_PGM_RSRC3_GFX90A:TG_SPLIT: 0
	.section	.text._ZN9rocsparseL38csr2bsr_block_per_row_multipass_kernelILj256ELj32EillEEv20rocsparse_direction_T3_S2_S2_S2_S2_21rocsparse_index_base_PKT1_PKT2_PKS2_S3_PS4_PS7_PS2_,"axG",@progbits,_ZN9rocsparseL38csr2bsr_block_per_row_multipass_kernelILj256ELj32EillEEv20rocsparse_direction_T3_S2_S2_S2_S2_21rocsparse_index_base_PKT1_PKT2_PKS2_S3_PS4_PS7_PS2_,comdat
	.globl	_ZN9rocsparseL38csr2bsr_block_per_row_multipass_kernelILj256ELj32EillEEv20rocsparse_direction_T3_S2_S2_S2_S2_21rocsparse_index_base_PKT1_PKT2_PKS2_S3_PS4_PS7_PS2_ ; -- Begin function _ZN9rocsparseL38csr2bsr_block_per_row_multipass_kernelILj256ELj32EillEEv20rocsparse_direction_T3_S2_S2_S2_S2_21rocsparse_index_base_PKT1_PKT2_PKS2_S3_PS4_PS7_PS2_
	.p2align	8
	.type	_ZN9rocsparseL38csr2bsr_block_per_row_multipass_kernelILj256ELj32EillEEv20rocsparse_direction_T3_S2_S2_S2_S2_21rocsparse_index_base_PKT1_PKT2_PKS2_S3_PS4_PS7_PS2_,@function
_ZN9rocsparseL38csr2bsr_block_per_row_multipass_kernelILj256ELj32EillEEv20rocsparse_direction_T3_S2_S2_S2_S2_21rocsparse_index_base_PKT1_PKT2_PKS2_S3_PS4_PS7_PS2_: ; @_ZN9rocsparseL38csr2bsr_block_per_row_multipass_kernelILj256ELj32EillEEv20rocsparse_direction_T3_S2_S2_S2_S2_21rocsparse_index_base_PKT1_PKT2_PKS2_S3_PS4_PS7_PS2_
; %bb.0:
	s_load_dwordx2 s[6:7], s[0:1], 0x8
	s_load_dwordx4 s[20:23], s[0:1], 0x20
	s_load_dword s33, s[0:1], 0x30
	s_load_dwordx2 s[4:5], s[0:1], 0x40
	s_ashr_i32 s3, s2, 31
	v_lshrrev_b32_e32 v10, 3, v0
	v_mov_b32_e32 v11, 0
	s_waitcnt lgkmcnt(0)
	s_mul_i32 s8, s2, s23
	s_mul_i32 s9, s3, s22
	v_mov_b32_e32 v1, s22
	s_add_i32 s10, s8, s9
	v_mad_u64_u32 v[4:5], s[8:9], s2, v1, v[10:11]
	v_add_u32_e32 v5, s10, v5
	v_cmp_gt_i64_e32 vcc, s[6:7], v[4:5]
	v_cmp_gt_i64_e64 s[18:19], s[22:23], v[10:11]
	v_mov_b64_e32 v[2:3], 0
	s_and_b64 s[6:7], s[18:19], vcc
	v_mov_b64_e32 v[18:19], v[2:3]
	s_and_saveexec_b64 s[8:9], s[6:7]
	s_cbranch_execnz .LBB33_3
; %bb.1:
	s_or_b64 exec, exec, s[8:9]
	s_and_saveexec_b64 s[8:9], s[6:7]
	s_cbranch_execnz .LBB33_4
.LBB33_2:
	s_or_b64 exec, exec, s[8:9]
	v_cmp_lt_i64_e64 s[4:5], s[20:21], 1
	s_and_b64 vcc, exec, s[4:5]
	s_cbranch_vccz .LBB33_5
	s_branch .LBB33_45
.LBB33_3:
	v_lshl_add_u64 v[6:7], v[4:5], 3, s[4:5]
	global_load_dwordx2 v[6:7], v[6:7], off
	s_waitcnt vmcnt(0)
	v_subrev_co_u32_e32 v18, vcc, s33, v6
	s_nop 1
	v_subbrev_co_u32_e32 v19, vcc, 0, v7, vcc
	s_or_b64 exec, exec, s[8:9]
	s_and_saveexec_b64 s[8:9], s[6:7]
	s_cbranch_execz .LBB33_2
.LBB33_4:
	v_lshl_add_u64 v[2:3], v[4:5], 3, s[4:5]
	global_load_dwordx2 v[2:3], v[2:3], off offset:8
	s_waitcnt vmcnt(0)
	v_subrev_co_u32_e32 v2, vcc, s33, v2
	s_nop 1
	v_subbrev_co_u32_e32 v3, vcc, 0, v3, vcc
	s_or_b64 exec, exec, s[8:9]
	v_cmp_lt_i64_e64 s[4:5], s[20:21], 1
	s_and_b64 vcc, exec, s[4:5]
	s_cbranch_vccnz .LBB33_45
.LBB33_5:
	s_load_dwordx2 s[24:25], s[0:1], 0x68
	s_load_dwordx4 s[4:7], s[0:1], 0x58
	s_load_dword s56, s[0:1], 0x50
	s_mul_i32 s8, s22, s23
	s_mul_hi_u32 s9, s22, s22
	s_add_i32 s9, s9, s8
	s_add_i32 s58, s9, s8
	s_lshl_b64 s[2:3], s[2:3], 3
	s_waitcnt lgkmcnt(0)
	s_add_u32 s2, s6, s2
	s_addc_u32 s3, s7, s3
	s_load_dwordx2 s[6:7], s[2:3], 0x0
	s_load_dwordx2 s[26:27], s[0:1], 0x48
	;; [unrolled: 1-line block ×3, first 2 shown]
	s_load_dword s8, s[0:1], 0x0
	v_mad_u64_u32 v[12:13], s[2:3], v10, s22, 0
	v_mov_b32_e32 v14, v13
	v_lshlrev_b32_e32 v6, 2, v10
	v_mov_b32_e32 v4, 0
	s_waitcnt lgkmcnt(0)
	s_sub_u32 s30, s6, s56
	v_lshlrev_b32_e32 v32, 5, v10
	v_mad_u64_u32 v[10:11], s[2:3], v10, s23, v[14:15]
	v_mov_b32_e32 v7, v4
	v_and_b32_e32 v8, 7, v0
	s_subb_u32 s31, s7, 0
	v_mbcnt_lo_u32_b32 v1, -1, 0
	v_mov_b32_e32 v13, v10
	s_movk_i32 s2, 0x80
	v_lshl_add_u64 v[6:7], s[4:5], 0, v[6:7]
	v_mbcnt_hi_u32_b32 v1, -1, v1
	s_cmp_eq_u32 s8, 0
	v_lshl_add_u64 v[10:11], v[12:13], 2, s[4:5]
	v_lshlrev_b32_e32 v34, 3, v0
	v_cmp_gt_u32_e64 s[2:3], s2, v0
	v_cmp_gt_u32_e64 s[4:5], 64, v0
	;; [unrolled: 1-line block ×7, first 2 shown]
	v_cmp_eq_u32_e64 s[16:17], 0, v0
	v_or_b32_e32 v0, v32, v8
	v_lshl_or_b32 v33, v1, 2, 28
	v_lshlrev_b32_e32 v12, 2, v8
	v_mov_b32_e32 v13, v4
	v_lshlrev_b32_e32 v35, 2, v0
	v_mad_u64_u32 v[0:1], s[36:37], v8, s22, 0
	v_lshl_add_u64 v[10:11], v[10:11], 0, v[12:13]
	v_mov_b32_e32 v12, v1
	v_mad_u64_u32 v[12:13], s[36:37], v8, s23, v[12:13]
	v_or_b32_e32 v14, 8, v8
	v_mov_b32_e32 v9, v4
	v_mov_b32_e32 v1, v12
	v_mad_u64_u32 v[12:13], s[38:39], v14, s22, 0
	v_cmp_gt_i64_e32 vcc, s[22:23], v[8:9]
	v_mov_b32_e32 v15, v4
	v_mov_b32_e32 v16, v13
	s_cselect_b64 s[0:1], -1, 0
	s_and_b64 s[34:35], s[18:19], vcc
	v_cmp_gt_i64_e32 vcc, s[22:23], v[14:15]
	v_mad_u64_u32 v[14:15], s[38:39], v14, s23, v[16:17]
	v_or_b32_e32 v16, 16, v8
	v_mov_b32_e32 v13, v14
	v_mad_u64_u32 v[14:15], s[40:41], v16, s22, 0
	v_mov_b32_e32 v17, v4
	v_mov_b32_e32 v20, v15
	s_and_b64 s[36:37], s[18:19], vcc
	v_cmp_gt_i64_e32 vcc, s[22:23], v[16:17]
	v_mad_u64_u32 v[16:17], s[40:41], v16, s23, v[20:21]
	v_or_b32_e32 v20, 24, v8
	v_mov_b32_e32 v21, v4
	s_and_b64 s[38:39], s[18:19], vcc
	v_cmp_gt_i64_e32 vcc, s[22:23], v[20:21]
	v_mov_b32_e32 v15, v16
	s_and_b64 s[40:41], s[18:19], vcc
	v_mad_u64_u32 v[16:17], s[18:19], v20, s22, 0
	v_mov_b32_e32 v22, v17
	v_mad_u64_u32 v[20:21], s[18:19], v20, s23, v[22:23]
	s_mov_b32 s57, 0
	s_mul_i32 s59, s22, s22
	v_mov_b32_e32 v17, v20
	s_mov_b64 s[44:45], 0
	s_mov_b64 s[42:43], 0x60
	v_mov_b32_e32 v36, 1
	s_branch .LBB33_7
.LBB33_6:                               ;   in Loop: Header=BB33_7 Depth=1
	s_or_b64 exec, exec, s[44:45]
	s_waitcnt lgkmcnt(0)
	s_barrier
	ds_read_b64 v[20:21], v4
	s_add_u32 s30, s18, s30
	s_addc_u32 s31, s19, s31
	s_waitcnt lgkmcnt(0)
	s_barrier
	v_cmp_gt_i64_e32 vcc, s[20:21], v[20:21]
	v_readfirstlane_b32 s44, v20
	v_readfirstlane_b32 s45, v21
	s_cbranch_vccz .LBB33_45
.LBB33_7:                               ; =>This Loop Header: Depth=1
                                        ;     Child Loop BB33_10 Depth 2
	v_lshl_add_u64 v[18:19], v[18:19], 0, v[8:9]
	v_cmp_lt_i64_e32 vcc, v[18:19], v[2:3]
	v_mov_b64_e32 v[20:21], s[20:21]
	v_mov_b64_e32 v[30:31], v[2:3]
	ds_write_b8 v4, v4 offset:4096
	ds_write2_b32 v35, v4, v4 offset1:8
	ds_write2_b32 v35, v4, v4 offset0:16 offset1:24
	s_waitcnt lgkmcnt(0)
	s_barrier
	s_and_saveexec_b64 s[46:47], vcc
	s_cbranch_execz .LBB33_19
; %bb.8:                                ;   in Loop: Header=BB33_7 Depth=1
	s_mul_i32 s60, s44, s22
	v_lshl_add_u64 v[22:23], v[18:19], 2, s[28:29]
	v_lshl_add_u64 v[24:25], v[18:19], 3, s[26:27]
	s_mov_b64 s[48:49], 0
	v_mov_b64_e32 v[20:21], s[20:21]
	v_mov_b64_e32 v[26:27], v[2:3]
	s_branch .LBB33_10
.LBB33_9:                               ;   in Loop: Header=BB33_10 Depth=2
	s_or_b64 exec, exec, s[18:19]
	v_lshl_add_u64 v[18:19], v[18:19], 0, 8
	v_cmp_ge_i64_e64 s[18:19], v[18:19], v[2:3]
	s_xor_b64 s[50:51], vcc, -1
	s_or_b64 s[18:19], s[50:51], s[18:19]
	s_and_b64 s[18:19], exec, s[18:19]
	v_lshl_add_u64 v[22:23], v[22:23], 0, 32
	v_lshl_add_u64 v[24:25], v[24:25], 0, 64
	s_or_b64 s[48:49], s[18:19], s[48:49]
	v_mov_b64_e32 v[26:27], v[30:31]
	s_andn2_b64 exec, exec, s[48:49]
	s_cbranch_execz .LBB33_18
.LBB33_10:                              ;   Parent Loop BB33_7 Depth=1
                                        ; =>  This Inner Loop Header: Depth=2
	global_load_dwordx2 v[28:29], v[24:25], off
	v_mov_b32_e32 v5, s57
                                        ; implicit-def: $vgpr30_vgpr31
	s_waitcnt vmcnt(0)
	v_subrev_co_u32_e32 v28, vcc, s33, v28
	s_nop 1
	v_subb_co_u32_e32 v29, vcc, v29, v5, vcc
	v_or_b32_e32 v5, s23, v29
	v_cmp_ne_u64_e32 vcc, 0, v[4:5]
	s_and_saveexec_b64 s[18:19], vcc
	s_xor_b64 s[50:51], exec, s[18:19]
	s_cbranch_execz .LBB33_12
; %bb.11:                               ;   in Loop: Header=BB33_10 Depth=2
	s_ashr_i32 s52, s23, 31
	s_add_u32 s18, s22, s52
	s_mov_b32 s53, s52
	s_addc_u32 s19, s23, s52
	s_xor_b64 s[54:55], s[18:19], s[52:53]
	v_cvt_f32_u32_e32 v5, s54
	v_cvt_f32_u32_e32 v30, s55
	s_sub_u32 s18, 0, s54
	s_subb_u32 s19, 0, s55
	v_mov_b32_e32 v39, v4
	v_fmac_f32_e32 v5, 0x4f800000, v30
	v_rcp_f32_e32 v5, v5
	s_nop 0
	v_mul_f32_e32 v5, 0x5f7ffffc, v5
	v_mul_f32_e32 v30, 0x2f800000, v5
	v_trunc_f32_e32 v30, v30
	v_fmac_f32_e32 v5, 0xcf800000, v30
	v_cvt_u32_f32_e32 v37, v30
	v_cvt_u32_f32_e32 v5, v5
	v_mul_lo_u32 v30, s18, v37
	v_mul_hi_u32 v38, s18, v5
	v_mul_lo_u32 v31, s19, v5
	v_add_u32_e32 v30, v38, v30
	v_mul_lo_u32 v40, s18, v5
	v_add_u32_e32 v41, v30, v31
	v_mul_hi_u32 v31, v5, v41
	v_mul_lo_u32 v30, v5, v41
	v_mul_hi_u32 v38, v5, v40
	v_lshl_add_u64 v[30:31], v[38:39], 0, v[30:31]
	v_mul_hi_u32 v39, v37, v40
	v_mul_lo_u32 v40, v37, v40
	v_add_co_u32_e32 v30, vcc, v30, v40
	v_mul_hi_u32 v38, v37, v41
	s_nop 0
	v_addc_co_u32_e32 v30, vcc, v31, v39, vcc
	v_mov_b32_e32 v31, v4
	s_nop 0
	v_addc_co_u32_e32 v39, vcc, 0, v38, vcc
	v_mul_lo_u32 v38, v37, v41
	v_lshl_add_u64 v[30:31], v[30:31], 0, v[38:39]
	v_add_co_u32_e32 v5, vcc, v5, v30
	v_mul_lo_u32 v38, s18, v5
	s_nop 0
	v_addc_co_u32_e32 v37, vcc, v37, v31, vcc
	v_mul_lo_u32 v30, s18, v37
	v_mul_hi_u32 v31, s18, v5
	v_add_u32_e32 v30, v31, v30
	v_mul_lo_u32 v31, s19, v5
	v_add_u32_e32 v40, v30, v31
	v_mul_hi_u32 v42, v37, v38
	v_mul_lo_u32 v43, v37, v38
	v_mul_hi_u32 v31, v5, v40
	v_mul_lo_u32 v30, v5, v40
	v_mul_hi_u32 v38, v5, v38
	v_mov_b32_e32 v39, v4
	v_lshl_add_u64 v[30:31], v[38:39], 0, v[30:31]
	v_add_co_u32_e32 v30, vcc, v30, v43
	v_mul_hi_u32 v41, v37, v40
	s_nop 0
	v_addc_co_u32_e32 v30, vcc, v31, v42, vcc
	v_mul_lo_u32 v38, v37, v40
	s_nop 0
	v_addc_co_u32_e32 v39, vcc, 0, v41, vcc
	v_mov_b32_e32 v31, v4
	v_lshl_add_u64 v[30:31], v[30:31], 0, v[38:39]
	v_add_co_u32_e32 v5, vcc, v5, v30
	v_ashrrev_i32_e32 v30, 31, v29
	s_nop 0
	v_addc_co_u32_e32 v37, vcc, v37, v31, vcc
	v_mov_b32_e32 v31, v30
	v_lshl_add_u64 v[38:39], v[28:29], 0, v[30:31]
	v_xor_b32_e32 v31, v38, v30
	v_xor_b32_e32 v29, v39, v30
	v_mad_u64_u32 v[38:39], s[18:19], v31, v37, 0
	v_mul_hi_u32 v40, v31, v5
	v_mov_b32_e32 v41, v4
	v_lshl_add_u64 v[38:39], v[40:41], 0, v[38:39]
	v_mad_u64_u32 v[42:43], s[18:19], v29, v5, 0
	v_add_co_u32_e32 v5, vcc, v38, v42
	v_mad_u64_u32 v[40:41], s[18:19], v29, v37, 0
	s_nop 0
	v_addc_co_u32_e32 v38, vcc, v39, v43, vcc
	v_mov_b32_e32 v39, v4
	s_nop 0
	v_addc_co_u32_e32 v41, vcc, 0, v41, vcc
	v_lshl_add_u64 v[38:39], v[38:39], 0, v[40:41]
	v_mul_lo_u32 v5, s55, v38
	v_mul_lo_u32 v37, s54, v39
	v_mad_u64_u32 v[40:41], s[18:19], s54, v38, 0
	v_add3_u32 v5, v41, v37, v5
	v_sub_u32_e32 v37, v29, v5
	v_mov_b32_e32 v41, s55
	v_sub_co_u32_e32 v31, vcc, v31, v40
	v_lshl_add_u64 v[42:43], v[38:39], 0, 1
	s_nop 0
	v_subb_co_u32_e64 v37, s[18:19], v37, v41, vcc
	v_subrev_co_u32_e64 v40, s[18:19], s54, v31
	v_subb_co_u32_e32 v5, vcc, v29, v5, vcc
	s_nop 0
	v_subbrev_co_u32_e64 v37, s[18:19], 0, v37, s[18:19]
	v_cmp_le_u32_e64 s[18:19], s55, v37
	v_cmp_le_u32_e32 vcc, s55, v5
	s_nop 0
	v_cndmask_b32_e64 v41, 0, -1, s[18:19]
	v_cmp_le_u32_e64 s[18:19], s54, v40
	v_cndmask_b32_e64 v29, 0, -1, vcc
	v_cmp_le_u32_e32 vcc, s54, v31
	v_cndmask_b32_e64 v40, 0, -1, s[18:19]
	v_cmp_eq_u32_e64 s[18:19], s55, v37
	v_cndmask_b32_e64 v31, 0, -1, vcc
	v_cmp_eq_u32_e32 vcc, s55, v5
	v_cndmask_b32_e64 v37, v41, v40, s[18:19]
	v_lshl_add_u64 v[40:41], v[38:39], 0, 2
	v_cmp_ne_u32_e64 s[18:19], 0, v37
	v_cndmask_b32_e32 v5, v29, v31, vcc
	v_cmp_ne_u32_e32 vcc, 0, v5
	v_cndmask_b32_e64 v29, v42, v40, s[18:19]
	v_cndmask_b32_e64 v37, v43, v41, s[18:19]
	v_cndmask_b32_e32 v29, v38, v29, vcc
	v_xor_b32_e32 v31, s52, v30
	v_cndmask_b32_e32 v5, v39, v37, vcc
	v_xor_b32_e32 v29, v29, v31
	v_xor_b32_e32 v5, v5, v31
	v_sub_co_u32_e32 v30, vcc, v29, v31
	s_nop 1
	v_subb_co_u32_e32 v31, vcc, v5, v31, vcc
.LBB33_12:                              ;   in Loop: Header=BB33_10 Depth=2
	s_andn2_saveexec_b64 s[18:19], s[50:51]
	s_cbranch_execz .LBB33_14
; %bb.13:                               ;   in Loop: Header=BB33_10 Depth=2
	v_cvt_f32_u32_e32 v5, s22
	s_sub_i32 s50, 0, s22
	v_rcp_iflag_f32_e32 v5, v5
	s_nop 0
	v_mul_f32_e32 v5, 0x4f7ffffe, v5
	v_cvt_u32_f32_e32 v5, v5
	v_mul_lo_u32 v29, s50, v5
	v_mul_hi_u32 v29, v5, v29
	v_add_u32_e32 v5, v5, v29
	v_mul_hi_u32 v5, v28, v5
	v_mul_lo_u32 v29, v5, s22
	v_sub_u32_e32 v29, v28, v29
	v_add_u32_e32 v30, 1, v5
	v_subrev_u32_e32 v31, s22, v29
	v_cmp_le_u32_e32 vcc, s22, v29
	s_nop 1
	v_cndmask_b32_e32 v29, v29, v31, vcc
	v_cndmask_b32_e32 v5, v5, v30, vcc
	v_add_u32_e32 v30, 1, v5
	v_cmp_le_u32_e32 vcc, s22, v29
	v_mov_b32_e32 v31, v4
	s_nop 0
	v_cndmask_b32_e32 v30, v5, v30, vcc
.LBB33_14:                              ;   in Loop: Header=BB33_10 Depth=2
	s_or_b64 exec, exec, s[18:19]
	v_cmp_eq_u64_e32 vcc, s[44:45], v[30:31]
	v_cmp_ne_u64_e64 s[18:19], s[44:45], v[30:31]
	s_and_saveexec_b64 s[50:51], s[18:19]
	s_xor_b64 s[50:51], exec, s[50:51]
; %bb.15:                               ;   in Loop: Header=BB33_10 Depth=2
	v_cmp_lt_i64_e64 s[18:19], v[30:31], v[20:21]
                                        ; implicit-def: $vgpr28_vgpr29
                                        ; implicit-def: $vgpr26_vgpr27
	s_nop 1
	v_cndmask_b32_e64 v21, v21, v31, s[18:19]
	v_cndmask_b32_e64 v20, v20, v30, s[18:19]
; %bb.16:                               ;   in Loop: Header=BB33_10 Depth=2
	s_or_saveexec_b64 s[18:19], s[50:51]
	v_mov_b64_e32 v[30:31], v[18:19]
	s_xor_b64 exec, exec, s[18:19]
	s_cbranch_execz .LBB33_9
; %bb.17:                               ;   in Loop: Header=BB33_10 Depth=2
	global_load_dword v5, v[22:23], off
	v_subrev_u32_e32 v28, s60, v28
	v_add_lshl_u32 v28, v32, v28, 2
	v_mov_b64_e32 v[30:31], v[26:27]
	ds_write_b8 v4, v36 offset:4096
	s_waitcnt vmcnt(0)
	ds_write_b32 v28, v5
	s_branch .LBB33_9
.LBB33_18:                              ;   in Loop: Header=BB33_7 Depth=1
	s_or_b64 exec, exec, s[48:49]
.LBB33_19:                              ;   in Loop: Header=BB33_7 Depth=1
	s_or_b64 exec, exec, s[46:47]
	v_mov_b32_dpp v18, v30 row_shr:1 row_mask:0xf bank_mask:0xf
	v_mov_b32_dpp v19, v31 row_shr:1 row_mask:0xf bank_mask:0xf
	v_cmp_lt_i64_e32 vcc, v[18:19], v[30:31]
	s_waitcnt lgkmcnt(0)
	s_barrier
	v_cndmask_b32_e32 v19, v31, v19, vcc
	v_cndmask_b32_e32 v18, v30, v18, vcc
	s_nop 0
	v_mov_b32_dpp v23, v19 row_shr:2 row_mask:0xf bank_mask:0xf
	v_mov_b32_dpp v22, v18 row_shr:2 row_mask:0xf bank_mask:0xf
	v_cmp_lt_i64_e32 vcc, v[22:23], v[18:19]
	s_mov_b64 s[18:19], 0
	s_nop 0
	v_cndmask_b32_e32 v19, v19, v23, vcc
	v_cndmask_b32_e32 v18, v18, v22, vcc
	s_nop 0
	v_mov_b32_dpp v23, v19 row_shr:4 row_mask:0xf bank_mask:0xe
	v_mov_b32_dpp v22, v18 row_shr:4 row_mask:0xf bank_mask:0xe
	v_cmp_lt_i64_e32 vcc, v[22:23], v[18:19]
	s_nop 1
	v_cndmask_b32_e32 v5, v19, v23, vcc
	ds_read_u8 v23, v4 offset:4096
	v_cndmask_b32_e32 v18, v18, v22, vcc
	ds_bpermute_b32 v18, v33, v18
	ds_bpermute_b32 v19, v33, v5
	s_waitcnt lgkmcnt(2)
	v_cmp_eq_u32_e32 vcc, 0, v23
	s_cbranch_vccnz .LBB33_26
; %bb.20:                               ;   in Loop: Header=BB33_7 Depth=1
	s_add_u32 s18, s44, s56
	s_addc_u32 s19, s45, 0
	s_lshl_b64 s[44:45], s[30:31], 3
	s_add_u32 s44, s24, s44
	v_mov_b64_e32 v[22:23], s[18:19]
	s_mul_i32 s18, s59, s31
	s_mul_hi_u32 s19, s59, s30
	s_addc_u32 s45, s25, s45
	s_add_i32 s18, s19, s18
	s_mul_i32 s19, s58, s30
	s_add_i32 s19, s18, s19
	s_mul_i32 s18, s59, s30
	s_lshl_b64 s[18:19], s[18:19], 2
	global_store_dwordx2 v4, v[22:23], s[44:45]
	v_lshl_add_u64 v[22:23], v[6:7], 0, s[18:19]
	v_lshl_add_u64 v[24:25], v[10:11], 0, s[18:19]
	s_and_saveexec_b64 s[18:19], s[34:35]
	s_cbranch_execnz .LBB33_42
; %bb.21:                               ;   in Loop: Header=BB33_7 Depth=1
	s_or_b64 exec, exec, s[18:19]
	s_and_saveexec_b64 s[18:19], s[36:37]
	s_cbranch_execnz .LBB33_43
.LBB33_22:                              ;   in Loop: Header=BB33_7 Depth=1
	s_or_b64 exec, exec, s[18:19]
	s_and_saveexec_b64 s[18:19], s[38:39]
	s_cbranch_execnz .LBB33_44
.LBB33_23:                              ;   in Loop: Header=BB33_7 Depth=1
	s_or_b64 exec, exec, s[18:19]
	s_and_saveexec_b64 s[18:19], s[40:41]
	s_cbranch_execz .LBB33_25
.LBB33_24:                              ;   in Loop: Header=BB33_7 Depth=1
	ds_read_b32 v5, v35 offset:96
	v_lshl_add_u64 v[24:25], v[24:25], 0, s[42:43]
	v_lshl_add_u64 v[22:23], v[16:17], 2, v[22:23]
	v_cndmask_b32_e64 v23, v23, v25, s[0:1]
	v_cndmask_b32_e64 v22, v22, v24, s[0:1]
	s_waitcnt lgkmcnt(0)
	global_store_dword v[22:23], v5, off
.LBB33_25:                              ;   in Loop: Header=BB33_7 Depth=1
	s_or_b64 exec, exec, s[18:19]
	s_mov_b64 s[18:19], 1
.LBB33_26:                              ;   in Loop: Header=BB33_7 Depth=1
	s_waitcnt lgkmcnt(0)
	s_barrier
	ds_write_b64 v34, v[20:21]
	s_waitcnt lgkmcnt(0)
	s_barrier
	s_and_saveexec_b64 s[44:45], s[2:3]
	s_cbranch_execz .LBB33_28
; %bb.27:                               ;   in Loop: Header=BB33_7 Depth=1
	ds_read2st64_b64 v[20:23], v34 offset1:2
	s_waitcnt lgkmcnt(0)
	v_cmp_lt_i64_e32 vcc, v[22:23], v[20:21]
	s_nop 1
	v_cndmask_b32_e32 v21, v21, v23, vcc
	v_cndmask_b32_e32 v20, v20, v22, vcc
	ds_write_b64 v34, v[20:21]
.LBB33_28:                              ;   in Loop: Header=BB33_7 Depth=1
	s_or_b64 exec, exec, s[44:45]
	s_waitcnt lgkmcnt(0)
	s_barrier
	s_and_saveexec_b64 s[44:45], s[4:5]
	s_cbranch_execz .LBB33_30
; %bb.29:                               ;   in Loop: Header=BB33_7 Depth=1
	ds_read2st64_b64 v[20:23], v34 offset1:1
	s_waitcnt lgkmcnt(0)
	v_cmp_lt_i64_e32 vcc, v[22:23], v[20:21]
	s_nop 1
	v_cndmask_b32_e32 v21, v21, v23, vcc
	v_cndmask_b32_e32 v20, v20, v22, vcc
	ds_write_b64 v34, v[20:21]
.LBB33_30:                              ;   in Loop: Header=BB33_7 Depth=1
	s_or_b64 exec, exec, s[44:45]
	s_waitcnt lgkmcnt(0)
	s_barrier
	s_and_saveexec_b64 s[44:45], s[6:7]
	s_cbranch_execz .LBB33_32
; %bb.31:                               ;   in Loop: Header=BB33_7 Depth=1
	ds_read2_b64 v[20:23], v34 offset1:32
	s_waitcnt lgkmcnt(0)
	v_cmp_lt_i64_e32 vcc, v[22:23], v[20:21]
	s_nop 1
	v_cndmask_b32_e32 v21, v21, v23, vcc
	v_cndmask_b32_e32 v20, v20, v22, vcc
	ds_write_b64 v34, v[20:21]
.LBB33_32:                              ;   in Loop: Header=BB33_7 Depth=1
	s_or_b64 exec, exec, s[44:45]
	s_waitcnt lgkmcnt(0)
	s_barrier
	s_and_saveexec_b64 s[44:45], s[8:9]
	s_cbranch_execz .LBB33_34
; %bb.33:                               ;   in Loop: Header=BB33_7 Depth=1
	ds_read2_b64 v[20:23], v34 offset1:16
	s_waitcnt lgkmcnt(0)
	v_cmp_lt_i64_e32 vcc, v[22:23], v[20:21]
	s_nop 1
	v_cndmask_b32_e32 v21, v21, v23, vcc
	v_cndmask_b32_e32 v20, v20, v22, vcc
	ds_write_b64 v34, v[20:21]
.LBB33_34:                              ;   in Loop: Header=BB33_7 Depth=1
	;; [unrolled: 14-line block ×5, first 2 shown]
	s_or_b64 exec, exec, s[44:45]
	s_waitcnt lgkmcnt(0)
	s_barrier
	s_and_saveexec_b64 s[44:45], s[16:17]
	s_cbranch_execz .LBB33_6
; %bb.41:                               ;   in Loop: Header=BB33_7 Depth=1
	ds_read_b128 v[20:23], v4
	s_waitcnt lgkmcnt(0)
	v_cmp_lt_i64_e32 vcc, v[22:23], v[20:21]
	s_nop 1
	v_cndmask_b32_e32 v21, v21, v23, vcc
	v_cndmask_b32_e32 v20, v20, v22, vcc
	ds_write_b64 v4, v[20:21]
	s_branch .LBB33_6
.LBB33_42:                              ;   in Loop: Header=BB33_7 Depth=1
	ds_read_b32 v5, v35
	v_lshl_add_u64 v[26:27], v[0:1], 2, v[22:23]
	v_cndmask_b32_e64 v27, v27, v25, s[0:1]
	v_cndmask_b32_e64 v26, v26, v24, s[0:1]
	s_waitcnt lgkmcnt(0)
	global_store_dword v[26:27], v5, off
	s_or_b64 exec, exec, s[18:19]
	s_and_saveexec_b64 s[18:19], s[36:37]
	s_cbranch_execz .LBB33_22
.LBB33_43:                              ;   in Loop: Header=BB33_7 Depth=1
	ds_read_b32 v5, v35 offset:32
	v_lshl_add_u64 v[26:27], v[24:25], 0, 32
	v_lshl_add_u64 v[28:29], v[12:13], 2, v[22:23]
	v_cndmask_b32_e64 v27, v29, v27, s[0:1]
	v_cndmask_b32_e64 v26, v28, v26, s[0:1]
	s_waitcnt lgkmcnt(0)
	global_store_dword v[26:27], v5, off
	s_or_b64 exec, exec, s[18:19]
	s_and_saveexec_b64 s[18:19], s[38:39]
	s_cbranch_execz .LBB33_23
.LBB33_44:                              ;   in Loop: Header=BB33_7 Depth=1
	ds_read_b32 v5, v35 offset:64
	v_lshl_add_u64 v[26:27], v[24:25], 0, 64
	v_lshl_add_u64 v[28:29], v[14:15], 2, v[22:23]
	v_cndmask_b32_e64 v27, v29, v27, s[0:1]
	v_cndmask_b32_e64 v26, v28, v26, s[0:1]
	s_waitcnt lgkmcnt(0)
	global_store_dword v[26:27], v5, off
	s_or_b64 exec, exec, s[18:19]
	s_and_saveexec_b64 s[18:19], s[40:41]
	s_cbranch_execnz .LBB33_24
	s_branch .LBB33_25
.LBB33_45:
	s_endpgm
	.section	.rodata,"a",@progbits
	.p2align	6, 0x0
	.amdhsa_kernel _ZN9rocsparseL38csr2bsr_block_per_row_multipass_kernelILj256ELj32EillEEv20rocsparse_direction_T3_S2_S2_S2_S2_21rocsparse_index_base_PKT1_PKT2_PKS2_S3_PS4_PS7_PS2_
		.amdhsa_group_segment_fixed_size 4100
		.amdhsa_private_segment_fixed_size 0
		.amdhsa_kernarg_size 112
		.amdhsa_user_sgpr_count 2
		.amdhsa_user_sgpr_dispatch_ptr 0
		.amdhsa_user_sgpr_queue_ptr 0
		.amdhsa_user_sgpr_kernarg_segment_ptr 1
		.amdhsa_user_sgpr_dispatch_id 0
		.amdhsa_user_sgpr_kernarg_preload_length 0
		.amdhsa_user_sgpr_kernarg_preload_offset 0
		.amdhsa_user_sgpr_private_segment_size 0
		.amdhsa_uses_dynamic_stack 0
		.amdhsa_enable_private_segment 0
		.amdhsa_system_sgpr_workgroup_id_x 1
		.amdhsa_system_sgpr_workgroup_id_y 0
		.amdhsa_system_sgpr_workgroup_id_z 0
		.amdhsa_system_sgpr_workgroup_info 0
		.amdhsa_system_vgpr_workitem_id 0
		.amdhsa_next_free_vgpr 44
		.amdhsa_next_free_sgpr 61
		.amdhsa_accum_offset 44
		.amdhsa_reserve_vcc 1
		.amdhsa_float_round_mode_32 0
		.amdhsa_float_round_mode_16_64 0
		.amdhsa_float_denorm_mode_32 3
		.amdhsa_float_denorm_mode_16_64 3
		.amdhsa_dx10_clamp 1
		.amdhsa_ieee_mode 1
		.amdhsa_fp16_overflow 0
		.amdhsa_tg_split 0
		.amdhsa_exception_fp_ieee_invalid_op 0
		.amdhsa_exception_fp_denorm_src 0
		.amdhsa_exception_fp_ieee_div_zero 0
		.amdhsa_exception_fp_ieee_overflow 0
		.amdhsa_exception_fp_ieee_underflow 0
		.amdhsa_exception_fp_ieee_inexact 0
		.amdhsa_exception_int_div_zero 0
	.end_amdhsa_kernel
	.section	.text._ZN9rocsparseL38csr2bsr_block_per_row_multipass_kernelILj256ELj32EillEEv20rocsparse_direction_T3_S2_S2_S2_S2_21rocsparse_index_base_PKT1_PKT2_PKS2_S3_PS4_PS7_PS2_,"axG",@progbits,_ZN9rocsparseL38csr2bsr_block_per_row_multipass_kernelILj256ELj32EillEEv20rocsparse_direction_T3_S2_S2_S2_S2_21rocsparse_index_base_PKT1_PKT2_PKS2_S3_PS4_PS7_PS2_,comdat
.Lfunc_end33:
	.size	_ZN9rocsparseL38csr2bsr_block_per_row_multipass_kernelILj256ELj32EillEEv20rocsparse_direction_T3_S2_S2_S2_S2_21rocsparse_index_base_PKT1_PKT2_PKS2_S3_PS4_PS7_PS2_, .Lfunc_end33-_ZN9rocsparseL38csr2bsr_block_per_row_multipass_kernelILj256ELj32EillEEv20rocsparse_direction_T3_S2_S2_S2_S2_21rocsparse_index_base_PKT1_PKT2_PKS2_S3_PS4_PS7_PS2_
                                        ; -- End function
	.section	.AMDGPU.csdata,"",@progbits
; Kernel info:
; codeLenInByte = 2932
; NumSgprs: 67
; NumVgprs: 44
; NumAgprs: 0
; TotalNumVgprs: 44
; ScratchSize: 0
; MemoryBound: 0
; FloatMode: 240
; IeeeMode: 1
; LDSByteSize: 4100 bytes/workgroup (compile time only)
; SGPRBlocks: 8
; VGPRBlocks: 5
; NumSGPRsForWavesPerEU: 67
; NumVGPRsForWavesPerEU: 44
; AccumOffset: 44
; Occupancy: 8
; WaveLimiterHint : 1
; COMPUTE_PGM_RSRC2:SCRATCH_EN: 0
; COMPUTE_PGM_RSRC2:USER_SGPR: 2
; COMPUTE_PGM_RSRC2:TRAP_HANDLER: 0
; COMPUTE_PGM_RSRC2:TGID_X_EN: 1
; COMPUTE_PGM_RSRC2:TGID_Y_EN: 0
; COMPUTE_PGM_RSRC2:TGID_Z_EN: 0
; COMPUTE_PGM_RSRC2:TIDIG_COMP_CNT: 0
; COMPUTE_PGM_RSRC3_GFX90A:ACCUM_OFFSET: 10
; COMPUTE_PGM_RSRC3_GFX90A:TG_SPLIT: 0
	.section	.text._ZN9rocsparseL38csr2bsr_block_per_row_multipass_kernelILj256ELj64EillEEv20rocsparse_direction_T3_S2_S2_S2_S2_21rocsparse_index_base_PKT1_PKT2_PKS2_S3_PS4_PS7_PS2_,"axG",@progbits,_ZN9rocsparseL38csr2bsr_block_per_row_multipass_kernelILj256ELj64EillEEv20rocsparse_direction_T3_S2_S2_S2_S2_21rocsparse_index_base_PKT1_PKT2_PKS2_S3_PS4_PS7_PS2_,comdat
	.globl	_ZN9rocsparseL38csr2bsr_block_per_row_multipass_kernelILj256ELj64EillEEv20rocsparse_direction_T3_S2_S2_S2_S2_21rocsparse_index_base_PKT1_PKT2_PKS2_S3_PS4_PS7_PS2_ ; -- Begin function _ZN9rocsparseL38csr2bsr_block_per_row_multipass_kernelILj256ELj64EillEEv20rocsparse_direction_T3_S2_S2_S2_S2_21rocsparse_index_base_PKT1_PKT2_PKS2_S3_PS4_PS7_PS2_
	.p2align	8
	.type	_ZN9rocsparseL38csr2bsr_block_per_row_multipass_kernelILj256ELj64EillEEv20rocsparse_direction_T3_S2_S2_S2_S2_21rocsparse_index_base_PKT1_PKT2_PKS2_S3_PS4_PS7_PS2_,@function
_ZN9rocsparseL38csr2bsr_block_per_row_multipass_kernelILj256ELj64EillEEv20rocsparse_direction_T3_S2_S2_S2_S2_21rocsparse_index_base_PKT1_PKT2_PKS2_S3_PS4_PS7_PS2_: ; @_ZN9rocsparseL38csr2bsr_block_per_row_multipass_kernelILj256ELj64EillEEv20rocsparse_direction_T3_S2_S2_S2_S2_21rocsparse_index_base_PKT1_PKT2_PKS2_S3_PS4_PS7_PS2_
; %bb.0:
	s_load_dwordx2 s[6:7], s[0:1], 0x8
	s_load_dwordx4 s[20:23], s[0:1], 0x20
	s_load_dword s33, s[0:1], 0x30
	s_load_dwordx2 s[4:5], s[0:1], 0x40
	s_ashr_i32 s3, s2, 31
	v_lshrrev_b32_e32 v10, 2, v0
	v_mov_b32_e32 v11, 0
	s_waitcnt lgkmcnt(0)
	s_mul_i32 s8, s2, s23
	s_mul_i32 s9, s3, s22
	v_mov_b32_e32 v1, s22
	s_add_i32 s10, s8, s9
	v_mad_u64_u32 v[4:5], s[8:9], s2, v1, v[10:11]
	v_add_u32_e32 v5, s10, v5
	v_cmp_gt_i64_e32 vcc, s[6:7], v[4:5]
	v_cmp_gt_i64_e64 s[18:19], s[22:23], v[10:11]
	v_mov_b64_e32 v[2:3], 0
	s_and_b64 s[6:7], s[18:19], vcc
	v_mov_b64_e32 v[42:43], v[2:3]
	s_and_saveexec_b64 s[8:9], s[6:7]
	s_cbranch_execnz .LBB34_3
; %bb.1:
	s_or_b64 exec, exec, s[8:9]
	s_and_saveexec_b64 s[8:9], s[6:7]
	s_cbranch_execnz .LBB34_4
.LBB34_2:
	s_or_b64 exec, exec, s[8:9]
	v_cmp_lt_i64_e64 s[4:5], s[20:21], 1
	s_and_b64 vcc, exec, s[4:5]
	s_cbranch_vccz .LBB34_5
	s_branch .LBB34_69
.LBB34_3:
	v_lshl_add_u64 v[6:7], v[4:5], 3, s[4:5]
	global_load_dwordx2 v[6:7], v[6:7], off
	s_waitcnt vmcnt(0)
	v_subrev_co_u32_e32 v42, vcc, s33, v6
	s_nop 1
	v_subbrev_co_u32_e32 v43, vcc, 0, v7, vcc
	s_or_b64 exec, exec, s[8:9]
	s_and_saveexec_b64 s[8:9], s[6:7]
	s_cbranch_execz .LBB34_2
.LBB34_4:
	v_lshl_add_u64 v[2:3], v[4:5], 3, s[4:5]
	global_load_dwordx2 v[2:3], v[2:3], off offset:8
	s_waitcnt vmcnt(0)
	v_subrev_co_u32_e32 v2, vcc, s33, v2
	s_nop 1
	v_subbrev_co_u32_e32 v3, vcc, 0, v3, vcc
	s_or_b64 exec, exec, s[8:9]
	v_cmp_lt_i64_e64 s[4:5], s[20:21], 1
	s_and_b64 vcc, exec, s[4:5]
	s_cbranch_vccnz .LBB34_69
.LBB34_5:
	s_load_dwordx2 s[24:25], s[0:1], 0x68
	s_load_dwordx4 s[4:7], s[0:1], 0x58
	s_load_dword s66, s[0:1], 0x50
	s_mul_i32 s8, s22, s23
	s_mul_hi_u32 s9, s22, s22
	s_add_i32 s9, s9, s8
	s_add_i32 s68, s9, s8
	s_lshl_b64 s[2:3], s[2:3], 3
	s_waitcnt lgkmcnt(0)
	s_add_u32 s2, s6, s2
	s_addc_u32 s3, s7, s3
	s_load_dwordx2 s[6:7], s[2:3], 0x0
	s_load_dwordx2 s[26:27], s[0:1], 0x48
	;; [unrolled: 1-line block ×3, first 2 shown]
	s_load_dword s8, s[0:1], 0x0
	v_mad_u64_u32 v[12:13], s[2:3], v10, s22, 0
	v_mov_b32_e32 v14, v13
	v_lshlrev_b32_e32 v6, 2, v10
	v_mov_b32_e32 v4, 0
	s_waitcnt lgkmcnt(0)
	s_sub_u32 s30, s6, s66
	v_lshlrev_b32_e32 v56, 6, v10
	v_mad_u64_u32 v[10:11], s[2:3], v10, s23, v[14:15]
	v_mov_b32_e32 v7, v4
	v_and_b32_e32 v8, 3, v0
	s_subb_u32 s31, s7, 0
	v_mbcnt_lo_u32_b32 v1, -1, 0
	v_mov_b32_e32 v13, v10
	s_movk_i32 s2, 0x80
	v_lshl_add_u64 v[6:7], s[4:5], 0, v[6:7]
	v_mbcnt_hi_u32_b32 v1, -1, v1
	s_cmp_eq_u32 s8, 0
	v_lshl_add_u64 v[10:11], v[12:13], 2, s[4:5]
	v_lshlrev_b32_e32 v58, 3, v0
	v_cmp_gt_u32_e64 s[2:3], s2, v0
	v_cmp_gt_u32_e64 s[4:5], 64, v0
	;; [unrolled: 1-line block ×7, first 2 shown]
	v_cmp_eq_u32_e64 s[16:17], 0, v0
	v_or_b32_e32 v0, v56, v8
	v_lshl_or_b32 v57, v1, 2, 12
	v_lshlrev_b32_e32 v12, 2, v8
	v_mov_b32_e32 v13, v4
	v_lshlrev_b32_e32 v59, 2, v0
	v_mad_u64_u32 v[0:1], s[36:37], v8, s22, 0
	v_lshl_add_u64 v[10:11], v[10:11], 0, v[12:13]
	v_mov_b32_e32 v12, v1
	v_mad_u64_u32 v[12:13], s[36:37], v8, s23, v[12:13]
	v_or_b32_e32 v14, 4, v8
	v_mov_b32_e32 v9, v4
	v_mov_b32_e32 v1, v12
	v_mad_u64_u32 v[12:13], s[38:39], v14, s22, 0
	v_cmp_gt_i64_e32 vcc, s[22:23], v[8:9]
	v_mov_b32_e32 v15, v4
	v_mov_b32_e32 v16, v13
	s_cselect_b64 s[0:1], -1, 0
	s_and_b64 s[34:35], s[18:19], vcc
	v_cmp_gt_i64_e32 vcc, s[22:23], v[14:15]
	v_mad_u64_u32 v[14:15], s[38:39], v14, s23, v[16:17]
	v_or_b32_e32 v16, 8, v8
	v_mov_b32_e32 v13, v14
	v_mad_u64_u32 v[14:15], s[40:41], v16, s22, 0
	v_mov_b32_e32 v17, v4
	v_mov_b32_e32 v18, v15
	s_and_b64 s[36:37], s[18:19], vcc
	v_cmp_gt_i64_e32 vcc, s[22:23], v[16:17]
	v_mad_u64_u32 v[16:17], s[40:41], v16, s23, v[18:19]
	v_or_b32_e32 v18, 12, v8
	v_mov_b32_e32 v15, v16
	v_mad_u64_u32 v[16:17], s[42:43], v18, s22, 0
	v_mov_b32_e32 v19, v4
	v_mov_b32_e32 v20, v17
	;; [unrolled: 8-line block ×13, first 2 shown]
	s_and_b64 s[60:61], s[18:19], vcc
	v_cmp_gt_i64_e32 vcc, s[22:23], v[40:41]
	v_mad_u64_u32 v[40:41], s[64:65], v40, s23, v[44:45]
	v_or_b32_e32 v44, 60, v8
	v_mov_b32_e32 v45, v4
	s_and_b64 s[62:63], s[18:19], vcc
	v_cmp_gt_i64_e32 vcc, s[22:23], v[44:45]
	v_mov_b32_e32 v39, v40
	s_and_b64 s[64:65], s[18:19], vcc
	v_mad_u64_u32 v[40:41], s[18:19], v44, s22, 0
	v_mov_b32_e32 v46, v41
	v_mad_u64_u32 v[44:45], s[18:19], v44, s23, v[46:47]
	s_mov_b32 s67, 0
	s_mul_i32 s69, s22, s22
	v_mov_b32_e32 v41, v44
	s_mov_b64 s[88:89], 0
	s_mov_b64 s[72:73], 0x80
	s_mov_b64 s[74:75], 0x90
	s_mov_b64 s[76:77], 0xa0
	s_mov_b64 s[78:79], 0xb0
	s_mov_b64 s[80:81], 0xc0
	s_mov_b64 s[82:83], 0xd0
	s_mov_b64 s[84:85], 0xe0
	s_mov_b64 s[86:87], 0xf0
	v_mov_b32_e32 v60, 1
	s_branch .LBB34_7
.LBB34_6:                               ;   in Loop: Header=BB34_7 Depth=1
	s_or_b64 exec, exec, s[88:89]
	s_waitcnt lgkmcnt(0)
	s_barrier
	ds_read_b64 v[44:45], v4
	s_add_u32 s30, s18, s30
	s_addc_u32 s31, s19, s31
	s_waitcnt lgkmcnt(0)
	s_barrier
	v_cmp_gt_i64_e32 vcc, s[20:21], v[44:45]
	v_readfirstlane_b32 s88, v44
	v_readfirstlane_b32 s89, v45
	s_cbranch_vccz .LBB34_69
.LBB34_7:                               ; =>This Loop Header: Depth=1
                                        ;     Child Loop BB34_10 Depth 2
	v_lshl_add_u64 v[42:43], v[42:43], 0, v[8:9]
	v_cmp_lt_i64_e32 vcc, v[42:43], v[2:3]
	v_mov_b64_e32 v[44:45], s[20:21]
	v_mov_b64_e32 v[54:55], v[2:3]
	ds_write_b8 v4, v4 offset:16384
	ds_write2_b32 v59, v4, v4 offset1:4
	ds_write2_b32 v59, v4, v4 offset0:8 offset1:12
	ds_write2_b32 v59, v4, v4 offset0:16 offset1:20
	;; [unrolled: 1-line block ×7, first 2 shown]
	s_waitcnt lgkmcnt(0)
	s_barrier
	s_and_saveexec_b64 s[90:91], vcc
	s_cbranch_execz .LBB34_19
; %bb.8:                                ;   in Loop: Header=BB34_7 Depth=1
	s_mul_i32 s70, s88, s22
	v_lshl_add_u64 v[46:47], v[42:43], 2, s[28:29]
	v_lshl_add_u64 v[48:49], v[42:43], 3, s[26:27]
	s_mov_b64 s[92:93], 0
	v_mov_b64_e32 v[44:45], s[20:21]
	v_mov_b64_e32 v[50:51], v[2:3]
	s_branch .LBB34_10
.LBB34_9:                               ;   in Loop: Header=BB34_10 Depth=2
	s_or_b64 exec, exec, s[18:19]
	v_lshl_add_u64 v[42:43], v[42:43], 0, 4
	v_cmp_ge_i64_e64 s[18:19], v[42:43], v[2:3]
	s_xor_b64 s[94:95], vcc, -1
	s_or_b64 s[18:19], s[94:95], s[18:19]
	s_and_b64 s[18:19], exec, s[18:19]
	v_lshl_add_u64 v[46:47], v[46:47], 0, 16
	v_lshl_add_u64 v[48:49], v[48:49], 0, 32
	s_or_b64 s[92:93], s[18:19], s[92:93]
	v_mov_b64_e32 v[50:51], v[54:55]
	s_andn2_b64 exec, exec, s[92:93]
	s_cbranch_execz .LBB34_18
.LBB34_10:                              ;   Parent Loop BB34_7 Depth=1
                                        ; =>  This Inner Loop Header: Depth=2
	global_load_dwordx2 v[52:53], v[48:49], off
	v_mov_b32_e32 v5, s67
                                        ; implicit-def: $vgpr54_vgpr55
	s_waitcnt vmcnt(0)
	v_subrev_co_u32_e32 v52, vcc, s33, v52
	s_nop 1
	v_subb_co_u32_e32 v53, vcc, v53, v5, vcc
	v_or_b32_e32 v5, s23, v53
	v_cmp_ne_u64_e32 vcc, 0, v[4:5]
	s_and_saveexec_b64 s[18:19], vcc
	s_xor_b64 s[94:95], exec, s[18:19]
	s_cbranch_execz .LBB34_12
; %bb.11:                               ;   in Loop: Header=BB34_10 Depth=2
	s_ashr_i32 s96, s23, 31
	s_add_u32 s18, s22, s96
	s_mov_b32 s97, s96
	s_addc_u32 s19, s23, s96
	s_xor_b64 s[98:99], s[18:19], s[96:97]
	v_cvt_f32_u32_e32 v5, s98
	v_cvt_f32_u32_e32 v54, s99
	s_sub_u32 s18, 0, s98
	s_subb_u32 s19, 0, s99
	v_mov_b32_e32 v63, v4
	v_fmac_f32_e32 v5, 0x4f800000, v54
	v_rcp_f32_e32 v5, v5
	s_nop 0
	v_mul_f32_e32 v5, 0x5f7ffffc, v5
	v_mul_f32_e32 v54, 0x2f800000, v5
	v_trunc_f32_e32 v54, v54
	v_fmac_f32_e32 v5, 0xcf800000, v54
	v_cvt_u32_f32_e32 v61, v54
	v_cvt_u32_f32_e32 v5, v5
	v_mul_lo_u32 v54, s18, v61
	v_mul_hi_u32 v62, s18, v5
	v_mul_lo_u32 v55, s19, v5
	v_add_u32_e32 v54, v62, v54
	v_mul_lo_u32 v64, s18, v5
	v_add_u32_e32 v65, v54, v55
	v_mul_hi_u32 v55, v5, v65
	v_mul_lo_u32 v54, v5, v65
	v_mul_hi_u32 v62, v5, v64
	v_lshl_add_u64 v[54:55], v[62:63], 0, v[54:55]
	v_mul_hi_u32 v63, v61, v64
	v_mul_lo_u32 v64, v61, v64
	v_add_co_u32_e32 v54, vcc, v54, v64
	v_mul_hi_u32 v62, v61, v65
	s_nop 0
	v_addc_co_u32_e32 v54, vcc, v55, v63, vcc
	v_mov_b32_e32 v55, v4
	s_nop 0
	v_addc_co_u32_e32 v63, vcc, 0, v62, vcc
	v_mul_lo_u32 v62, v61, v65
	v_lshl_add_u64 v[54:55], v[54:55], 0, v[62:63]
	v_add_co_u32_e32 v5, vcc, v5, v54
	v_mul_lo_u32 v62, s18, v5
	s_nop 0
	v_addc_co_u32_e32 v61, vcc, v61, v55, vcc
	v_mul_lo_u32 v54, s18, v61
	v_mul_hi_u32 v55, s18, v5
	v_add_u32_e32 v54, v55, v54
	v_mul_lo_u32 v55, s19, v5
	v_add_u32_e32 v64, v54, v55
	v_mul_hi_u32 v66, v61, v62
	v_mul_lo_u32 v67, v61, v62
	v_mul_hi_u32 v55, v5, v64
	v_mul_lo_u32 v54, v5, v64
	v_mul_hi_u32 v62, v5, v62
	v_mov_b32_e32 v63, v4
	v_lshl_add_u64 v[54:55], v[62:63], 0, v[54:55]
	v_add_co_u32_e32 v54, vcc, v54, v67
	v_mul_hi_u32 v65, v61, v64
	s_nop 0
	v_addc_co_u32_e32 v54, vcc, v55, v66, vcc
	v_mul_lo_u32 v62, v61, v64
	s_nop 0
	v_addc_co_u32_e32 v63, vcc, 0, v65, vcc
	v_mov_b32_e32 v55, v4
	v_lshl_add_u64 v[54:55], v[54:55], 0, v[62:63]
	v_add_co_u32_e32 v5, vcc, v5, v54
	v_ashrrev_i32_e32 v54, 31, v53
	s_nop 0
	v_addc_co_u32_e32 v61, vcc, v61, v55, vcc
	v_mov_b32_e32 v55, v54
	v_lshl_add_u64 v[62:63], v[52:53], 0, v[54:55]
	v_xor_b32_e32 v55, v62, v54
	v_xor_b32_e32 v53, v63, v54
	v_mad_u64_u32 v[62:63], s[18:19], v55, v61, 0
	v_mul_hi_u32 v64, v55, v5
	v_mov_b32_e32 v65, v4
	v_lshl_add_u64 v[62:63], v[64:65], 0, v[62:63]
	v_mad_u64_u32 v[66:67], s[18:19], v53, v5, 0
	v_add_co_u32_e32 v5, vcc, v62, v66
	v_mad_u64_u32 v[64:65], s[18:19], v53, v61, 0
	s_nop 0
	v_addc_co_u32_e32 v62, vcc, v63, v67, vcc
	v_mov_b32_e32 v63, v4
	s_nop 0
	v_addc_co_u32_e32 v65, vcc, 0, v65, vcc
	v_lshl_add_u64 v[62:63], v[62:63], 0, v[64:65]
	v_mul_lo_u32 v5, s99, v62
	v_mul_lo_u32 v61, s98, v63
	v_mad_u64_u32 v[64:65], s[18:19], s98, v62, 0
	v_add3_u32 v5, v65, v61, v5
	v_sub_u32_e32 v61, v53, v5
	v_mov_b32_e32 v65, s99
	v_sub_co_u32_e32 v55, vcc, v55, v64
	v_lshl_add_u64 v[66:67], v[62:63], 0, 1
	s_nop 0
	v_subb_co_u32_e64 v61, s[18:19], v61, v65, vcc
	v_subrev_co_u32_e64 v64, s[18:19], s98, v55
	v_subb_co_u32_e32 v5, vcc, v53, v5, vcc
	s_nop 0
	v_subbrev_co_u32_e64 v61, s[18:19], 0, v61, s[18:19]
	v_cmp_le_u32_e64 s[18:19], s99, v61
	v_cmp_le_u32_e32 vcc, s99, v5
	s_nop 0
	v_cndmask_b32_e64 v65, 0, -1, s[18:19]
	v_cmp_le_u32_e64 s[18:19], s98, v64
	v_cndmask_b32_e64 v53, 0, -1, vcc
	v_cmp_le_u32_e32 vcc, s98, v55
	v_cndmask_b32_e64 v64, 0, -1, s[18:19]
	v_cmp_eq_u32_e64 s[18:19], s99, v61
	v_cndmask_b32_e64 v55, 0, -1, vcc
	v_cmp_eq_u32_e32 vcc, s99, v5
	v_cndmask_b32_e64 v61, v65, v64, s[18:19]
	v_lshl_add_u64 v[64:65], v[62:63], 0, 2
	v_cmp_ne_u32_e64 s[18:19], 0, v61
	v_cndmask_b32_e32 v5, v53, v55, vcc
	v_cmp_ne_u32_e32 vcc, 0, v5
	v_cndmask_b32_e64 v53, v66, v64, s[18:19]
	v_cndmask_b32_e64 v61, v67, v65, s[18:19]
	v_cndmask_b32_e32 v53, v62, v53, vcc
	v_xor_b32_e32 v55, s96, v54
	v_cndmask_b32_e32 v5, v63, v61, vcc
	v_xor_b32_e32 v53, v53, v55
	v_xor_b32_e32 v5, v5, v55
	v_sub_co_u32_e32 v54, vcc, v53, v55
	s_nop 1
	v_subb_co_u32_e32 v55, vcc, v5, v55, vcc
.LBB34_12:                              ;   in Loop: Header=BB34_10 Depth=2
	s_andn2_saveexec_b64 s[18:19], s[94:95]
	s_cbranch_execz .LBB34_14
; %bb.13:                               ;   in Loop: Header=BB34_10 Depth=2
	v_cvt_f32_u32_e32 v5, s22
	s_sub_i32 s71, 0, s22
	v_rcp_iflag_f32_e32 v5, v5
	s_nop 0
	v_mul_f32_e32 v5, 0x4f7ffffe, v5
	v_cvt_u32_f32_e32 v5, v5
	v_mul_lo_u32 v53, s71, v5
	v_mul_hi_u32 v53, v5, v53
	v_add_u32_e32 v5, v5, v53
	v_mul_hi_u32 v5, v52, v5
	v_mul_lo_u32 v53, v5, s22
	v_sub_u32_e32 v53, v52, v53
	v_add_u32_e32 v54, 1, v5
	v_subrev_u32_e32 v55, s22, v53
	v_cmp_le_u32_e32 vcc, s22, v53
	s_nop 1
	v_cndmask_b32_e32 v53, v53, v55, vcc
	v_cndmask_b32_e32 v5, v5, v54, vcc
	v_add_u32_e32 v54, 1, v5
	v_cmp_le_u32_e32 vcc, s22, v53
	v_mov_b32_e32 v55, v4
	s_nop 0
	v_cndmask_b32_e32 v54, v5, v54, vcc
.LBB34_14:                              ;   in Loop: Header=BB34_10 Depth=2
	s_or_b64 exec, exec, s[18:19]
	v_cmp_eq_u64_e32 vcc, s[88:89], v[54:55]
	v_cmp_ne_u64_e64 s[18:19], s[88:89], v[54:55]
	s_and_saveexec_b64 s[94:95], s[18:19]
	s_xor_b64 s[94:95], exec, s[94:95]
; %bb.15:                               ;   in Loop: Header=BB34_10 Depth=2
	v_cmp_lt_i64_e64 s[18:19], v[54:55], v[44:45]
                                        ; implicit-def: $vgpr52_vgpr53
                                        ; implicit-def: $vgpr50_vgpr51
	s_nop 1
	v_cndmask_b32_e64 v45, v45, v55, s[18:19]
	v_cndmask_b32_e64 v44, v44, v54, s[18:19]
; %bb.16:                               ;   in Loop: Header=BB34_10 Depth=2
	s_or_saveexec_b64 s[18:19], s[94:95]
	v_mov_b64_e32 v[54:55], v[42:43]
	s_xor_b64 exec, exec, s[18:19]
	s_cbranch_execz .LBB34_9
; %bb.17:                               ;   in Loop: Header=BB34_10 Depth=2
	global_load_dword v5, v[46:47], off
	v_subrev_u32_e32 v52, s70, v52
	v_add_lshl_u32 v52, v56, v52, 2
	v_mov_b64_e32 v[54:55], v[50:51]
	ds_write_b8 v4, v60 offset:16384
	s_waitcnt vmcnt(0)
	ds_write_b32 v52, v5
	s_branch .LBB34_9
.LBB34_18:                              ;   in Loop: Header=BB34_7 Depth=1
	s_or_b64 exec, exec, s[92:93]
.LBB34_19:                              ;   in Loop: Header=BB34_7 Depth=1
	s_or_b64 exec, exec, s[90:91]
	v_mov_b32_dpp v42, v54 row_shr:1 row_mask:0xf bank_mask:0xf
	v_mov_b32_dpp v43, v55 row_shr:1 row_mask:0xf bank_mask:0xf
	v_cmp_lt_i64_e32 vcc, v[42:43], v[54:55]
	s_waitcnt lgkmcnt(0)
	s_barrier
	v_cndmask_b32_e32 v43, v55, v43, vcc
	v_cndmask_b32_e32 v42, v54, v42, vcc
	s_nop 0
	v_mov_b32_dpp v47, v43 row_shr:2 row_mask:0xf bank_mask:0xf
	v_mov_b32_dpp v46, v42 row_shr:2 row_mask:0xf bank_mask:0xf
	v_cmp_lt_i64_e32 vcc, v[46:47], v[42:43]
	s_mov_b64 s[18:19], 0
	s_nop 0
	v_cndmask_b32_e32 v5, v43, v47, vcc
	ds_read_u8 v47, v4 offset:16384
	v_cndmask_b32_e32 v42, v42, v46, vcc
	ds_bpermute_b32 v42, v57, v42
	ds_bpermute_b32 v43, v57, v5
	s_waitcnt lgkmcnt(2)
	v_cmp_eq_u32_e32 vcc, 0, v47
	s_cbranch_vccnz .LBB34_38
; %bb.20:                               ;   in Loop: Header=BB34_7 Depth=1
	s_add_u32 s18, s88, s66
	s_addc_u32 s19, s89, 0
	s_lshl_b64 s[70:71], s[30:31], 3
	s_add_u32 s70, s24, s70
	v_mov_b64_e32 v[46:47], s[18:19]
	s_mul_i32 s18, s69, s31
	s_mul_hi_u32 s19, s69, s30
	s_addc_u32 s71, s25, s71
	s_add_i32 s18, s19, s18
	s_mul_i32 s19, s68, s30
	s_add_i32 s19, s18, s19
	s_mul_i32 s18, s69, s30
	s_lshl_b64 s[18:19], s[18:19], 2
	global_store_dwordx2 v4, v[46:47], s[70:71]
	v_lshl_add_u64 v[46:47], v[6:7], 0, s[18:19]
	v_lshl_add_u64 v[48:49], v[10:11], 0, s[18:19]
	s_and_saveexec_b64 s[18:19], s[34:35]
	s_cbranch_execnz .LBB34_54
; %bb.21:                               ;   in Loop: Header=BB34_7 Depth=1
	s_or_b64 exec, exec, s[18:19]
	s_and_saveexec_b64 s[18:19], s[36:37]
	s_cbranch_execnz .LBB34_55
.LBB34_22:                              ;   in Loop: Header=BB34_7 Depth=1
	s_or_b64 exec, exec, s[18:19]
	s_and_saveexec_b64 s[18:19], s[38:39]
	s_cbranch_execnz .LBB34_56
.LBB34_23:                              ;   in Loop: Header=BB34_7 Depth=1
	s_or_b64 exec, exec, s[18:19]
	s_and_saveexec_b64 s[18:19], s[40:41]
	s_cbranch_execnz .LBB34_57
.LBB34_24:                              ;   in Loop: Header=BB34_7 Depth=1
	s_or_b64 exec, exec, s[18:19]
	s_and_saveexec_b64 s[18:19], s[42:43]
	s_cbranch_execnz .LBB34_58
.LBB34_25:                              ;   in Loop: Header=BB34_7 Depth=1
	s_or_b64 exec, exec, s[18:19]
	s_and_saveexec_b64 s[18:19], s[44:45]
	s_cbranch_execnz .LBB34_59
.LBB34_26:                              ;   in Loop: Header=BB34_7 Depth=1
	s_or_b64 exec, exec, s[18:19]
	s_and_saveexec_b64 s[18:19], s[46:47]
	s_cbranch_execnz .LBB34_60
.LBB34_27:                              ;   in Loop: Header=BB34_7 Depth=1
	s_or_b64 exec, exec, s[18:19]
	s_and_saveexec_b64 s[18:19], s[48:49]
	s_cbranch_execnz .LBB34_61
.LBB34_28:                              ;   in Loop: Header=BB34_7 Depth=1
	s_or_b64 exec, exec, s[18:19]
	s_and_saveexec_b64 s[18:19], s[50:51]
	s_cbranch_execnz .LBB34_62
.LBB34_29:                              ;   in Loop: Header=BB34_7 Depth=1
	s_or_b64 exec, exec, s[18:19]
	s_and_saveexec_b64 s[18:19], s[52:53]
	s_cbranch_execnz .LBB34_63
.LBB34_30:                              ;   in Loop: Header=BB34_7 Depth=1
	s_or_b64 exec, exec, s[18:19]
	s_and_saveexec_b64 s[18:19], s[54:55]
	s_cbranch_execnz .LBB34_64
.LBB34_31:                              ;   in Loop: Header=BB34_7 Depth=1
	s_or_b64 exec, exec, s[18:19]
	s_and_saveexec_b64 s[18:19], s[56:57]
	s_cbranch_execnz .LBB34_65
.LBB34_32:                              ;   in Loop: Header=BB34_7 Depth=1
	s_or_b64 exec, exec, s[18:19]
	s_and_saveexec_b64 s[18:19], s[58:59]
	s_cbranch_execnz .LBB34_66
.LBB34_33:                              ;   in Loop: Header=BB34_7 Depth=1
	s_or_b64 exec, exec, s[18:19]
	s_and_saveexec_b64 s[18:19], s[60:61]
	s_cbranch_execnz .LBB34_67
.LBB34_34:                              ;   in Loop: Header=BB34_7 Depth=1
	s_or_b64 exec, exec, s[18:19]
	s_and_saveexec_b64 s[18:19], s[62:63]
	s_cbranch_execnz .LBB34_68
.LBB34_35:                              ;   in Loop: Header=BB34_7 Depth=1
	s_or_b64 exec, exec, s[18:19]
	s_and_saveexec_b64 s[18:19], s[64:65]
	s_cbranch_execz .LBB34_37
.LBB34_36:                              ;   in Loop: Header=BB34_7 Depth=1
	ds_read_b32 v5, v59 offset:240
	v_lshl_add_u64 v[48:49], v[48:49], 0, s[86:87]
	v_lshl_add_u64 v[46:47], v[40:41], 2, v[46:47]
	v_cndmask_b32_e64 v47, v47, v49, s[0:1]
	v_cndmask_b32_e64 v46, v46, v48, s[0:1]
	s_waitcnt lgkmcnt(0)
	global_store_dword v[46:47], v5, off
.LBB34_37:                              ;   in Loop: Header=BB34_7 Depth=1
	s_or_b64 exec, exec, s[18:19]
	s_mov_b64 s[18:19], 1
.LBB34_38:                              ;   in Loop: Header=BB34_7 Depth=1
	s_waitcnt lgkmcnt(0)
	s_barrier
	ds_write_b64 v58, v[44:45]
	s_waitcnt lgkmcnt(0)
	s_barrier
	s_and_saveexec_b64 s[88:89], s[2:3]
	s_cbranch_execz .LBB34_40
; %bb.39:                               ;   in Loop: Header=BB34_7 Depth=1
	ds_read2st64_b64 v[44:47], v58 offset1:2
	s_waitcnt lgkmcnt(0)
	v_cmp_lt_i64_e32 vcc, v[46:47], v[44:45]
	s_nop 1
	v_cndmask_b32_e32 v45, v45, v47, vcc
	v_cndmask_b32_e32 v44, v44, v46, vcc
	ds_write_b64 v58, v[44:45]
.LBB34_40:                              ;   in Loop: Header=BB34_7 Depth=1
	s_or_b64 exec, exec, s[88:89]
	s_waitcnt lgkmcnt(0)
	s_barrier
	s_and_saveexec_b64 s[88:89], s[4:5]
	s_cbranch_execz .LBB34_42
; %bb.41:                               ;   in Loop: Header=BB34_7 Depth=1
	ds_read2st64_b64 v[44:47], v58 offset1:1
	s_waitcnt lgkmcnt(0)
	v_cmp_lt_i64_e32 vcc, v[46:47], v[44:45]
	s_nop 1
	v_cndmask_b32_e32 v45, v45, v47, vcc
	v_cndmask_b32_e32 v44, v44, v46, vcc
	ds_write_b64 v58, v[44:45]
.LBB34_42:                              ;   in Loop: Header=BB34_7 Depth=1
	s_or_b64 exec, exec, s[88:89]
	s_waitcnt lgkmcnt(0)
	s_barrier
	s_and_saveexec_b64 s[88:89], s[6:7]
	s_cbranch_execz .LBB34_44
; %bb.43:                               ;   in Loop: Header=BB34_7 Depth=1
	ds_read2_b64 v[44:47], v58 offset1:32
	s_waitcnt lgkmcnt(0)
	v_cmp_lt_i64_e32 vcc, v[46:47], v[44:45]
	s_nop 1
	v_cndmask_b32_e32 v45, v45, v47, vcc
	v_cndmask_b32_e32 v44, v44, v46, vcc
	ds_write_b64 v58, v[44:45]
.LBB34_44:                              ;   in Loop: Header=BB34_7 Depth=1
	s_or_b64 exec, exec, s[88:89]
	s_waitcnt lgkmcnt(0)
	s_barrier
	s_and_saveexec_b64 s[88:89], s[8:9]
	s_cbranch_execz .LBB34_46
; %bb.45:                               ;   in Loop: Header=BB34_7 Depth=1
	ds_read2_b64 v[44:47], v58 offset1:16
	s_waitcnt lgkmcnt(0)
	v_cmp_lt_i64_e32 vcc, v[46:47], v[44:45]
	s_nop 1
	v_cndmask_b32_e32 v45, v45, v47, vcc
	v_cndmask_b32_e32 v44, v44, v46, vcc
	ds_write_b64 v58, v[44:45]
.LBB34_46:                              ;   in Loop: Header=BB34_7 Depth=1
	;; [unrolled: 14-line block ×5, first 2 shown]
	s_or_b64 exec, exec, s[88:89]
	s_waitcnt lgkmcnt(0)
	s_barrier
	s_and_saveexec_b64 s[88:89], s[16:17]
	s_cbranch_execz .LBB34_6
; %bb.53:                               ;   in Loop: Header=BB34_7 Depth=1
	ds_read_b128 v[44:47], v4
	s_waitcnt lgkmcnt(0)
	v_cmp_lt_i64_e32 vcc, v[46:47], v[44:45]
	s_nop 1
	v_cndmask_b32_e32 v45, v45, v47, vcc
	v_cndmask_b32_e32 v44, v44, v46, vcc
	ds_write_b64 v4, v[44:45]
	s_branch .LBB34_6
.LBB34_54:                              ;   in Loop: Header=BB34_7 Depth=1
	ds_read_b32 v5, v59
	v_lshl_add_u64 v[50:51], v[0:1], 2, v[46:47]
	v_cndmask_b32_e64 v51, v51, v49, s[0:1]
	v_cndmask_b32_e64 v50, v50, v48, s[0:1]
	s_waitcnt lgkmcnt(0)
	global_store_dword v[50:51], v5, off
	s_or_b64 exec, exec, s[18:19]
	s_and_saveexec_b64 s[18:19], s[36:37]
	s_cbranch_execz .LBB34_22
.LBB34_55:                              ;   in Loop: Header=BB34_7 Depth=1
	ds_read_b32 v5, v59 offset:16
	v_lshl_add_u64 v[50:51], v[48:49], 0, 16
	v_lshl_add_u64 v[52:53], v[12:13], 2, v[46:47]
	v_cndmask_b32_e64 v51, v53, v51, s[0:1]
	v_cndmask_b32_e64 v50, v52, v50, s[0:1]
	s_waitcnt lgkmcnt(0)
	global_store_dword v[50:51], v5, off
	s_or_b64 exec, exec, s[18:19]
	s_and_saveexec_b64 s[18:19], s[38:39]
	s_cbranch_execz .LBB34_23
.LBB34_56:                              ;   in Loop: Header=BB34_7 Depth=1
	ds_read_b32 v5, v59 offset:32
	v_lshl_add_u64 v[50:51], v[48:49], 0, 32
	v_lshl_add_u64 v[52:53], v[14:15], 2, v[46:47]
	v_cndmask_b32_e64 v51, v53, v51, s[0:1]
	v_cndmask_b32_e64 v50, v52, v50, s[0:1]
	s_waitcnt lgkmcnt(0)
	global_store_dword v[50:51], v5, off
	s_or_b64 exec, exec, s[18:19]
	s_and_saveexec_b64 s[18:19], s[40:41]
	s_cbranch_execz .LBB34_24
.LBB34_57:                              ;   in Loop: Header=BB34_7 Depth=1
	ds_read_b32 v5, v59 offset:48
	v_lshl_add_u64 v[50:51], v[48:49], 0, 48
	v_lshl_add_u64 v[52:53], v[16:17], 2, v[46:47]
	v_cndmask_b32_e64 v51, v53, v51, s[0:1]
	v_cndmask_b32_e64 v50, v52, v50, s[0:1]
	s_waitcnt lgkmcnt(0)
	global_store_dword v[50:51], v5, off
	s_or_b64 exec, exec, s[18:19]
	s_and_saveexec_b64 s[18:19], s[42:43]
	s_cbranch_execz .LBB34_25
.LBB34_58:                              ;   in Loop: Header=BB34_7 Depth=1
	ds_read_b32 v5, v59 offset:64
	v_lshl_add_u64 v[50:51], v[48:49], 0, 64
	v_lshl_add_u64 v[52:53], v[18:19], 2, v[46:47]
	v_cndmask_b32_e64 v51, v53, v51, s[0:1]
	v_cndmask_b32_e64 v50, v52, v50, s[0:1]
	s_waitcnt lgkmcnt(0)
	global_store_dword v[50:51], v5, off
	s_or_b64 exec, exec, s[18:19]
	s_and_saveexec_b64 s[18:19], s[44:45]
	s_cbranch_execz .LBB34_26
.LBB34_59:                              ;   in Loop: Header=BB34_7 Depth=1
	ds_read_b32 v5, v59 offset:80
	s_mov_b64 s[70:71], 0x50
	v_lshl_add_u64 v[50:51], v[48:49], 0, s[70:71]
	v_lshl_add_u64 v[52:53], v[20:21], 2, v[46:47]
	v_cndmask_b32_e64 v51, v53, v51, s[0:1]
	v_cndmask_b32_e64 v50, v52, v50, s[0:1]
	s_waitcnt lgkmcnt(0)
	global_store_dword v[50:51], v5, off
	s_or_b64 exec, exec, s[18:19]
	s_and_saveexec_b64 s[18:19], s[46:47]
	s_cbranch_execz .LBB34_27
.LBB34_60:                              ;   in Loop: Header=BB34_7 Depth=1
	ds_read_b32 v5, v59 offset:96
	s_mov_b64 s[70:71], 0x60
	v_lshl_add_u64 v[50:51], v[48:49], 0, s[70:71]
	v_lshl_add_u64 v[52:53], v[22:23], 2, v[46:47]
	v_cndmask_b32_e64 v51, v53, v51, s[0:1]
	v_cndmask_b32_e64 v50, v52, v50, s[0:1]
	s_waitcnt lgkmcnt(0)
	global_store_dword v[50:51], v5, off
	s_or_b64 exec, exec, s[18:19]
	s_and_saveexec_b64 s[18:19], s[48:49]
	s_cbranch_execz .LBB34_28
.LBB34_61:                              ;   in Loop: Header=BB34_7 Depth=1
	ds_read_b32 v5, v59 offset:112
	s_mov_b64 s[70:71], 0x70
	v_lshl_add_u64 v[50:51], v[48:49], 0, s[70:71]
	v_lshl_add_u64 v[52:53], v[24:25], 2, v[46:47]
	v_cndmask_b32_e64 v51, v53, v51, s[0:1]
	v_cndmask_b32_e64 v50, v52, v50, s[0:1]
	s_waitcnt lgkmcnt(0)
	global_store_dword v[50:51], v5, off
	s_or_b64 exec, exec, s[18:19]
	s_and_saveexec_b64 s[18:19], s[50:51]
	s_cbranch_execz .LBB34_29
.LBB34_62:                              ;   in Loop: Header=BB34_7 Depth=1
	ds_read_b32 v5, v59 offset:128
	v_lshl_add_u64 v[50:51], v[48:49], 0, s[72:73]
	v_lshl_add_u64 v[52:53], v[26:27], 2, v[46:47]
	v_cndmask_b32_e64 v51, v53, v51, s[0:1]
	v_cndmask_b32_e64 v50, v52, v50, s[0:1]
	s_waitcnt lgkmcnt(0)
	global_store_dword v[50:51], v5, off
	s_or_b64 exec, exec, s[18:19]
	s_and_saveexec_b64 s[18:19], s[52:53]
	s_cbranch_execz .LBB34_30
.LBB34_63:                              ;   in Loop: Header=BB34_7 Depth=1
	ds_read_b32 v5, v59 offset:144
	v_lshl_add_u64 v[50:51], v[48:49], 0, s[74:75]
	v_lshl_add_u64 v[52:53], v[28:29], 2, v[46:47]
	v_cndmask_b32_e64 v51, v53, v51, s[0:1]
	v_cndmask_b32_e64 v50, v52, v50, s[0:1]
	s_waitcnt lgkmcnt(0)
	global_store_dword v[50:51], v5, off
	s_or_b64 exec, exec, s[18:19]
	s_and_saveexec_b64 s[18:19], s[54:55]
	s_cbranch_execz .LBB34_31
.LBB34_64:                              ;   in Loop: Header=BB34_7 Depth=1
	ds_read_b32 v5, v59 offset:160
	v_lshl_add_u64 v[50:51], v[48:49], 0, s[76:77]
	v_lshl_add_u64 v[52:53], v[30:31], 2, v[46:47]
	v_cndmask_b32_e64 v51, v53, v51, s[0:1]
	v_cndmask_b32_e64 v50, v52, v50, s[0:1]
	s_waitcnt lgkmcnt(0)
	global_store_dword v[50:51], v5, off
	s_or_b64 exec, exec, s[18:19]
	s_and_saveexec_b64 s[18:19], s[56:57]
	s_cbranch_execz .LBB34_32
.LBB34_65:                              ;   in Loop: Header=BB34_7 Depth=1
	ds_read_b32 v5, v59 offset:176
	v_lshl_add_u64 v[50:51], v[48:49], 0, s[78:79]
	v_lshl_add_u64 v[52:53], v[32:33], 2, v[46:47]
	v_cndmask_b32_e64 v51, v53, v51, s[0:1]
	v_cndmask_b32_e64 v50, v52, v50, s[0:1]
	s_waitcnt lgkmcnt(0)
	global_store_dword v[50:51], v5, off
	s_or_b64 exec, exec, s[18:19]
	s_and_saveexec_b64 s[18:19], s[58:59]
	s_cbranch_execz .LBB34_33
.LBB34_66:                              ;   in Loop: Header=BB34_7 Depth=1
	ds_read_b32 v5, v59 offset:192
	v_lshl_add_u64 v[50:51], v[48:49], 0, s[80:81]
	v_lshl_add_u64 v[52:53], v[34:35], 2, v[46:47]
	v_cndmask_b32_e64 v51, v53, v51, s[0:1]
	v_cndmask_b32_e64 v50, v52, v50, s[0:1]
	s_waitcnt lgkmcnt(0)
	global_store_dword v[50:51], v5, off
	s_or_b64 exec, exec, s[18:19]
	s_and_saveexec_b64 s[18:19], s[60:61]
	s_cbranch_execz .LBB34_34
.LBB34_67:                              ;   in Loop: Header=BB34_7 Depth=1
	ds_read_b32 v5, v59 offset:208
	v_lshl_add_u64 v[50:51], v[48:49], 0, s[82:83]
	v_lshl_add_u64 v[52:53], v[36:37], 2, v[46:47]
	v_cndmask_b32_e64 v51, v53, v51, s[0:1]
	v_cndmask_b32_e64 v50, v52, v50, s[0:1]
	s_waitcnt lgkmcnt(0)
	global_store_dword v[50:51], v5, off
	s_or_b64 exec, exec, s[18:19]
	s_and_saveexec_b64 s[18:19], s[62:63]
	s_cbranch_execz .LBB34_35
.LBB34_68:                              ;   in Loop: Header=BB34_7 Depth=1
	ds_read_b32 v5, v59 offset:224
	v_lshl_add_u64 v[50:51], v[48:49], 0, s[84:85]
	v_lshl_add_u64 v[52:53], v[38:39], 2, v[46:47]
	v_cndmask_b32_e64 v51, v53, v51, s[0:1]
	v_cndmask_b32_e64 v50, v52, v50, s[0:1]
	s_waitcnt lgkmcnt(0)
	global_store_dword v[50:51], v5, off
	s_or_b64 exec, exec, s[18:19]
	s_and_saveexec_b64 s[18:19], s[64:65]
	s_cbranch_execnz .LBB34_36
	s_branch .LBB34_37
.LBB34_69:
	s_endpgm
	.section	.rodata,"a",@progbits
	.p2align	6, 0x0
	.amdhsa_kernel _ZN9rocsparseL38csr2bsr_block_per_row_multipass_kernelILj256ELj64EillEEv20rocsparse_direction_T3_S2_S2_S2_S2_21rocsparse_index_base_PKT1_PKT2_PKS2_S3_PS4_PS7_PS2_
		.amdhsa_group_segment_fixed_size 16388
		.amdhsa_private_segment_fixed_size 0
		.amdhsa_kernarg_size 112
		.amdhsa_user_sgpr_count 2
		.amdhsa_user_sgpr_dispatch_ptr 0
		.amdhsa_user_sgpr_queue_ptr 0
		.amdhsa_user_sgpr_kernarg_segment_ptr 1
		.amdhsa_user_sgpr_dispatch_id 0
		.amdhsa_user_sgpr_kernarg_preload_length 0
		.amdhsa_user_sgpr_kernarg_preload_offset 0
		.amdhsa_user_sgpr_private_segment_size 0
		.amdhsa_uses_dynamic_stack 0
		.amdhsa_enable_private_segment 0
		.amdhsa_system_sgpr_workgroup_id_x 1
		.amdhsa_system_sgpr_workgroup_id_y 0
		.amdhsa_system_sgpr_workgroup_id_z 0
		.amdhsa_system_sgpr_workgroup_info 0
		.amdhsa_system_vgpr_workitem_id 0
		.amdhsa_next_free_vgpr 68
		.amdhsa_next_free_sgpr 100
		.amdhsa_accum_offset 68
		.amdhsa_reserve_vcc 1
		.amdhsa_float_round_mode_32 0
		.amdhsa_float_round_mode_16_64 0
		.amdhsa_float_denorm_mode_32 3
		.amdhsa_float_denorm_mode_16_64 3
		.amdhsa_dx10_clamp 1
		.amdhsa_ieee_mode 1
		.amdhsa_fp16_overflow 0
		.amdhsa_tg_split 0
		.amdhsa_exception_fp_ieee_invalid_op 0
		.amdhsa_exception_fp_denorm_src 0
		.amdhsa_exception_fp_ieee_div_zero 0
		.amdhsa_exception_fp_ieee_overflow 0
		.amdhsa_exception_fp_ieee_underflow 0
		.amdhsa_exception_fp_ieee_inexact 0
		.amdhsa_exception_int_div_zero 0
	.end_amdhsa_kernel
	.section	.text._ZN9rocsparseL38csr2bsr_block_per_row_multipass_kernelILj256ELj64EillEEv20rocsparse_direction_T3_S2_S2_S2_S2_21rocsparse_index_base_PKT1_PKT2_PKS2_S3_PS4_PS7_PS2_,"axG",@progbits,_ZN9rocsparseL38csr2bsr_block_per_row_multipass_kernelILj256ELj64EillEEv20rocsparse_direction_T3_S2_S2_S2_S2_21rocsparse_index_base_PKT1_PKT2_PKS2_S3_PS4_PS7_PS2_,comdat
.Lfunc_end34:
	.size	_ZN9rocsparseL38csr2bsr_block_per_row_multipass_kernelILj256ELj64EillEEv20rocsparse_direction_T3_S2_S2_S2_S2_21rocsparse_index_base_PKT1_PKT2_PKS2_S3_PS4_PS7_PS2_, .Lfunc_end34-_ZN9rocsparseL38csr2bsr_block_per_row_multipass_kernelILj256ELj64EillEEv20rocsparse_direction_T3_S2_S2_S2_S2_21rocsparse_index_base_PKT1_PKT2_PKS2_S3_PS4_PS7_PS2_
                                        ; -- End function
	.section	.AMDGPU.csdata,"",@progbits
; Kernel info:
; codeLenInByte = 4416
; NumSgprs: 106
; NumVgprs: 68
; NumAgprs: 0
; TotalNumVgprs: 68
; ScratchSize: 0
; MemoryBound: 0
; FloatMode: 240
; IeeeMode: 1
; LDSByteSize: 16388 bytes/workgroup (compile time only)
; SGPRBlocks: 13
; VGPRBlocks: 8
; NumSGPRsForWavesPerEU: 106
; NumVGPRsForWavesPerEU: 68
; AccumOffset: 68
; Occupancy: 3
; WaveLimiterHint : 1
; COMPUTE_PGM_RSRC2:SCRATCH_EN: 0
; COMPUTE_PGM_RSRC2:USER_SGPR: 2
; COMPUTE_PGM_RSRC2:TRAP_HANDLER: 0
; COMPUTE_PGM_RSRC2:TGID_X_EN: 1
; COMPUTE_PGM_RSRC2:TGID_Y_EN: 0
; COMPUTE_PGM_RSRC2:TGID_Z_EN: 0
; COMPUTE_PGM_RSRC2:TIDIG_COMP_CNT: 0
; COMPUTE_PGM_RSRC3_GFX90A:ACCUM_OFFSET: 16
; COMPUTE_PGM_RSRC3_GFX90A:TG_SPLIT: 0
	.section	.text._ZN9rocsparseL21csr2bsr_65_inf_kernelILj32EillEEv20rocsparse_direction_T2_S2_S2_S2_S2_S2_21rocsparse_index_base_PKT0_PKT1_PKS2_S3_PS4_PS7_PS2_SD_SE_SC_,"axG",@progbits,_ZN9rocsparseL21csr2bsr_65_inf_kernelILj32EillEEv20rocsparse_direction_T2_S2_S2_S2_S2_S2_21rocsparse_index_base_PKT0_PKT1_PKS2_S3_PS4_PS7_PS2_SD_SE_SC_,comdat
	.globl	_ZN9rocsparseL21csr2bsr_65_inf_kernelILj32EillEEv20rocsparse_direction_T2_S2_S2_S2_S2_S2_21rocsparse_index_base_PKT0_PKT1_PKS2_S3_PS4_PS7_PS2_SD_SE_SC_ ; -- Begin function _ZN9rocsparseL21csr2bsr_65_inf_kernelILj32EillEEv20rocsparse_direction_T2_S2_S2_S2_S2_S2_21rocsparse_index_base_PKT0_PKT1_PKS2_S3_PS4_PS7_PS2_SD_SE_SC_
	.p2align	8
	.type	_ZN9rocsparseL21csr2bsr_65_inf_kernelILj32EillEEv20rocsparse_direction_T2_S2_S2_S2_S2_S2_21rocsparse_index_base_PKT0_PKT1_PKS2_S3_PS4_PS7_PS2_SD_SE_SC_,@function
_ZN9rocsparseL21csr2bsr_65_inf_kernelILj32EillEEv20rocsparse_direction_T2_S2_S2_S2_S2_S2_21rocsparse_index_base_PKT0_PKT1_PKS2_S3_PS4_PS7_PS2_SD_SE_SC_: ; @_ZN9rocsparseL21csr2bsr_65_inf_kernelILj32EillEEv20rocsparse_direction_T2_S2_S2_S2_S2_S2_21rocsparse_index_base_PKT0_PKT1_PKS2_S3_PS4_PS7_PS2_SD_SE_SC_
; %bb.0:
	s_load_dwordx2 s[4:5], s[0:1], 0x18
	s_load_dwordx4 s[8:11], s[0:1], 0x8
	s_mov_b32 s3, 0
	s_mov_b64 s[6:7], 0
	s_waitcnt lgkmcnt(0)
	v_mov_b32_e32 v2, s4
	v_mov_b32_e32 v3, s5
	s_load_dwordx2 s[4:5], s[0:1], 0x78
	s_load_dword s16, s[0:1], 0x58
	v_cmp_ge_i64_e32 vcc, s[2:3], v[2:3]
	s_cbranch_vccnz .LBB35_2
; %bb.1:
	s_load_dwordx2 s[6:7], s[0:1], 0x68
	s_lshl_b64 s[12:13], s[2:3], 3
	s_waitcnt lgkmcnt(0)
	s_add_u32 s6, s6, s12
	s_addc_u32 s7, s7, s13
	s_load_dwordx2 s[6:7], s[6:7], 0x0
	s_waitcnt lgkmcnt(0)
	s_sub_u32 s6, s6, s16
	s_subb_u32 s7, s7, 0
.LBB35_2:
	s_load_dwordx4 s[12:15], s[0:1], 0x28
	s_load_dword s33, s[0:1], 0x38
	v_mov_b32_e32 v1, 0
	s_waitcnt lgkmcnt(0)
	s_mul_i32 s3, s2, s15
	s_mul_hi_u32 s17, s2, s14
	s_mul_i32 s18, s2, s14
	s_add_i32 s19, s17, s3
	s_lshl_b64 s[18:19], s[18:19], 9
	s_add_u32 s4, s4, s18
	s_addc_u32 s5, s5, s19
	v_mad_u64_u32 v[8:9], s[18:19], v0, s14, 0
	v_mov_b32_e32 v2, v9
	v_mad_u64_u32 v[2:3], s[18:19], v0, s15, v[2:3]
	v_mov_b32_e32 v9, v2
	v_lshlrev_b64 v[4:5], 3, v[8:9]
	s_lshl_b64 s[18:19], s[14:15], 8
	v_lshl_add_u64 v[2:3], s[4:5], 0, v[4:5]
	s_add_u32 s4, s4, s18
	s_addc_u32 s5, s5, s19
	v_lshl_add_u64 v[4:5], s[4:5], 0, v[4:5]
	v_cmp_lt_i64_e64 s[4:5], s[14:15], 1
	v_cmp_gt_i64_e64 s[36:37], s[14:15], 0
	s_and_b64 vcc, exec, s[4:5]
	s_cbranch_vccnz .LBB35_7
; %bb.3:
	s_load_dwordx2 s[4:5], s[0:1], 0x48
	v_mov_b32_e32 v6, s12
	s_mul_i32 s17, s2, s13
	s_mul_hi_u32 s3, s2, s12
	v_mad_u64_u32 v[6:7], s[20:21], s2, v6, v[0:1]
	s_add_i32 s19, s3, s17
	s_mov_b32 s3, 0
	v_add_u32_e32 v7, s17, v7
	s_waitcnt lgkmcnt(0)
	v_lshl_add_u64 v[6:7], v[6:7], 3, s[4:5]
	s_mov_b32 s4, s3
	s_mov_b32 s5, s3
	s_mul_i32 s18, s2, s12
	v_lshl_add_u64 v[6:7], v[6:7], 0, 8
	v_mov_b64_e32 v[10:11], s[4:5]
	s_mov_b64 s[20:21], 0x100
	v_mov_b64_e32 v[12:13], v[4:5]
	v_mov_b64_e32 v[14:15], v[2:3]
	;; [unrolled: 1-line block ×3, first 2 shown]
	s_mov_b64 s[22:23], s[14:15]
	s_branch .LBB35_5
.LBB35_4:                               ;   in Loop: Header=BB35_5 Depth=1
	s_or_b64 exec, exec, s[4:5]
	s_add_u32 s22, s22, -1
	s_addc_u32 s23, s23, -1
	v_lshl_add_u64 v[16:17], v[16:17], 0, 32
	v_lshl_add_u64 v[14:15], v[14:15], 0, 8
	;; [unrolled: 1-line block ×3, first 2 shown]
	s_cmp_eq_u64 s[22:23], 0
	v_lshl_add_u64 v[12:13], v[12:13], 0, 8
	s_cbranch_scc1 .LBB35_7
.LBB35_5:                               ; =>This Inner Loop Header: Depth=1
	v_lshl_add_u64 v[18:19], s[18:19], 0, v[16:17]
	v_cmp_gt_i64_e32 vcc, s[8:9], v[18:19]
	v_cmp_gt_i64_e64 s[4:5], s[12:13], v[16:17]
	s_and_b64 s[24:25], vcc, s[4:5]
	global_store_dwordx2 v[14:15], v[10:11], off
	global_store_dwordx2 v[12:13], v[10:11], off
	s_and_saveexec_b64 s[4:5], s[24:25]
	s_cbranch_execz .LBB35_4
; %bb.6:                                ;   in Loop: Header=BB35_5 Depth=1
	global_load_dwordx4 v[18:21], v[6:7], off offset:-8
	v_mov_b32_e32 v22, s3
	s_waitcnt vmcnt(0)
	v_subrev_co_u32_e32 v18, vcc, s33, v18
	s_nop 1
	v_subb_co_u32_e32 v19, vcc, v19, v22, vcc
	v_subrev_co_u32_e32 v20, vcc, s33, v20
	s_nop 1
	v_subb_co_u32_e32 v21, vcc, v21, v22, vcc
	global_store_dwordx2 v[14:15], v[18:19], off
	global_store_dwordx2 v[12:13], v[20:21], off
	s_branch .LBB35_4
.LBB35_7:
	v_cmp_lt_i64_e64 s[4:5], s[10:11], 1
	s_and_b64 vcc, exec, s[4:5]
	s_cbranch_vccnz .LBB35_52
; %bb.8:
	s_load_dwordx4 s[20:23], s[0:1], 0x80
	s_load_dwordx2 s[4:5], s[0:1], 0x70
	s_lshl_b64 s[8:9], s[14:15], 5
	s_mul_i32 s3, s9, s2
	s_mul_hi_u32 s9, s8, s2
	s_add_i32 s3, s9, s3
	s_mul_i32 s2, s8, s2
	s_lshl_b64 s[8:9], s[2:3], 3
	s_waitcnt lgkmcnt(0)
	s_add_u32 s8, s20, s8
	s_addc_u32 s9, s21, s9
	s_lshl_b64 s[2:3], s[2:3], 2
	v_lshl_add_u64 v[6:7], v[8:9], 3, s[8:9]
	s_add_u32 s2, s22, s2
	s_load_dwordx2 s[8:9], s[0:1], 0x60
	s_load_dwordx2 s[18:19], s[0:1], 0x50
	;; [unrolled: 1-line block ×3, first 2 shown]
	s_load_dword s24, s[0:1], 0x0
	s_addc_u32 s3, s23, s3
	v_lshl_add_u64 v[8:9], v[8:9], 2, s[2:3]
	s_lshl_b64 s[2:3], s[6:7], 3
	s_add_u32 s22, s4, s2
	s_addc_u32 s23, s5, s3
	v_mbcnt_lo_u32_b32 v11, -1, 0
	v_mov_b32_e32 v10, 0
	v_mbcnt_hi_u32_b32 v11, -1, v11
	v_mov_b32_e32 v12, 0x7c
	s_waitcnt lgkmcnt(0)
	s_cmp_lg_u32 s24, 0
	s_mov_b32 s48, 0
	v_lshl_or_b32 v38, v11, 2, v12
	s_cselect_b64 s[24:25], -1, 0
	s_add_u32 s26, s6, -1
	v_lshlrev_b32_e32 v12, 2, v0
	v_mov_b32_e32 v13, v10
	v_mov_b64_e32 v[18:19], 0
	v_cndmask_b32_e64 v11, 0, 1, s[36:37]
	v_cmp_eq_u32_e64 s[0:1], 31, v0
	s_mov_b32 s17, s48
	s_addc_u32 s27, s7, -1
	s_lshl_b64 s[28:29], s[12:13], 2
	s_lshl_b64 s[30:31], s[12:13], 7
	v_lshl_add_u64 v[12:13], s[8:9], 0, v[12:13]
	s_mov_b64 s[34:35], 0
	v_cmp_ne_u32_e64 s[2:3], 1, v11
	s_mov_b64 s[36:37], 0x80
	v_mov_b64_e32 v[16:17], v[18:19]
	v_mov_b64_e32 v[14:15], v[18:19]
	s_branch .LBB35_10
.LBB35_9:                               ;   in Loop: Header=BB35_10 Depth=1
	s_waitcnt lgkmcnt(2)
	v_lshl_add_u64 v[18:19], v[18:19], 0, 1
	v_cmp_le_i64_e32 vcc, s[10:11], v[18:19]
	s_or_b64 s[34:35], vcc, s[34:35]
	s_andn2_b64 exec, exec, s[34:35]
	s_cbranch_execz .LBB35_52
.LBB35_10:                              ; =>This Loop Header: Depth=1
                                        ;     Child Loop BB35_14 Depth 2
                                        ;       Child Loop BB35_17 Depth 3
                                        ;     Child Loop BB35_33 Depth 2
	s_and_b64 vcc, exec, s[2:3]
	v_mov_b64_e32 v[20:21], s[10:11]
	s_cbranch_vccnz .LBB35_23
; %bb.11:                               ;   in Loop: Header=BB35_10 Depth=1
	s_mov_b64 s[4:5], 0
	v_mov_b64_e32 v[20:21], s[10:11]
	s_branch .LBB35_14
.LBB35_12:                              ;   in Loop: Header=BB35_14 Depth=2
	s_or_b64 exec, exec, s[38:39]
.LBB35_13:                              ;   in Loop: Header=BB35_14 Depth=2
	s_or_b64 exec, exec, s[6:7]
	s_add_u32 s4, s4, 1
	s_addc_u32 s5, s5, 0
	s_cmp_eq_u64 s[4:5], s[14:15]
	s_cbranch_scc1 .LBB35_23
.LBB35_14:                              ;   Parent Loop BB35_10 Depth=1
                                        ; =>  This Loop Header: Depth=2
                                        ;       Child Loop BB35_17 Depth 3
	s_lshl_b64 s[6:7], s[4:5], 3
	v_lshl_add_u64 v[22:23], v[2:3], 0, s[6:7]
	v_lshl_add_u64 v[24:25], v[4:5], 0, s[6:7]
	global_load_dwordx2 v[34:35], v[22:23], off
	global_load_dwordx2 v[32:33], v[24:25], off
	v_lshl_add_u64 v[24:25], s[4:5], 2, v[8:9]
	v_lshl_add_u64 v[26:27], v[6:7], 0, s[6:7]
	v_mov_b64_e32 v[28:29], s[10:11]
	global_store_dword v[24:25], v10, off
	global_store_dwordx2 v[26:27], v[28:29], off
	s_waitcnt vmcnt(2)
	v_cmp_lt_i64_e32 vcc, v[34:35], v[32:33]
	s_and_saveexec_b64 s[6:7], vcc
	s_cbranch_execz .LBB35_13
; %bb.15:                               ;   in Loop: Header=BB35_14 Depth=2
	v_lshl_add_u64 v[36:37], v[34:35], 3, s[18:19]
	s_mov_b64 s[38:39], 0
                                        ; implicit-def: $sgpr40_sgpr41
                                        ; implicit-def: $sgpr44_sgpr45
                                        ; implicit-def: $sgpr42_sgpr43
	s_branch .LBB35_17
.LBB35_16:                              ;   in Loop: Header=BB35_17 Depth=3
	s_or_b64 exec, exec, s[46:47]
	s_and_b64 s[46:47], exec, s[44:45]
	s_or_b64 s[38:39], s[46:47], s[38:39]
	s_andn2_b64 s[40:41], s[40:41], exec
	s_and_b64 s[46:47], s[42:43], exec
	s_or_b64 s[40:41], s[40:41], s[46:47]
	s_andn2_b64 exec, exec, s[38:39]
	s_cbranch_execz .LBB35_19
.LBB35_17:                              ;   Parent Loop BB35_10 Depth=1
                                        ;     Parent Loop BB35_14 Depth=2
                                        ; =>    This Inner Loop Header: Depth=3
	global_load_dwordx2 v[30:31], v[36:37], off
	v_mov_b32_e32 v11, s48
	v_mov_b64_e32 v[28:29], v[34:35]
	s_or_b64 s[42:43], s[42:43], exec
	s_or_b64 s[44:45], s[44:45], exec
                                        ; implicit-def: $vgpr34_vgpr35
	s_waitcnt vmcnt(0)
	v_subrev_co_u32_e32 v30, vcc, s33, v30
	s_nop 1
	v_subb_co_u32_e32 v31, vcc, v31, v11, vcc
	v_cmp_lt_i64_e32 vcc, v[30:31], v[18:19]
	s_and_saveexec_b64 s[46:47], vcc
	s_cbranch_execz .LBB35_16
; %bb.18:                               ;   in Loop: Header=BB35_17 Depth=3
	v_lshl_add_u64 v[34:35], v[28:29], 0, 1
	v_cmp_ge_i64_e32 vcc, v[34:35], v[32:33]
	s_andn2_b64 s[44:45], s[44:45], exec
	s_and_b64 s[50:51], vcc, exec
	v_lshl_add_u64 v[36:37], v[36:37], 0, 8
	s_andn2_b64 s[42:43], s[42:43], exec
	s_or_b64 s[44:45], s[44:45], s[50:51]
	s_branch .LBB35_16
.LBB35_19:                              ;   in Loop: Header=BB35_14 Depth=2
	s_or_b64 exec, exec, s[38:39]
	s_xor_b64 s[38:39], s[40:41], -1
	v_lshl_add_u64 v[32:33], v[28:29], 2, s[20:21]
	s_and_saveexec_b64 s[40:41], s[38:39]
	s_xor_b64 s[38:39], exec, s[40:41]
	s_cbranch_execz .LBB35_21
; %bb.20:                               ;   in Loop: Header=BB35_14 Depth=2
	global_load_dword v11, v[32:33], off
                                        ; implicit-def: $vgpr32_vgpr33
                                        ; implicit-def: $vgpr22_vgpr23
	s_waitcnt vmcnt(0)
	global_store_dword v[24:25], v11, off
	global_store_dwordx2 v[26:27], v[30:31], off
                                        ; implicit-def: $vgpr24_vgpr25
                                        ; implicit-def: $vgpr26_vgpr27
.LBB35_21:                              ;   in Loop: Header=BB35_14 Depth=2
	s_andn2_saveexec_b64 s[38:39], s[38:39]
	s_cbranch_execz .LBB35_12
; %bb.22:                               ;   in Loop: Header=BB35_14 Depth=2
	global_load_dword v11, v[32:33], off
	v_cmp_lt_i64_e32 vcc, v[30:31], v[20:21]
	global_store_dwordx2 v[26:27], v[30:31], off
	s_waitcnt vmcnt(1)
	global_store_dword v[24:25], v11, off
	global_store_dwordx2 v[22:23], v[28:29], off
	v_cndmask_b32_e32 v21, v21, v31, vcc
	v_cndmask_b32_e32 v20, v20, v30, vcc
	s_branch .LBB35_12
.LBB35_23:                              ;   in Loop: Header=BB35_10 Depth=1
	s_nop 0
	v_mov_b32_dpp v18, v20 row_shr:1 row_mask:0xf bank_mask:0xf
	v_mov_b32_dpp v19, v21 row_shr:1 row_mask:0xf bank_mask:0xf
	v_cmp_lt_i64_e32 vcc, v[18:19], v[20:21]
	s_nop 1
	v_cndmask_b32_e32 v19, v21, v19, vcc
	v_cndmask_b32_e32 v18, v20, v18, vcc
	s_nop 0
	v_mov_b32_dpp v21, v19 row_shr:2 row_mask:0xf bank_mask:0xf
	v_mov_b32_dpp v20, v18 row_shr:2 row_mask:0xf bank_mask:0xf
	v_cmp_lt_i64_e32 vcc, v[20:21], v[18:19]
	s_nop 1
	v_cndmask_b32_e32 v19, v19, v21, vcc
	v_cndmask_b32_e32 v18, v18, v20, vcc
	s_nop 0
	v_mov_b32_dpp v21, v19 row_shr:4 row_mask:0xf bank_mask:0xe
	v_mov_b32_dpp v20, v18 row_shr:4 row_mask:0xf bank_mask:0xe
	v_cmp_lt_i64_e32 vcc, v[20:21], v[18:19]
	s_nop 1
	v_cndmask_b32_e32 v19, v19, v21, vcc
	v_cndmask_b32_e32 v18, v18, v20, vcc
	s_nop 0
	v_mov_b32_dpp v21, v19 row_shr:8 row_mask:0xf bank_mask:0xc
	v_mov_b32_dpp v20, v18 row_shr:8 row_mask:0xf bank_mask:0xc
	v_cmp_lt_i64_e32 vcc, v[20:21], v[18:19]
	s_nop 1
	v_cndmask_b32_e32 v19, v19, v21, vcc
	v_cndmask_b32_e32 v18, v18, v20, vcc
	s_nop 0
	v_mov_b32_dpp v21, v19 row_bcast:15 row_mask:0xa bank_mask:0xf
	v_mov_b32_dpp v20, v18 row_bcast:15 row_mask:0xa bank_mask:0xf
	v_cmp_lt_i64_e32 vcc, v[20:21], v[18:19]
	s_nop 1
	v_cndmask_b32_e32 v19, v19, v21, vcc
	v_cndmask_b32_e32 v18, v18, v20, vcc
	v_cmp_gt_i64_e32 vcc, s[10:11], v[18:19]
	s_and_b64 s[4:5], s[0:1], vcc
	s_and_saveexec_b64 s[6:7], s[4:5]
	s_cbranch_execz .LBB35_29
; %bb.24:                               ;   in Loop: Header=BB35_10 Depth=1
	v_or_b32_e32 v11, s13, v19
	v_cmp_ne_u64_e32 vcc, 0, v[10:11]
                                        ; implicit-def: $vgpr20_vgpr21
	s_and_saveexec_b64 s[4:5], vcc
	s_xor_b64 s[38:39], exec, s[4:5]
	s_cbranch_execnz .LBB35_50
; %bb.25:                               ;   in Loop: Header=BB35_10 Depth=1
	s_andn2_saveexec_b64 s[4:5], s[38:39]
	s_cbranch_execnz .LBB35_51
.LBB35_26:                              ;   in Loop: Header=BB35_10 Depth=1
	s_or_b64 exec, exec, s[4:5]
	v_cmp_ge_i64_e32 vcc, v[20:21], v[16:17]
	s_and_saveexec_b64 s[4:5], vcc
	s_cbranch_execz .LBB35_28
.LBB35_27:                              ;   in Loop: Header=BB35_10 Depth=1
	v_lshl_add_u64 v[16:17], v[20:21], 0, s[16:17]
	s_waitcnt lgkmcnt(0)
	v_lshl_add_u64 v[22:23], v[14:15], 3, s[22:23]
	global_store_dwordx2 v[22:23], v[16:17], off
	v_lshl_add_u64 v[14:15], v[14:15], 0, 1
	v_lshl_add_u64 v[16:17], v[20:21], 0, 1
.LBB35_28:                              ;   in Loop: Header=BB35_10 Depth=1
	s_or_b64 exec, exec, s[4:5]
.LBB35_29:                              ;   in Loop: Header=BB35_10 Depth=1
	s_or_b64 exec, exec, s[6:7]
	ds_bpermute_b32 v18, v38, v18
	ds_bpermute_b32 v19, v38, v19
	s_waitcnt lgkmcnt(3)
	ds_bpermute_b32 v14, v38, v14
	s_waitcnt lgkmcnt(3)
	ds_bpermute_b32 v15, v38, v15
	s_and_b64 vcc, exec, s[2:3]
	s_cbranch_vccnz .LBB35_9
; %bb.30:                               ;   in Loop: Header=BB35_10 Depth=1
	s_waitcnt lgkmcnt(0)
	v_lshl_add_u64 v[20:21], s[26:27], 0, v[14:15]
	v_mov_b32_e32 v11, v15
	v_mul_lo_u32 v24, v21, s12
	v_mul_lo_u32 v25, v20, s13
	v_mad_u64_u32 v[20:21], s[4:5], v20, s12, 0
	v_mov_b32_e32 v22, v14
	v_mov_b32_e32 v23, v10
	v_add3_u32 v21, v21, v25, v24
	v_lshl_add_u64 v[24:25], s[26:27], 0, v[10:11]
	v_lshl_add_u64 v[22:23], v[24:25], 0, v[22:23]
	v_mul_lo_u32 v11, s12, v23
	v_mul_lo_u32 v24, s13, v22
	v_mad_u64_u32 v[22:23], s[4:5], s12, v22, v[0:1]
	v_add3_u32 v11, v24, v23, v11
	v_mov_b64_e32 v[24:25], s[8:9]
	v_mul_lo_u32 v11, s28, v11
	v_mul_lo_u32 v26, s29, v22
	v_mad_u64_u32 v[22:23], s[4:5], s28, v22, v[24:25]
	v_add3_u32 v23, v26, v23, v11
	v_mov_b64_e32 v[24:25], v[6:7]
	v_mov_b64_e32 v[26:27], v[8:9]
	;; [unrolled: 1-line block ×3, first 2 shown]
	s_mov_b64 s[38:39], s[14:15]
	s_branch .LBB35_33
.LBB35_31:                              ;   in Loop: Header=BB35_33 Depth=2
	s_or_b64 exec, exec, s[4:5]
	global_load_dword v11, v[26:27], off
	v_lshl_add_u64 v[30:31], v[32:33], 2, v[22:23]
	s_waitcnt vmcnt(0)
	global_store_dword v[30:31], v11, off
.LBB35_32:                              ;   in Loop: Header=BB35_33 Depth=2
	s_or_b64 exec, exec, s[40:41]
	s_add_u32 s38, s38, -1
	s_addc_u32 s39, s39, -1
	v_lshl_add_u64 v[22:23], v[22:23], 0, s[30:31]
	v_lshl_add_u64 v[28:29], v[28:29], 0, s[36:37]
	;; [unrolled: 1-line block ×3, first 2 shown]
	s_cmp_eq_u64 s[38:39], 0
	v_lshl_add_u64 v[24:25], v[24:25], 0, 8
	s_cbranch_scc1 .LBB35_9
.LBB35_33:                              ;   Parent Loop BB35_10 Depth=1
                                        ; =>  This Inner Loop Header: Depth=2
	global_load_dwordx2 v[30:31], v[24:25], off
	s_waitcnt vmcnt(0)
	v_cmp_gt_i64_e32 vcc, s[10:11], v[30:31]
	s_and_saveexec_b64 s[40:41], vcc
	s_cbranch_execz .LBB35_32
; %bb.34:                               ;   in Loop: Header=BB35_33 Depth=2
	v_or_b32_e32 v36, s13, v31
	v_mov_b32_e32 v11, v36
	v_cmp_ne_u64_e32 vcc, 0, v[10:11]
                                        ; implicit-def: $vgpr32_vgpr33
	s_and_saveexec_b64 s[4:5], vcc
	s_xor_b64 s[6:7], exec, s[4:5]
	s_cbranch_execz .LBB35_36
; %bb.35:                               ;   in Loop: Header=BB35_33 Depth=2
	s_ashr_i32 s42, s13, 31
	s_add_u32 s4, s12, s42
	s_mov_b32 s43, s42
	s_addc_u32 s5, s13, s42
	s_xor_b64 s[44:45], s[4:5], s[42:43]
	v_cvt_f32_u32_e32 v11, s44
	v_cvt_f32_u32_e32 v32, s45
	s_sub_u32 s4, 0, s44
	s_subb_u32 s5, 0, s45
	v_mov_b32_e32 v35, v10
	v_fmac_f32_e32 v11, 0x4f800000, v32
	v_rcp_f32_e32 v11, v11
	s_nop 0
	v_mul_f32_e32 v11, 0x5f7ffffc, v11
	v_mul_f32_e32 v32, 0x2f800000, v11
	v_trunc_f32_e32 v32, v32
	v_fmac_f32_e32 v11, 0xcf800000, v32
	v_cvt_u32_f32_e32 v37, v32
	v_cvt_u32_f32_e32 v11, v11
	v_mul_lo_u32 v32, s4, v37
	v_mul_hi_u32 v34, s4, v11
	v_mul_lo_u32 v33, s5, v11
	v_add_u32_e32 v32, v34, v32
	v_mul_lo_u32 v39, s4, v11
	v_add_u32_e32 v40, v32, v33
	v_mul_hi_u32 v33, v11, v40
	v_mul_lo_u32 v32, v11, v40
	v_mul_hi_u32 v34, v11, v39
	v_lshl_add_u64 v[32:33], v[34:35], 0, v[32:33]
	v_mul_hi_u32 v35, v37, v39
	v_mul_lo_u32 v39, v37, v39
	v_add_co_u32_e32 v32, vcc, v32, v39
	v_mul_hi_u32 v34, v37, v40
	s_nop 0
	v_addc_co_u32_e32 v32, vcc, v33, v35, vcc
	v_mov_b32_e32 v33, v10
	s_nop 0
	v_addc_co_u32_e32 v35, vcc, 0, v34, vcc
	v_mul_lo_u32 v34, v37, v40
	v_lshl_add_u64 v[32:33], v[32:33], 0, v[34:35]
	v_add_co_u32_e32 v11, vcc, v11, v32
	v_mul_lo_u32 v34, s4, v11
	s_nop 0
	v_addc_co_u32_e32 v37, vcc, v37, v33, vcc
	v_mul_lo_u32 v32, s4, v37
	v_mul_hi_u32 v33, s4, v11
	v_add_u32_e32 v32, v33, v32
	v_mul_lo_u32 v33, s5, v11
	v_add_u32_e32 v39, v32, v33
	v_mul_hi_u32 v41, v37, v34
	v_mul_lo_u32 v42, v37, v34
	v_mul_hi_u32 v33, v11, v39
	v_mul_lo_u32 v32, v11, v39
	v_mul_hi_u32 v34, v11, v34
	v_mov_b32_e32 v35, v10
	v_lshl_add_u64 v[32:33], v[34:35], 0, v[32:33]
	v_add_co_u32_e32 v32, vcc, v32, v42
	v_mul_hi_u32 v40, v37, v39
	s_nop 0
	v_addc_co_u32_e32 v32, vcc, v33, v41, vcc
	v_mul_lo_u32 v34, v37, v39
	s_nop 0
	v_addc_co_u32_e32 v35, vcc, 0, v40, vcc
	v_mov_b32_e32 v33, v10
	v_lshl_add_u64 v[32:33], v[32:33], 0, v[34:35]
	v_add_co_u32_e32 v11, vcc, v11, v32
	v_ashrrev_i32_e32 v32, 31, v31
	s_nop 0
	v_addc_co_u32_e32 v37, vcc, v37, v33, vcc
	v_mov_b32_e32 v33, v32
	v_lshl_add_u64 v[34:35], v[30:31], 0, v[32:33]
	v_xor_b32_e32 v39, v34, v32
	v_xor_b32_e32 v33, v35, v32
	v_mad_u64_u32 v[34:35], s[4:5], v39, v37, 0
	v_mul_hi_u32 v40, v39, v11
	v_mov_b32_e32 v41, v10
	v_lshl_add_u64 v[34:35], v[40:41], 0, v[34:35]
	v_mad_u64_u32 v[42:43], s[4:5], v33, v11, 0
	v_add_co_u32_e32 v11, vcc, v34, v42
	v_mad_u64_u32 v[40:41], s[4:5], v33, v37, 0
	s_nop 0
	v_addc_co_u32_e32 v34, vcc, v35, v43, vcc
	v_mov_b32_e32 v35, v10
	s_nop 0
	v_addc_co_u32_e32 v41, vcc, 0, v41, vcc
	v_lshl_add_u64 v[34:35], v[34:35], 0, v[40:41]
	v_mul_lo_u32 v11, s45, v34
	v_mul_lo_u32 v37, s44, v35
	v_mad_u64_u32 v[40:41], s[4:5], s44, v34, 0
	v_add3_u32 v11, v41, v37, v11
	v_sub_u32_e32 v37, v33, v11
	v_mov_b32_e32 v41, s45
	v_sub_co_u32_e32 v39, vcc, v39, v40
	v_lshl_add_u64 v[42:43], v[34:35], 0, 1
	s_nop 0
	v_subb_co_u32_e64 v37, s[4:5], v37, v41, vcc
	v_subrev_co_u32_e64 v40, s[4:5], s44, v39
	v_subb_co_u32_e32 v11, vcc, v33, v11, vcc
	s_nop 0
	v_subbrev_co_u32_e64 v37, s[4:5], 0, v37, s[4:5]
	v_cmp_le_u32_e64 s[4:5], s45, v37
	v_cmp_le_u32_e32 vcc, s45, v11
	s_nop 0
	v_cndmask_b32_e64 v41, 0, -1, s[4:5]
	v_cmp_le_u32_e64 s[4:5], s44, v40
	v_cndmask_b32_e64 v33, 0, -1, vcc
	v_cmp_le_u32_e32 vcc, s44, v39
	v_cndmask_b32_e64 v40, 0, -1, s[4:5]
	v_cmp_eq_u32_e64 s[4:5], s45, v37
	v_cndmask_b32_e64 v39, 0, -1, vcc
	v_cmp_eq_u32_e32 vcc, s45, v11
	v_cndmask_b32_e64 v37, v41, v40, s[4:5]
	v_lshl_add_u64 v[40:41], v[34:35], 0, 2
	v_cmp_ne_u32_e64 s[4:5], 0, v37
	v_cndmask_b32_e32 v11, v33, v39, vcc
	v_cmp_ne_u32_e32 vcc, 0, v11
	v_cndmask_b32_e64 v33, v42, v40, s[4:5]
	v_cndmask_b32_e64 v37, v43, v41, s[4:5]
	v_cndmask_b32_e32 v33, v34, v33, vcc
	v_xor_b32_e32 v34, s42, v32
	v_cndmask_b32_e32 v11, v35, v37, vcc
	v_xor_b32_e32 v32, v33, v34
	v_xor_b32_e32 v11, v11, v34
	v_sub_co_u32_e32 v32, vcc, v32, v34
	s_nop 1
	v_subb_co_u32_e32 v33, vcc, v11, v34, vcc
.LBB35_36:                              ;   in Loop: Header=BB35_33 Depth=2
	s_andn2_saveexec_b64 s[4:5], s[6:7]
	s_cbranch_execz .LBB35_38
; %bb.37:                               ;   in Loop: Header=BB35_33 Depth=2
	v_cvt_f32_u32_e32 v11, s12
	s_sub_i32 s6, 0, s12
	v_rcp_iflag_f32_e32 v11, v11
	s_nop 0
	v_mul_f32_e32 v11, 0x4f7ffffe, v11
	v_cvt_u32_f32_e32 v11, v11
	v_mul_lo_u32 v32, s6, v11
	v_mul_hi_u32 v32, v11, v32
	v_add_u32_e32 v11, v11, v32
	v_mul_hi_u32 v11, v30, v11
	v_mul_lo_u32 v32, v11, s12
	v_sub_u32_e32 v32, v30, v32
	v_add_u32_e32 v33, 1, v11
	v_subrev_u32_e32 v34, s12, v32
	v_cmp_le_u32_e32 vcc, s12, v32
	s_nop 1
	v_cndmask_b32_e32 v32, v32, v34, vcc
	v_cndmask_b32_e32 v11, v11, v33, vcc
	v_add_u32_e32 v33, 1, v11
	v_cmp_le_u32_e32 vcc, s12, v32
	s_nop 1
	v_cndmask_b32_e32 v32, v11, v33, vcc
	v_mov_b32_e32 v33, v10
.LBB35_38:                              ;   in Loop: Header=BB35_33 Depth=2
	s_or_b64 exec, exec, s[4:5]
	v_or_b32_e32 v11, s13, v19
	v_cmp_ne_u64_e32 vcc, 0, v[10:11]
                                        ; implicit-def: $vgpr34_vgpr35
	s_and_saveexec_b64 s[4:5], vcc
	s_xor_b64 s[6:7], exec, s[4:5]
	s_cbranch_execnz .LBB35_41
; %bb.39:                               ;   in Loop: Header=BB35_33 Depth=2
	s_andn2_saveexec_b64 s[4:5], s[6:7]
	s_cbranch_execnz .LBB35_42
.LBB35_40:                              ;   in Loop: Header=BB35_33 Depth=2
	s_or_b64 exec, exec, s[4:5]
	v_cmp_eq_u64_e32 vcc, v[32:33], v[34:35]
	s_and_b64 exec, exec, vcc
	s_cbranch_execz .LBB35_32
	s_branch .LBB35_43
.LBB35_41:                              ;   in Loop: Header=BB35_33 Depth=2
	s_ashr_i32 s42, s13, 31
	s_add_u32 s4, s12, s42
	s_mov_b32 s43, s42
	s_addc_u32 s5, s13, s42
	s_xor_b64 s[44:45], s[4:5], s[42:43]
	v_cvt_f32_u32_e32 v11, s44
	v_cvt_f32_u32_e32 v34, s45
	s_sub_u32 s4, 0, s44
	s_subb_u32 s5, 0, s45
	v_mov_b32_e32 v41, v10
	v_fmac_f32_e32 v11, 0x4f800000, v34
	v_rcp_f32_e32 v11, v11
	s_nop 0
	v_mul_f32_e32 v11, 0x5f7ffffc, v11
	v_mul_f32_e32 v34, 0x2f800000, v11
	v_trunc_f32_e32 v34, v34
	v_fmac_f32_e32 v11, 0xcf800000, v34
	v_cvt_u32_f32_e32 v37, v34
	v_cvt_u32_f32_e32 v11, v11
	v_mul_lo_u32 v34, s4, v37
	v_mul_hi_u32 v39, s4, v11
	v_mul_lo_u32 v35, s5, v11
	v_add_u32_e32 v34, v39, v34
	v_mul_lo_u32 v42, s4, v11
	v_add_u32_e32 v39, v34, v35
	v_mul_hi_u32 v35, v11, v39
	v_mul_lo_u32 v34, v11, v39
	v_mul_hi_u32 v40, v11, v42
	v_lshl_add_u64 v[34:35], v[40:41], 0, v[34:35]
	v_mul_hi_u32 v41, v37, v42
	v_mul_lo_u32 v42, v37, v42
	v_add_co_u32_e32 v34, vcc, v34, v42
	v_mul_hi_u32 v40, v37, v39
	s_nop 0
	v_addc_co_u32_e32 v34, vcc, v35, v41, vcc
	v_mov_b32_e32 v35, v10
	s_nop 0
	v_addc_co_u32_e32 v41, vcc, 0, v40, vcc
	v_mul_lo_u32 v40, v37, v39
	v_lshl_add_u64 v[34:35], v[34:35], 0, v[40:41]
	v_add_co_u32_e32 v11, vcc, v11, v34
	v_mul_lo_u32 v40, s4, v11
	s_nop 0
	v_addc_co_u32_e32 v37, vcc, v37, v35, vcc
	v_mul_lo_u32 v34, s4, v37
	v_mul_hi_u32 v35, s4, v11
	v_add_u32_e32 v34, v35, v34
	v_mul_lo_u32 v35, s5, v11
	v_add_u32_e32 v39, v34, v35
	v_mul_hi_u32 v43, v37, v40
	v_mul_lo_u32 v44, v37, v40
	v_mul_hi_u32 v35, v11, v39
	v_mul_lo_u32 v34, v11, v39
	v_mul_hi_u32 v40, v11, v40
	v_mov_b32_e32 v41, v10
	v_lshl_add_u64 v[34:35], v[40:41], 0, v[34:35]
	v_add_co_u32_e32 v34, vcc, v34, v44
	v_mul_hi_u32 v42, v37, v39
	s_nop 0
	v_addc_co_u32_e32 v34, vcc, v35, v43, vcc
	v_mul_lo_u32 v40, v37, v39
	s_nop 0
	v_addc_co_u32_e32 v41, vcc, 0, v42, vcc
	v_mov_b32_e32 v35, v10
	v_lshl_add_u64 v[34:35], v[34:35], 0, v[40:41]
	v_add_co_u32_e32 v11, vcc, v11, v34
	v_ashrrev_i32_e32 v34, 31, v19
	s_nop 0
	v_addc_co_u32_e32 v37, vcc, v37, v35, vcc
	v_mov_b32_e32 v35, v34
	v_lshl_add_u64 v[40:41], v[18:19], 0, v[34:35]
	v_xor_b32_e32 v39, v40, v34
	v_xor_b32_e32 v35, v41, v34
	v_mad_u64_u32 v[40:41], s[4:5], v39, v37, 0
	v_mul_hi_u32 v42, v39, v11
	v_mov_b32_e32 v43, v10
	v_lshl_add_u64 v[40:41], v[42:43], 0, v[40:41]
	v_mad_u64_u32 v[44:45], s[4:5], v35, v11, 0
	v_add_co_u32_e32 v11, vcc, v40, v44
	v_mad_u64_u32 v[42:43], s[4:5], v35, v37, 0
	s_nop 0
	v_addc_co_u32_e32 v40, vcc, v41, v45, vcc
	v_mov_b32_e32 v41, v10
	s_nop 0
	v_addc_co_u32_e32 v43, vcc, 0, v43, vcc
	v_lshl_add_u64 v[40:41], v[40:41], 0, v[42:43]
	v_mul_lo_u32 v11, s45, v40
	v_mul_lo_u32 v37, s44, v41
	v_mad_u64_u32 v[42:43], s[4:5], s44, v40, 0
	v_add3_u32 v11, v43, v37, v11
	v_sub_u32_e32 v37, v35, v11
	v_mov_b32_e32 v43, s45
	v_sub_co_u32_e32 v39, vcc, v39, v42
	v_lshl_add_u64 v[44:45], v[40:41], 0, 1
	s_nop 0
	v_subb_co_u32_e64 v37, s[4:5], v37, v43, vcc
	v_subrev_co_u32_e64 v42, s[4:5], s44, v39
	v_subb_co_u32_e32 v11, vcc, v35, v11, vcc
	s_nop 0
	v_subbrev_co_u32_e64 v37, s[4:5], 0, v37, s[4:5]
	v_cmp_le_u32_e64 s[4:5], s45, v37
	v_cmp_le_u32_e32 vcc, s45, v11
	s_nop 0
	v_cndmask_b32_e64 v43, 0, -1, s[4:5]
	v_cmp_le_u32_e64 s[4:5], s44, v42
	v_cndmask_b32_e64 v35, 0, -1, vcc
	v_cmp_le_u32_e32 vcc, s44, v39
	v_cndmask_b32_e64 v42, 0, -1, s[4:5]
	v_cmp_eq_u32_e64 s[4:5], s45, v37
	v_cndmask_b32_e64 v39, 0, -1, vcc
	v_cmp_eq_u32_e32 vcc, s45, v11
	v_cndmask_b32_e64 v37, v43, v42, s[4:5]
	v_lshl_add_u64 v[42:43], v[40:41], 0, 2
	v_cmp_ne_u32_e64 s[4:5], 0, v37
	v_cndmask_b32_e32 v11, v35, v39, vcc
	v_cmp_ne_u32_e32 vcc, 0, v11
	v_cndmask_b32_e64 v37, v45, v43, s[4:5]
	v_cndmask_b32_e64 v35, v44, v42, s[4:5]
	v_cndmask_b32_e32 v11, v41, v37, vcc
	v_cndmask_b32_e32 v35, v40, v35, vcc
	v_xor_b32_e32 v37, s42, v34
	v_xor_b32_e32 v34, v35, v37
	;; [unrolled: 1-line block ×3, first 2 shown]
	v_sub_co_u32_e32 v34, vcc, v34, v37
	s_nop 1
	v_subb_co_u32_e32 v35, vcc, v11, v37, vcc
	s_andn2_saveexec_b64 s[4:5], s[6:7]
	s_cbranch_execz .LBB35_40
.LBB35_42:                              ;   in Loop: Header=BB35_33 Depth=2
	v_cvt_f32_u32_e32 v11, s12
	s_sub_i32 s6, 0, s12
	v_rcp_iflag_f32_e32 v11, v11
	s_nop 0
	v_mul_f32_e32 v11, 0x4f7ffffe, v11
	v_cvt_u32_f32_e32 v11, v11
	v_mul_lo_u32 v34, s6, v11
	v_mul_hi_u32 v34, v11, v34
	v_add_u32_e32 v11, v11, v34
	v_mul_hi_u32 v11, v18, v11
	v_mul_lo_u32 v34, v11, s12
	v_sub_u32_e32 v34, v18, v34
	v_add_u32_e32 v35, 1, v11
	v_subrev_u32_e32 v37, s12, v34
	v_cmp_le_u32_e32 vcc, s12, v34
	s_nop 1
	v_cndmask_b32_e32 v34, v34, v37, vcc
	v_cndmask_b32_e32 v11, v11, v35, vcc
	v_add_u32_e32 v35, 1, v11
	v_cmp_le_u32_e32 vcc, s12, v34
	s_nop 1
	v_cndmask_b32_e32 v34, v11, v35, vcc
	v_mov_b32_e32 v35, v10
	s_or_b64 exec, exec, s[4:5]
	v_cmp_eq_u64_e32 vcc, v[32:33], v[34:35]
	s_and_b64 exec, exec, vcc
	s_cbranch_execz .LBB35_32
.LBB35_43:                              ;   in Loop: Header=BB35_33 Depth=2
	s_and_b64 vcc, exec, s[24:25]
	s_cbranch_vccz .LBB35_45
; %bb.44:                               ;   in Loop: Header=BB35_33 Depth=2
	global_load_dword v11, v[26:27], off
	v_mul_lo_u32 v34, v33, s12
	v_mul_lo_u32 v35, v32, s13
	v_mad_u64_u32 v[32:33], s[4:5], v32, s12, 0
	v_add3_u32 v33, v33, v35, v34
	v_sub_co_u32_e32 v32, vcc, v30, v32
	s_nop 1
	v_subb_co_u32_e32 v33, vcc, v31, v33, vcc
	v_lshl_add_u64 v[32:33], v[32:33], 0, v[20:21]
	v_mul_lo_u32 v34, s28, v33
	v_mul_lo_u32 v35, s29, v32
	v_mad_u64_u32 v[32:33], s[4:5], s28, v32, v[28:29]
	v_add3_u32 v33, v35, v33, v34
	s_waitcnt vmcnt(0)
	global_store_dword v[32:33], v11, off
	s_cbranch_execnz .LBB35_32
	s_branch .LBB35_46
.LBB35_45:                              ;   in Loop: Header=BB35_33 Depth=2
.LBB35_46:                              ;   in Loop: Header=BB35_33 Depth=2
	v_mov_b32_e32 v11, v36
	v_cmp_ne_u64_e32 vcc, 0, v[10:11]
                                        ; implicit-def: $vgpr32_vgpr33
	s_and_saveexec_b64 s[4:5], vcc
	s_xor_b64 s[42:43], exec, s[4:5]
	s_cbranch_execz .LBB35_48
; %bb.47:                               ;   in Loop: Header=BB35_33 Depth=2
	s_ashr_i32 s4, s13, 31
	s_add_u32 s6, s12, s4
	s_mov_b32 s5, s4
	s_addc_u32 s7, s13, s4
	s_xor_b64 s[44:45], s[6:7], s[4:5]
	v_cvt_f32_u32_e32 v11, s44
	v_cvt_f32_u32_e32 v32, s45
	s_sub_u32 s4, 0, s44
	s_subb_u32 s5, 0, s45
	v_mov_b32_e32 v35, v10
	v_fmac_f32_e32 v11, 0x4f800000, v32
	v_rcp_f32_e32 v11, v11
	s_nop 0
	v_mul_f32_e32 v11, 0x5f7ffffc, v11
	v_mul_f32_e32 v32, 0x2f800000, v11
	v_trunc_f32_e32 v32, v32
	v_fmac_f32_e32 v11, 0xcf800000, v32
	v_cvt_u32_f32_e32 v36, v32
	v_cvt_u32_f32_e32 v11, v11
	v_mul_lo_u32 v32, s4, v36
	v_mul_hi_u32 v34, s4, v11
	v_mul_lo_u32 v33, s5, v11
	v_add_u32_e32 v32, v34, v32
	v_mul_lo_u32 v37, s4, v11
	v_add_u32_e32 v39, v32, v33
	v_mul_hi_u32 v33, v11, v39
	v_mul_lo_u32 v32, v11, v39
	v_mul_hi_u32 v34, v11, v37
	v_lshl_add_u64 v[32:33], v[34:35], 0, v[32:33]
	v_mul_hi_u32 v35, v36, v37
	v_mul_lo_u32 v37, v36, v37
	v_add_co_u32_e32 v32, vcc, v32, v37
	v_mul_hi_u32 v34, v36, v39
	s_nop 0
	v_addc_co_u32_e32 v32, vcc, v33, v35, vcc
	v_mov_b32_e32 v33, v10
	s_nop 0
	v_addc_co_u32_e32 v35, vcc, 0, v34, vcc
	v_mul_lo_u32 v34, v36, v39
	v_lshl_add_u64 v[32:33], v[32:33], 0, v[34:35]
	v_add_co_u32_e32 v11, vcc, v11, v32
	v_mul_lo_u32 v34, s4, v11
	s_nop 0
	v_addc_co_u32_e32 v36, vcc, v36, v33, vcc
	v_mul_lo_u32 v32, s4, v36
	v_mul_hi_u32 v33, s4, v11
	v_add_u32_e32 v32, v33, v32
	v_mul_lo_u32 v33, s5, v11
	v_add_u32_e32 v37, v32, v33
	v_mul_hi_u32 v40, v36, v34
	v_mul_lo_u32 v41, v36, v34
	v_mul_hi_u32 v33, v11, v37
	v_mul_lo_u32 v32, v11, v37
	v_mul_hi_u32 v34, v11, v34
	v_mov_b32_e32 v35, v10
	v_lshl_add_u64 v[32:33], v[34:35], 0, v[32:33]
	v_add_co_u32_e32 v32, vcc, v32, v41
	v_mul_hi_u32 v39, v36, v37
	s_nop 0
	v_addc_co_u32_e32 v32, vcc, v33, v40, vcc
	v_mul_lo_u32 v34, v36, v37
	s_nop 0
	v_addc_co_u32_e32 v35, vcc, 0, v39, vcc
	v_mov_b32_e32 v33, v10
	v_lshl_add_u64 v[32:33], v[32:33], 0, v[34:35]
	v_ashrrev_i32_e32 v34, 31, v31
	v_mov_b32_e32 v35, v34
	v_add_co_u32_e32 v11, vcc, v11, v32
	v_lshl_add_u64 v[30:31], v[30:31], 0, v[34:35]
	s_nop 0
	v_addc_co_u32_e32 v36, vcc, v36, v33, vcc
	v_xor_b32_e32 v39, v30, v34
	v_xor_b32_e32 v35, v31, v34
	v_mad_u64_u32 v[30:31], s[4:5], v39, v36, 0
	v_mul_hi_u32 v32, v39, v11
	v_mov_b32_e32 v33, v10
	v_lshl_add_u64 v[30:31], v[32:33], 0, v[30:31]
	v_mad_u64_u32 v[32:33], s[4:5], v35, v36, 0
	v_mad_u64_u32 v[36:37], s[4:5], v35, v11, 0
	v_add_co_u32_e32 v11, vcc, v30, v36
	s_nop 1
	v_addc_co_u32_e32 v30, vcc, v31, v37, vcc
	v_mov_b32_e32 v31, v10
	s_nop 0
	v_addc_co_u32_e32 v33, vcc, 0, v33, vcc
	v_lshl_add_u64 v[30:31], v[30:31], 0, v[32:33]
	v_mul_lo_u32 v11, s45, v30
	v_mul_lo_u32 v32, s44, v31
	v_mad_u64_u32 v[30:31], s[4:5], s44, v30, 0
	v_add3_u32 v11, v31, v32, v11
	v_sub_u32_e32 v31, v35, v11
	v_mov_b32_e32 v32, s45
	v_sub_co_u32_e32 v30, vcc, v39, v30
	s_nop 1
	v_subb_co_u32_e64 v31, s[4:5], v31, v32, vcc
	v_subrev_co_u32_e64 v33, s[4:5], s44, v30
	v_subb_co_u32_e32 v11, vcc, v35, v11, vcc
	s_nop 0
	v_subbrev_co_u32_e64 v36, s[6:7], 0, v31, s[4:5]
	v_cmp_le_u32_e64 s[6:7], s45, v36
	v_subb_co_u32_e64 v31, s[4:5], v31, v32, s[4:5]
	s_nop 0
	v_cndmask_b32_e64 v37, 0, -1, s[6:7]
	v_cmp_le_u32_e64 s[6:7], s44, v33
	v_subrev_co_u32_e64 v32, s[4:5], s44, v33
	s_nop 0
	v_cndmask_b32_e64 v39, 0, -1, s[6:7]
	v_cmp_eq_u32_e64 s[6:7], s45, v36
	v_subbrev_co_u32_e64 v31, s[4:5], 0, v31, s[4:5]
	s_nop 0
	v_cndmask_b32_e64 v37, v37, v39, s[6:7]
	v_cmp_le_u32_e32 vcc, s45, v11
	v_cmp_ne_u32_e64 s[4:5], 0, v37
	s_nop 0
	v_cndmask_b32_e64 v35, 0, -1, vcc
	v_cmp_le_u32_e32 vcc, s44, v30
	v_cndmask_b32_e64 v31, v36, v31, s[4:5]
	s_nop 0
	v_cndmask_b32_e64 v36, 0, -1, vcc
	v_cmp_eq_u32_e32 vcc, s45, v11
	s_nop 1
	v_cndmask_b32_e32 v35, v35, v36, vcc
	v_cmp_ne_u32_e32 vcc, 0, v35
	s_nop 1
	v_cndmask_b32_e32 v11, v11, v31, vcc
	v_cndmask_b32_e64 v31, v33, v32, s[4:5]
	v_cndmask_b32_e32 v30, v30, v31, vcc
	v_xor_b32_e32 v30, v30, v34
	v_xor_b32_e32 v11, v11, v34
	v_sub_co_u32_e32 v32, vcc, v30, v34
                                        ; implicit-def: $vgpr30_vgpr31
	s_nop 1
	v_subb_co_u32_e32 v33, vcc, v11, v34, vcc
.LBB35_48:                              ;   in Loop: Header=BB35_33 Depth=2
	s_andn2_saveexec_b64 s[4:5], s[42:43]
	s_cbranch_execz .LBB35_31
; %bb.49:                               ;   in Loop: Header=BB35_33 Depth=2
	v_cvt_f32_u32_e32 v11, s12
	s_sub_i32 s6, 0, s12
	v_mov_b32_e32 v33, v10
	v_rcp_iflag_f32_e32 v11, v11
	s_nop 0
	v_mul_f32_e32 v11, 0x4f7ffffe, v11
	v_cvt_u32_f32_e32 v11, v11
	v_mul_lo_u32 v31, s6, v11
	v_mul_hi_u32 v31, v11, v31
	v_add_u32_e32 v11, v11, v31
	v_mul_hi_u32 v11, v30, v11
	v_mul_lo_u32 v11, v11, s12
	v_sub_u32_e32 v11, v30, v11
	v_subrev_u32_e32 v30, s12, v11
	v_cmp_le_u32_e32 vcc, s12, v11
	s_nop 1
	v_cndmask_b32_e32 v11, v11, v30, vcc
	v_subrev_u32_e32 v30, s12, v11
	v_cmp_le_u32_e32 vcc, s12, v11
	s_nop 1
	v_cndmask_b32_e32 v32, v11, v30, vcc
	s_branch .LBB35_31
.LBB35_50:                              ;   in Loop: Header=BB35_10 Depth=1
	s_ashr_i32 s40, s13, 31
	s_add_u32 s4, s12, s40
	s_mov_b32 s41, s40
	s_addc_u32 s5, s13, s40
	s_xor_b64 s[42:43], s[4:5], s[40:41]
	v_cvt_f32_u32_e32 v11, s42
	v_cvt_f32_u32_e32 v20, s43
	s_sub_u32 s4, 0, s42
	s_subb_u32 s5, 0, s43
	v_mov_b32_e32 v23, v10
	v_fmac_f32_e32 v11, 0x4f800000, v20
	v_rcp_f32_e32 v11, v11
	s_nop 0
	v_mul_f32_e32 v11, 0x5f7ffffc, v11
	v_mul_f32_e32 v20, 0x2f800000, v11
	v_trunc_f32_e32 v20, v20
	v_fmac_f32_e32 v11, 0xcf800000, v20
	v_cvt_u32_f32_e32 v24, v20
	v_cvt_u32_f32_e32 v11, v11
	v_mul_lo_u32 v20, s4, v24
	v_mul_hi_u32 v22, s4, v11
	v_mul_lo_u32 v21, s5, v11
	v_add_u32_e32 v20, v22, v20
	v_mul_lo_u32 v25, s4, v11
	v_add_u32_e32 v26, v20, v21
	v_mul_hi_u32 v21, v11, v26
	v_mul_lo_u32 v20, v11, v26
	v_mul_hi_u32 v22, v11, v25
	v_lshl_add_u64 v[20:21], v[22:23], 0, v[20:21]
	v_mul_hi_u32 v23, v24, v25
	v_mul_lo_u32 v25, v24, v25
	v_add_co_u32_e32 v20, vcc, v20, v25
	v_mul_hi_u32 v22, v24, v26
	s_nop 0
	v_addc_co_u32_e32 v20, vcc, v21, v23, vcc
	v_mov_b32_e32 v21, v10
	s_nop 0
	v_addc_co_u32_e32 v23, vcc, 0, v22, vcc
	v_mul_lo_u32 v22, v24, v26
	v_lshl_add_u64 v[20:21], v[20:21], 0, v[22:23]
	v_add_co_u32_e32 v11, vcc, v11, v20
	v_mul_lo_u32 v22, s4, v11
	s_nop 0
	v_addc_co_u32_e32 v24, vcc, v24, v21, vcc
	v_mul_lo_u32 v20, s4, v24
	v_mul_hi_u32 v21, s4, v11
	v_add_u32_e32 v20, v21, v20
	v_mul_lo_u32 v21, s5, v11
	v_add_u32_e32 v25, v20, v21
	v_mul_hi_u32 v27, v24, v22
	v_mul_lo_u32 v28, v24, v22
	v_mul_hi_u32 v21, v11, v25
	v_mul_lo_u32 v20, v11, v25
	v_mul_hi_u32 v22, v11, v22
	v_mov_b32_e32 v23, v10
	v_lshl_add_u64 v[20:21], v[22:23], 0, v[20:21]
	v_add_co_u32_e32 v20, vcc, v20, v28
	v_mul_hi_u32 v26, v24, v25
	s_nop 0
	v_addc_co_u32_e32 v20, vcc, v21, v27, vcc
	v_mul_lo_u32 v22, v24, v25
	s_nop 0
	v_addc_co_u32_e32 v23, vcc, 0, v26, vcc
	v_mov_b32_e32 v21, v10
	v_lshl_add_u64 v[20:21], v[20:21], 0, v[22:23]
	v_add_co_u32_e32 v11, vcc, v11, v20
	v_ashrrev_i32_e32 v20, 31, v19
	s_nop 0
	v_addc_co_u32_e32 v26, vcc, v24, v21, vcc
	v_mov_b32_e32 v21, v20
	v_lshl_add_u64 v[22:23], v[18:19], 0, v[20:21]
	v_xor_b32_e32 v28, v22, v20
	v_xor_b32_e32 v21, v23, v20
	v_mad_u64_u32 v[22:23], s[4:5], v28, v26, 0
	v_mul_hi_u32 v24, v28, v11
	v_mov_b32_e32 v25, v10
	v_lshl_add_u64 v[22:23], v[24:25], 0, v[22:23]
	v_mad_u64_u32 v[24:25], s[4:5], v21, v26, 0
	v_mad_u64_u32 v[26:27], s[4:5], v21, v11, 0
	v_add_co_u32_e32 v11, vcc, v22, v26
	s_nop 1
	v_addc_co_u32_e32 v22, vcc, v23, v27, vcc
	v_mov_b32_e32 v23, v10
	s_nop 0
	v_addc_co_u32_e32 v25, vcc, 0, v25, vcc
	v_lshl_add_u64 v[22:23], v[22:23], 0, v[24:25]
	v_mul_lo_u32 v11, s43, v22
	v_mul_lo_u32 v26, s42, v23
	v_mad_u64_u32 v[24:25], s[4:5], s42, v22, 0
	v_add3_u32 v11, v25, v26, v11
	v_sub_u32_e32 v25, v21, v11
	v_mov_b32_e32 v26, s43
	v_sub_co_u32_e32 v28, vcc, v28, v24
	s_nop 1
	v_subb_co_u32_e64 v24, s[4:5], v25, v26, vcc
	v_subrev_co_u32_e64 v25, s[4:5], s42, v28
	v_subb_co_u32_e32 v11, vcc, v21, v11, vcc
	s_nop 0
	v_subbrev_co_u32_e64 v24, s[4:5], 0, v24, s[4:5]
	v_cmp_le_u32_e64 s[4:5], s43, v24
	v_cmp_le_u32_e32 vcc, s43, v11
	s_nop 0
	v_cndmask_b32_e64 v26, 0, -1, s[4:5]
	v_cmp_le_u32_e64 s[4:5], s42, v25
	v_cndmask_b32_e64 v21, 0, -1, vcc
	v_cmp_le_u32_e32 vcc, s42, v28
	v_cndmask_b32_e64 v25, 0, -1, s[4:5]
	v_cmp_eq_u32_e64 s[4:5], s43, v24
	s_nop 1
	v_cndmask_b32_e64 v29, v26, v25, s[4:5]
	v_lshl_add_u64 v[24:25], v[22:23], 0, 2
	v_lshl_add_u64 v[26:27], v[22:23], 0, 1
	v_cmp_ne_u32_e64 s[4:5], 0, v29
	s_nop 1
	v_cndmask_b32_e64 v25, v27, v25, s[4:5]
	v_cndmask_b32_e64 v27, 0, -1, vcc
	v_cmp_eq_u32_e32 vcc, s43, v11
	s_nop 1
	v_cndmask_b32_e32 v11, v21, v27, vcc
	v_cmp_ne_u32_e32 vcc, 0, v11
	v_cndmask_b32_e64 v21, v26, v24, s[4:5]
	s_nop 0
	v_cndmask_b32_e32 v21, v22, v21, vcc
	v_xor_b32_e32 v22, s40, v20
	v_cndmask_b32_e32 v11, v23, v25, vcc
	v_xor_b32_e32 v20, v21, v22
	v_xor_b32_e32 v11, v11, v22
	v_sub_co_u32_e32 v20, vcc, v20, v22
	s_nop 1
	v_subb_co_u32_e32 v21, vcc, v11, v22, vcc
	s_andn2_saveexec_b64 s[4:5], s[38:39]
	s_cbranch_execz .LBB35_26
.LBB35_51:                              ;   in Loop: Header=BB35_10 Depth=1
	v_cvt_f32_u32_e32 v11, s12
	s_sub_i32 s38, 0, s12
	v_rcp_iflag_f32_e32 v11, v11
	s_nop 0
	v_mul_f32_e32 v11, 0x4f7ffffe, v11
	v_cvt_u32_f32_e32 v11, v11
	v_mul_lo_u32 v20, s38, v11
	v_mul_hi_u32 v20, v11, v20
	v_add_u32_e32 v11, v11, v20
	v_mul_hi_u32 v11, v18, v11
	v_mul_lo_u32 v20, v11, s12
	v_sub_u32_e32 v20, v18, v20
	v_add_u32_e32 v21, 1, v11
	v_subrev_u32_e32 v22, s12, v20
	v_cmp_le_u32_e32 vcc, s12, v20
	s_nop 1
	v_cndmask_b32_e32 v20, v20, v22, vcc
	v_cndmask_b32_e32 v11, v11, v21, vcc
	v_add_u32_e32 v21, 1, v11
	v_cmp_le_u32_e32 vcc, s12, v20
	s_nop 1
	v_cndmask_b32_e32 v20, v11, v21, vcc
	v_mov_b32_e32 v21, v10
	s_or_b64 exec, exec, s[4:5]
	v_cmp_ge_i64_e32 vcc, v[20:21], v[16:17]
	s_and_saveexec_b64 s[4:5], vcc
	s_cbranch_execnz .LBB35_27
	s_branch .LBB35_28
.LBB35_52:
	s_endpgm
	.section	.rodata,"a",@progbits
	.p2align	6, 0x0
	.amdhsa_kernel _ZN9rocsparseL21csr2bsr_65_inf_kernelILj32EillEEv20rocsparse_direction_T2_S2_S2_S2_S2_S2_21rocsparse_index_base_PKT0_PKT1_PKS2_S3_PS4_PS7_PS2_SD_SE_SC_
		.amdhsa_group_segment_fixed_size 0
		.amdhsa_private_segment_fixed_size 0
		.amdhsa_kernarg_size 144
		.amdhsa_user_sgpr_count 2
		.amdhsa_user_sgpr_dispatch_ptr 0
		.amdhsa_user_sgpr_queue_ptr 0
		.amdhsa_user_sgpr_kernarg_segment_ptr 1
		.amdhsa_user_sgpr_dispatch_id 0
		.amdhsa_user_sgpr_kernarg_preload_length 0
		.amdhsa_user_sgpr_kernarg_preload_offset 0
		.amdhsa_user_sgpr_private_segment_size 0
		.amdhsa_uses_dynamic_stack 0
		.amdhsa_enable_private_segment 0
		.amdhsa_system_sgpr_workgroup_id_x 1
		.amdhsa_system_sgpr_workgroup_id_y 0
		.amdhsa_system_sgpr_workgroup_id_z 0
		.amdhsa_system_sgpr_workgroup_info 0
		.amdhsa_system_vgpr_workitem_id 0
		.amdhsa_next_free_vgpr 46
		.amdhsa_next_free_sgpr 52
		.amdhsa_accum_offset 48
		.amdhsa_reserve_vcc 1
		.amdhsa_float_round_mode_32 0
		.amdhsa_float_round_mode_16_64 0
		.amdhsa_float_denorm_mode_32 3
		.amdhsa_float_denorm_mode_16_64 3
		.amdhsa_dx10_clamp 1
		.amdhsa_ieee_mode 1
		.amdhsa_fp16_overflow 0
		.amdhsa_tg_split 0
		.amdhsa_exception_fp_ieee_invalid_op 0
		.amdhsa_exception_fp_denorm_src 0
		.amdhsa_exception_fp_ieee_div_zero 0
		.amdhsa_exception_fp_ieee_overflow 0
		.amdhsa_exception_fp_ieee_underflow 0
		.amdhsa_exception_fp_ieee_inexact 0
		.amdhsa_exception_int_div_zero 0
	.end_amdhsa_kernel
	.section	.text._ZN9rocsparseL21csr2bsr_65_inf_kernelILj32EillEEv20rocsparse_direction_T2_S2_S2_S2_S2_S2_21rocsparse_index_base_PKT0_PKT1_PKS2_S3_PS4_PS7_PS2_SD_SE_SC_,"axG",@progbits,_ZN9rocsparseL21csr2bsr_65_inf_kernelILj32EillEEv20rocsparse_direction_T2_S2_S2_S2_S2_S2_21rocsparse_index_base_PKT0_PKT1_PKS2_S3_PS4_PS7_PS2_SD_SE_SC_,comdat
.Lfunc_end35:
	.size	_ZN9rocsparseL21csr2bsr_65_inf_kernelILj32EillEEv20rocsparse_direction_T2_S2_S2_S2_S2_S2_21rocsparse_index_base_PKT0_PKT1_PKS2_S3_PS4_PS7_PS2_SD_SE_SC_, .Lfunc_end35-_ZN9rocsparseL21csr2bsr_65_inf_kernelILj32EillEEv20rocsparse_direction_T2_S2_S2_S2_S2_S2_21rocsparse_index_base_PKT0_PKT1_PKS2_S3_PS4_PS7_PS2_SD_SE_SC_
                                        ; -- End function
	.section	.AMDGPU.csdata,"",@progbits
; Kernel info:
; codeLenInByte = 5516
; NumSgprs: 58
; NumVgprs: 46
; NumAgprs: 0
; TotalNumVgprs: 46
; ScratchSize: 0
; MemoryBound: 0
; FloatMode: 240
; IeeeMode: 1
; LDSByteSize: 0 bytes/workgroup (compile time only)
; SGPRBlocks: 7
; VGPRBlocks: 5
; NumSGPRsForWavesPerEU: 58
; NumVGPRsForWavesPerEU: 46
; AccumOffset: 48
; Occupancy: 8
; WaveLimiterHint : 1
; COMPUTE_PGM_RSRC2:SCRATCH_EN: 0
; COMPUTE_PGM_RSRC2:USER_SGPR: 2
; COMPUTE_PGM_RSRC2:TRAP_HANDLER: 0
; COMPUTE_PGM_RSRC2:TGID_X_EN: 1
; COMPUTE_PGM_RSRC2:TGID_Y_EN: 0
; COMPUTE_PGM_RSRC2:TGID_Z_EN: 0
; COMPUTE_PGM_RSRC2:TIDIG_COMP_CNT: 0
; COMPUTE_PGM_RSRC3_GFX90A:ACCUM_OFFSET: 11
; COMPUTE_PGM_RSRC3_GFX90A:TG_SPLIT: 0
	.section	.text._ZN9rocsparseL35csr2bsr_block_dim_equals_one_kernelILj256EfiiEEvT2_S1_S1_S1_21rocsparse_index_base_PKT0_PKT1_PKS1_S2_PS3_PS6_PS1_,"axG",@progbits,_ZN9rocsparseL35csr2bsr_block_dim_equals_one_kernelILj256EfiiEEvT2_S1_S1_S1_21rocsparse_index_base_PKT0_PKT1_PKS1_S2_PS3_PS6_PS1_,comdat
	.globl	_ZN9rocsparseL35csr2bsr_block_dim_equals_one_kernelILj256EfiiEEvT2_S1_S1_S1_21rocsparse_index_base_PKT0_PKT1_PKS1_S2_PS3_PS6_PS1_ ; -- Begin function _ZN9rocsparseL35csr2bsr_block_dim_equals_one_kernelILj256EfiiEEvT2_S1_S1_S1_21rocsparse_index_base_PKT0_PKT1_PKS1_S2_PS3_PS6_PS1_
	.p2align	8
	.type	_ZN9rocsparseL35csr2bsr_block_dim_equals_one_kernelILj256EfiiEEvT2_S1_S1_S1_21rocsparse_index_base_PKT0_PKT1_PKS1_S2_PS3_PS6_PS1_,@function
_ZN9rocsparseL35csr2bsr_block_dim_equals_one_kernelILj256EfiiEEvT2_S1_S1_S1_21rocsparse_index_base_PKT0_PKT1_PKS1_S2_PS3_PS6_PS1_: ; @_ZN9rocsparseL35csr2bsr_block_dim_equals_one_kernelILj256EfiiEEvT2_S1_S1_S1_21rocsparse_index_base_PKT0_PKT1_PKS1_S2_PS3_PS6_PS1_
; %bb.0:
	s_load_dword s8, s[0:1], 0x0
	s_load_dwordx4 s[4:7], s[0:1], 0x18
	v_lshl_or_b32 v0, s2, 8, v0
	s_waitcnt lgkmcnt(0)
	s_ashr_i32 s9, s8, 31
	s_lshl_b64 s[8:9], s[8:9], 2
	s_add_u32 s8, s6, s8
	s_addc_u32 s9, s7, s9
	s_load_dword s3, s[8:9], 0x0
	s_load_dword s10, s[6:7], 0x0
	s_waitcnt lgkmcnt(0)
	s_sub_i32 s10, s3, s10
	v_cmp_gt_i32_e32 vcc, s10, v0
	s_and_saveexec_b64 s[2:3], vcc
	s_cbranch_execz .LBB36_3
; %bb.1:
	s_load_dword s11, s[0:1], 0x30
	s_load_dwordx2 s[2:3], s[0:1], 0x38
	s_load_dword s12, s[0:1], 0x10
	s_load_dword s13, s[0:1], 0x50
	s_load_dwordx2 s[6:7], s[0:1], 0x28
	s_load_dwordx2 s[8:9], s[0:1], 0x48
	s_mov_b64 s[0:1], 0
	s_waitcnt lgkmcnt(0)
	s_sub_i32 s11, s11, s12
	s_lshl_b32 s12, s13, 8
.LBB36_2:                               ; =>This Inner Loop Header: Depth=1
	v_ashrrev_i32_e32 v1, 31, v0
	v_lshlrev_b64 v[2:3], 2, v[0:1]
	v_lshl_add_u64 v[4:5], s[6:7], 0, v[2:3]
	global_load_dword v1, v[4:5], off
	v_lshl_add_u64 v[4:5], s[4:5], 0, v[2:3]
	global_load_dword v6, v[4:5], off
	v_add_u32_e32 v0, s12, v0
	v_cmp_le_i32_e32 vcc, s10, v0
	v_lshl_add_u64 v[4:5], s[8:9], 0, v[2:3]
	s_or_b64 s[0:1], vcc, s[0:1]
	v_lshl_add_u64 v[2:3], s[2:3], 0, v[2:3]
	s_waitcnt vmcnt(1)
	v_add_u32_e32 v1, s11, v1
	global_store_dword v[4:5], v1, off
	s_waitcnt vmcnt(1)
	global_store_dword v[2:3], v6, off
	s_andn2_b64 exec, exec, s[0:1]
	s_cbranch_execnz .LBB36_2
.LBB36_3:
	s_endpgm
	.section	.rodata,"a",@progbits
	.p2align	6, 0x0
	.amdhsa_kernel _ZN9rocsparseL35csr2bsr_block_dim_equals_one_kernelILj256EfiiEEvT2_S1_S1_S1_21rocsparse_index_base_PKT0_PKT1_PKS1_S2_PS3_PS6_PS1_
		.amdhsa_group_segment_fixed_size 0
		.amdhsa_private_segment_fixed_size 0
		.amdhsa_kernarg_size 336
		.amdhsa_user_sgpr_count 2
		.amdhsa_user_sgpr_dispatch_ptr 0
		.amdhsa_user_sgpr_queue_ptr 0
		.amdhsa_user_sgpr_kernarg_segment_ptr 1
		.amdhsa_user_sgpr_dispatch_id 0
		.amdhsa_user_sgpr_kernarg_preload_length 0
		.amdhsa_user_sgpr_kernarg_preload_offset 0
		.amdhsa_user_sgpr_private_segment_size 0
		.amdhsa_uses_dynamic_stack 0
		.amdhsa_enable_private_segment 0
		.amdhsa_system_sgpr_workgroup_id_x 1
		.amdhsa_system_sgpr_workgroup_id_y 0
		.amdhsa_system_sgpr_workgroup_id_z 0
		.amdhsa_system_sgpr_workgroup_info 0
		.amdhsa_system_vgpr_workitem_id 0
		.amdhsa_next_free_vgpr 7
		.amdhsa_next_free_sgpr 14
		.amdhsa_accum_offset 8
		.amdhsa_reserve_vcc 1
		.amdhsa_float_round_mode_32 0
		.amdhsa_float_round_mode_16_64 0
		.amdhsa_float_denorm_mode_32 3
		.amdhsa_float_denorm_mode_16_64 3
		.amdhsa_dx10_clamp 1
		.amdhsa_ieee_mode 1
		.amdhsa_fp16_overflow 0
		.amdhsa_tg_split 0
		.amdhsa_exception_fp_ieee_invalid_op 0
		.amdhsa_exception_fp_denorm_src 0
		.amdhsa_exception_fp_ieee_div_zero 0
		.amdhsa_exception_fp_ieee_overflow 0
		.amdhsa_exception_fp_ieee_underflow 0
		.amdhsa_exception_fp_ieee_inexact 0
		.amdhsa_exception_int_div_zero 0
	.end_amdhsa_kernel
	.section	.text._ZN9rocsparseL35csr2bsr_block_dim_equals_one_kernelILj256EfiiEEvT2_S1_S1_S1_21rocsparse_index_base_PKT0_PKT1_PKS1_S2_PS3_PS6_PS1_,"axG",@progbits,_ZN9rocsparseL35csr2bsr_block_dim_equals_one_kernelILj256EfiiEEvT2_S1_S1_S1_21rocsparse_index_base_PKT0_PKT1_PKS1_S2_PS3_PS6_PS1_,comdat
.Lfunc_end36:
	.size	_ZN9rocsparseL35csr2bsr_block_dim_equals_one_kernelILj256EfiiEEvT2_S1_S1_S1_21rocsparse_index_base_PKT0_PKT1_PKS1_S2_PS3_PS6_PS1_, .Lfunc_end36-_ZN9rocsparseL35csr2bsr_block_dim_equals_one_kernelILj256EfiiEEvT2_S1_S1_S1_21rocsparse_index_base_PKT0_PKT1_PKS1_S2_PS3_PS6_PS1_
                                        ; -- End function
	.section	.AMDGPU.csdata,"",@progbits
; Kernel info:
; codeLenInByte = 256
; NumSgprs: 20
; NumVgprs: 7
; NumAgprs: 0
; TotalNumVgprs: 7
; ScratchSize: 0
; MemoryBound: 0
; FloatMode: 240
; IeeeMode: 1
; LDSByteSize: 0 bytes/workgroup (compile time only)
; SGPRBlocks: 2
; VGPRBlocks: 0
; NumSGPRsForWavesPerEU: 20
; NumVGPRsForWavesPerEU: 7
; AccumOffset: 8
; Occupancy: 8
; WaveLimiterHint : 0
; COMPUTE_PGM_RSRC2:SCRATCH_EN: 0
; COMPUTE_PGM_RSRC2:USER_SGPR: 2
; COMPUTE_PGM_RSRC2:TRAP_HANDLER: 0
; COMPUTE_PGM_RSRC2:TGID_X_EN: 1
; COMPUTE_PGM_RSRC2:TGID_Y_EN: 0
; COMPUTE_PGM_RSRC2:TGID_Z_EN: 0
; COMPUTE_PGM_RSRC2:TIDIG_COMP_CNT: 0
; COMPUTE_PGM_RSRC3_GFX90A:ACCUM_OFFSET: 1
; COMPUTE_PGM_RSRC3_GFX90A:TG_SPLIT: 0
	.section	.text._ZN9rocsparseL42csr2bsr_wavefront_per_row_multipass_kernelILj256ELj16ELj4EfiiEEv20rocsparse_direction_T4_S2_S2_S2_S2_21rocsparse_index_base_PKT2_PKT3_PKS2_S3_PS4_PS7_PS2_,"axG",@progbits,_ZN9rocsparseL42csr2bsr_wavefront_per_row_multipass_kernelILj256ELj16ELj4EfiiEEv20rocsparse_direction_T4_S2_S2_S2_S2_21rocsparse_index_base_PKT2_PKT3_PKS2_S3_PS4_PS7_PS2_,comdat
	.globl	_ZN9rocsparseL42csr2bsr_wavefront_per_row_multipass_kernelILj256ELj16ELj4EfiiEEv20rocsparse_direction_T4_S2_S2_S2_S2_21rocsparse_index_base_PKT2_PKT3_PKS2_S3_PS4_PS7_PS2_ ; -- Begin function _ZN9rocsparseL42csr2bsr_wavefront_per_row_multipass_kernelILj256ELj16ELj4EfiiEEv20rocsparse_direction_T4_S2_S2_S2_S2_21rocsparse_index_base_PKT2_PKT3_PKS2_S3_PS4_PS7_PS2_
	.p2align	8
	.type	_ZN9rocsparseL42csr2bsr_wavefront_per_row_multipass_kernelILj256ELj16ELj4EfiiEEv20rocsparse_direction_T4_S2_S2_S2_S2_21rocsparse_index_base_PKT2_PKT3_PKS2_S3_PS4_PS7_PS2_,@function
_ZN9rocsparseL42csr2bsr_wavefront_per_row_multipass_kernelILj256ELj16ELj4EfiiEEv20rocsparse_direction_T4_S2_S2_S2_S2_21rocsparse_index_base_PKT2_PKT3_PKS2_S3_PS4_PS7_PS2_: ; @_ZN9rocsparseL42csr2bsr_wavefront_per_row_multipass_kernelILj256ELj16ELj4EfiiEEv20rocsparse_direction_T4_S2_S2_S2_S2_21rocsparse_index_base_PKT2_PKT3_PKS2_S3_PS4_PS7_PS2_
; %bb.0:
	s_load_dwordx2 s[14:15], s[0:1], 0x0
	s_load_dwordx4 s[4:7], s[0:1], 0xc
	s_load_dwordx2 s[8:9], s[0:1], 0x28
	v_lshrrev_b32_e32 v8, 4, v0
	v_bfe_u32 v4, v0, 2, 2
	v_lshl_or_b32 v6, s2, 4, v8
	s_waitcnt lgkmcnt(0)
	v_mad_u64_u32 v[2:3], s[2:3], v6, s6, v[4:5]
	v_cmp_gt_i32_e64 s[2:3], s15, v2
	v_cmp_gt_i32_e32 vcc, s6, v4
	s_and_b64 s[2:3], vcc, s[2:3]
	v_mov_b32_e32 v9, 0
	v_mov_b32_e32 v17, 0
	s_and_saveexec_b64 s[10:11], s[2:3]
	s_cbranch_execz .LBB37_2
; %bb.1:
	v_ashrrev_i32_e32 v3, 31, v2
	v_lshl_add_u64 v[10:11], v[2:3], 2, s[8:9]
	global_load_dword v1, v[10:11], off
	s_waitcnt vmcnt(0)
	v_subrev_u32_e32 v17, s7, v1
.LBB37_2:
	s_or_b64 exec, exec, s[10:11]
	s_and_saveexec_b64 s[10:11], s[2:3]
	s_cbranch_execz .LBB37_4
; %bb.3:
	v_ashrrev_i32_e32 v3, 31, v2
	v_lshl_add_u64 v[2:3], v[2:3], 2, s[8:9]
	global_load_dword v1, v[2:3], off offset:4
	s_waitcnt vmcnt(0)
	v_subrev_u32_e32 v9, s7, v1
.LBB37_4:
	s_or_b64 exec, exec, s[10:11]
	s_load_dword s20, s[0:1], 0x38
	v_cmp_gt_i32_e64 s[2:3], s4, v6
	v_mov_b32_e32 v2, 0
	s_and_saveexec_b64 s[8:9], s[2:3]
	s_cbranch_execz .LBB37_6
; %bb.5:
	s_load_dwordx2 s[2:3], s[0:1], 0x48
	v_ashrrev_i32_e32 v7, 31, v6
	s_waitcnt lgkmcnt(0)
	v_lshl_add_u64 v[2:3], v[6:7], 2, s[2:3]
	global_load_dword v1, v[2:3], off
	s_waitcnt vmcnt(0)
	v_subrev_u32_e32 v2, s20, v1
.LBB37_6:
	s_or_b64 exec, exec, s[8:9]
	s_cmp_lt_i32 s5, 1
	s_cbranch_scc1 .LBB37_21
; %bb.7:
	s_load_dwordx2 s[2:3], s[0:1], 0x20
	s_load_dwordx2 s[8:9], s[0:1], 0x50
	;; [unrolled: 1-line block ×4, first 2 shown]
	v_lshlrev_b32_e32 v6, 2, v4
	s_movk_i32 s0, 0xf0
	v_and_b32_e32 v10, 3, v0
	v_and_or_b32 v11, v0, s0, v6
	v_or_b32_e32 v0, v11, v10
	v_cmp_gt_u32_e64 s[0:1], s6, v10
	v_lshlrev_b32_e32 v12, 2, v0
	v_mbcnt_lo_u32_b32 v0, -1, 0
	s_and_b64 s[12:13], vcc, s[0:1]
	v_mbcnt_hi_u32_b32 v3, -1, v0
	s_cmp_eq_u32 s14, 0
	v_mul_lo_u32 v0, v10, s6
	v_mov_b32_e32 v1, 0
	s_waitcnt lgkmcnt(0)
	v_lshl_add_u64 v[14:15], v[0:1], 2, s[16:17]
	v_mov_b32_e32 v7, v1
	s_cselect_b64 vcc, -1, 0
	s_abs_i32 s4, s6
	v_lshl_add_u64 v[6:7], v[14:15], 0, v[6:7]
	v_cvt_f32_u32_e32 v14, s4
	v_mul_lo_u32 v0, v4, s6
	v_lshl_add_u64 v[4:5], v[0:1], 2, s[16:17]
	v_lshlrev_b32_e32 v0, 2, v10
	v_rcp_iflag_f32_e32 v15, v14
	v_lshlrev_b32_e32 v3, 2, v3
	v_lshl_add_u64 v[4:5], v[4:5], 0, v[0:1]
	v_or_b32_e32 v0, 12, v3
	v_or_b32_e32 v14, 60, v3
	v_mul_f32_e32 v3, 0x4f7ffffe, v15
	v_cvt_u32_f32_e32 v3, v3
	s_sub_i32 s0, 0, s4
	v_cndmask_b32_e32 v4, v6, v4, vcc
	v_mov_b32_e32 v13, 0
	v_mul_lo_u32 v6, s0, v3
	v_mul_hi_u32 v6, v3, v6
	s_mul_hi_u32 s21, s6, s6
	s_mul_i32 s22, s6, s6
	v_cndmask_b32_e32 v5, v7, v5, vcc
	s_ashr_i32 s23, s6, 31
	v_add_u32_e32 v15, v3, v6
	s_mov_b64 s[14:15], 0
	v_mov_b32_e32 v16, 1
	v_mov_b32_e32 v3, 0
	s_branch .LBB37_10
.LBB37_8:                               ;   in Loop: Header=BB37_10 Depth=1
	s_or_b64 exec, exec, s[16:17]
	v_mov_b32_e32 v6, 1
.LBB37_9:                               ;   in Loop: Header=BB37_10 Depth=1
	s_or_b64 exec, exec, s[0:1]
	v_mov_b32_dpp v3, v18 row_shr:1 row_mask:0xf bank_mask:0xf
	v_min_i32_e32 v3, v3, v18
	v_add_u32_e32 v2, v6, v2
	s_waitcnt lgkmcnt(0)
	v_mov_b32_dpp v7, v3 row_shr:2 row_mask:0xf bank_mask:0xf
	v_min_i32_e32 v3, v7, v3
	s_nop 1
	v_mov_b32_dpp v7, v3 row_shr:4 row_mask:0xf bank_mask:0xe
	v_min_i32_e32 v3, v7, v3
	s_nop 1
	v_mov_b32_dpp v7, v3 row_shr:8 row_mask:0xf bank_mask:0xc
	v_min_i32_e32 v3, v7, v3
	ds_bpermute_b32 v3, v14, v3
	s_waitcnt lgkmcnt(0)
	v_cmp_le_i32_e32 vcc, s5, v3
	s_or_b64 s[14:15], vcc, s[14:15]
	s_andn2_b64 exec, exec, s[14:15]
	s_cbranch_execz .LBB37_21
.LBB37_10:                              ; =>This Loop Header: Depth=1
                                        ;     Child Loop BB37_13 Depth 2
	v_add_u32_e32 v6, v17, v10
	v_cmp_lt_i32_e32 vcc, v6, v9
	v_mov_b32_e32 v18, s5
	v_mov_b32_e32 v19, v9
	ds_write_b8 v8, v13 offset:1024
	ds_write_b32 v12, v1
	s_waitcnt lgkmcnt(0)
	s_and_saveexec_b64 s[16:17], vcc
	s_cbranch_execz .LBB37_18
; %bb.11:                               ;   in Loop: Header=BB37_10 Depth=1
	v_mul_lo_u32 v17, v3, s6
	s_mov_b64 s[18:19], 0
	v_mov_b32_e32 v18, s5
	v_mov_b32_e32 v19, v9
	s_branch .LBB37_13
.LBB37_12:                              ;   in Loop: Header=BB37_13 Depth=2
	s_or_b64 exec, exec, s[0:1]
	v_add_u32_e32 v6, 4, v6
	v_cmp_ge_i32_e64 s[0:1], v6, v9
	s_xor_b64 s[24:25], vcc, -1
	s_or_b64 s[0:1], s[24:25], s[0:1]
	s_and_b64 s[0:1], exec, s[0:1]
	s_or_b64 s[18:19], s[0:1], s[18:19]
	s_andn2_b64 exec, exec, s[18:19]
	s_cbranch_execz .LBB37_17
.LBB37_13:                              ;   Parent Loop BB37_10 Depth=1
                                        ; =>  This Inner Loop Header: Depth=2
	v_ashrrev_i32_e32 v7, 31, v6
	v_lshl_add_u64 v[20:21], v[6:7], 2, s[10:11]
	global_load_dword v20, v[20:21], off
	s_waitcnt vmcnt(0)
	v_subrev_u32_e32 v20, s7, v20
	v_sub_u32_e32 v22, 0, v20
	v_max_i32_e32 v22, v20, v22
	v_mul_hi_u32 v23, v22, v15
	v_mul_lo_u32 v24, v23, s4
	v_sub_u32_e32 v22, v22, v24
	v_add_u32_e32 v25, 1, v23
	v_cmp_le_u32_e32 vcc, s4, v22
	v_subrev_u32_e32 v24, s4, v22
	v_ashrrev_i32_e32 v21, 31, v20
	v_cndmask_b32_e32 v23, v23, v25, vcc
	v_cndmask_b32_e32 v22, v22, v24, vcc
	v_add_u32_e32 v24, 1, v23
	v_cmp_le_u32_e32 vcc, s4, v22
	v_xor_b32_e32 v21, s23, v21
	s_nop 0
	v_cndmask_b32_e32 v22, v23, v24, vcc
	v_xor_b32_e32 v22, v22, v21
	v_sub_u32_e32 v22, v22, v21
	v_cmp_eq_u32_e32 vcc, v22, v3
	v_cmp_ne_u32_e64 s[0:1], v22, v3
	v_mov_b32_e32 v21, v19
	s_and_saveexec_b64 s[24:25], s[0:1]
	s_xor_b64 s[0:1], exec, s[24:25]
; %bb.14:                               ;   in Loop: Header=BB37_13 Depth=2
	v_min_i32_e32 v18, v22, v18
                                        ; implicit-def: $vgpr20
                                        ; implicit-def: $vgpr21
; %bb.15:                               ;   in Loop: Header=BB37_13 Depth=2
	s_or_saveexec_b64 s[0:1], s[0:1]
	v_mov_b32_e32 v19, v6
	s_xor_b64 exec, exec, s[0:1]
	s_cbranch_execz .LBB37_12
; %bb.16:                               ;   in Loop: Header=BB37_13 Depth=2
	v_lshl_add_u64 v[22:23], v[6:7], 2, s[2:3]
	global_load_dword v7, v[22:23], off
	v_sub_u32_e32 v19, v20, v17
	v_add_lshl_u32 v19, v19, v11, 2
	ds_write_b8 v8, v16 offset:1024
	s_waitcnt vmcnt(0)
	ds_write_b32 v19, v7
	v_mov_b32_e32 v19, v21
	s_branch .LBB37_12
.LBB37_17:                              ;   in Loop: Header=BB37_10 Depth=1
	s_or_b64 exec, exec, s[18:19]
.LBB37_18:                              ;   in Loop: Header=BB37_10 Depth=1
	s_or_b64 exec, exec, s[16:17]
	v_mov_b32_dpp v6, v19 row_shr:1 row_mask:0xf bank_mask:0xf
	v_min_i32_e32 v6, v6, v19
	s_waitcnt lgkmcnt(0)
	ds_read_u8 v7, v8 offset:1024
	v_mov_b32_dpp v17, v6 row_shr:2 row_mask:0xf bank_mask:0xf
	v_min_i32_e32 v6, v17, v6
	ds_bpermute_b32 v17, v0, v6
	s_waitcnt lgkmcnt(1)
	v_and_b32_e32 v6, 1, v7
	v_cmp_eq_u32_e32 vcc, 1, v6
	v_mov_b32_e32 v6, 0
	s_and_saveexec_b64 s[0:1], vcc
	s_cbranch_execz .LBB37_9
; %bb.19:                               ;   in Loop: Header=BB37_10 Depth=1
	v_add_u32_e32 v19, s20, v3
	v_ashrrev_i32_e32 v3, 31, v2
	v_lshl_add_u64 v[6:7], v[2:3], 2, s[8:9]
	global_store_dword v[6:7], v19, off
	s_and_saveexec_b64 s[16:17], s[12:13]
	s_cbranch_execz .LBB37_8
; %bb.20:                               ;   in Loop: Header=BB37_10 Depth=1
	ds_read_b32 v19, v12
	v_mul_lo_u32 v20, s21, v2
	v_mul_lo_u32 v3, s22, v3
	v_mad_u64_u32 v[6:7], s[18:19], s22, v2, 0
	v_add3_u32 v7, v7, v3, v20
	v_lshl_add_u64 v[6:7], v[6:7], 2, v[4:5]
	s_waitcnt lgkmcnt(0)
	global_store_dword v[6:7], v19, off
	s_branch .LBB37_8
.LBB37_21:
	s_endpgm
	.section	.rodata,"a",@progbits
	.p2align	6, 0x0
	.amdhsa_kernel _ZN9rocsparseL42csr2bsr_wavefront_per_row_multipass_kernelILj256ELj16ELj4EfiiEEv20rocsparse_direction_T4_S2_S2_S2_S2_21rocsparse_index_base_PKT2_PKT3_PKS2_S3_PS4_PS7_PS2_
		.amdhsa_group_segment_fixed_size 1040
		.amdhsa_private_segment_fixed_size 0
		.amdhsa_kernarg_size 88
		.amdhsa_user_sgpr_count 2
		.amdhsa_user_sgpr_dispatch_ptr 0
		.amdhsa_user_sgpr_queue_ptr 0
		.amdhsa_user_sgpr_kernarg_segment_ptr 1
		.amdhsa_user_sgpr_dispatch_id 0
		.amdhsa_user_sgpr_kernarg_preload_length 0
		.amdhsa_user_sgpr_kernarg_preload_offset 0
		.amdhsa_user_sgpr_private_segment_size 0
		.amdhsa_uses_dynamic_stack 0
		.amdhsa_enable_private_segment 0
		.amdhsa_system_sgpr_workgroup_id_x 1
		.amdhsa_system_sgpr_workgroup_id_y 0
		.amdhsa_system_sgpr_workgroup_id_z 0
		.amdhsa_system_sgpr_workgroup_info 0
		.amdhsa_system_vgpr_workitem_id 0
		.amdhsa_next_free_vgpr 26
		.amdhsa_next_free_sgpr 26
		.amdhsa_accum_offset 28
		.amdhsa_reserve_vcc 1
		.amdhsa_float_round_mode_32 0
		.amdhsa_float_round_mode_16_64 0
		.amdhsa_float_denorm_mode_32 3
		.amdhsa_float_denorm_mode_16_64 3
		.amdhsa_dx10_clamp 1
		.amdhsa_ieee_mode 1
		.amdhsa_fp16_overflow 0
		.amdhsa_tg_split 0
		.amdhsa_exception_fp_ieee_invalid_op 0
		.amdhsa_exception_fp_denorm_src 0
		.amdhsa_exception_fp_ieee_div_zero 0
		.amdhsa_exception_fp_ieee_overflow 0
		.amdhsa_exception_fp_ieee_underflow 0
		.amdhsa_exception_fp_ieee_inexact 0
		.amdhsa_exception_int_div_zero 0
	.end_amdhsa_kernel
	.section	.text._ZN9rocsparseL42csr2bsr_wavefront_per_row_multipass_kernelILj256ELj16ELj4EfiiEEv20rocsparse_direction_T4_S2_S2_S2_S2_21rocsparse_index_base_PKT2_PKT3_PKS2_S3_PS4_PS7_PS2_,"axG",@progbits,_ZN9rocsparseL42csr2bsr_wavefront_per_row_multipass_kernelILj256ELj16ELj4EfiiEEv20rocsparse_direction_T4_S2_S2_S2_S2_21rocsparse_index_base_PKT2_PKT3_PKS2_S3_PS4_PS7_PS2_,comdat
.Lfunc_end37:
	.size	_ZN9rocsparseL42csr2bsr_wavefront_per_row_multipass_kernelILj256ELj16ELj4EfiiEEv20rocsparse_direction_T4_S2_S2_S2_S2_21rocsparse_index_base_PKT2_PKT3_PKS2_S3_PS4_PS7_PS2_, .Lfunc_end37-_ZN9rocsparseL42csr2bsr_wavefront_per_row_multipass_kernelILj256ELj16ELj4EfiiEEv20rocsparse_direction_T4_S2_S2_S2_S2_21rocsparse_index_base_PKT2_PKT3_PKS2_S3_PS4_PS7_PS2_
                                        ; -- End function
	.section	.AMDGPU.csdata,"",@progbits
; Kernel info:
; codeLenInByte = 1096
; NumSgprs: 32
; NumVgprs: 26
; NumAgprs: 0
; TotalNumVgprs: 26
; ScratchSize: 0
; MemoryBound: 0
; FloatMode: 240
; IeeeMode: 1
; LDSByteSize: 1040 bytes/workgroup (compile time only)
; SGPRBlocks: 3
; VGPRBlocks: 3
; NumSGPRsForWavesPerEU: 32
; NumVGPRsForWavesPerEU: 26
; AccumOffset: 28
; Occupancy: 8
; WaveLimiterHint : 0
; COMPUTE_PGM_RSRC2:SCRATCH_EN: 0
; COMPUTE_PGM_RSRC2:USER_SGPR: 2
; COMPUTE_PGM_RSRC2:TRAP_HANDLER: 0
; COMPUTE_PGM_RSRC2:TGID_X_EN: 1
; COMPUTE_PGM_RSRC2:TGID_Y_EN: 0
; COMPUTE_PGM_RSRC2:TGID_Z_EN: 0
; COMPUTE_PGM_RSRC2:TIDIG_COMP_CNT: 0
; COMPUTE_PGM_RSRC3_GFX90A:ACCUM_OFFSET: 6
; COMPUTE_PGM_RSRC3_GFX90A:TG_SPLIT: 0
	.section	.text._ZN9rocsparseL42csr2bsr_wavefront_per_row_multipass_kernelILj256ELj64ELj8EfiiEEv20rocsparse_direction_T4_S2_S2_S2_S2_21rocsparse_index_base_PKT2_PKT3_PKS2_S3_PS4_PS7_PS2_,"axG",@progbits,_ZN9rocsparseL42csr2bsr_wavefront_per_row_multipass_kernelILj256ELj64ELj8EfiiEEv20rocsparse_direction_T4_S2_S2_S2_S2_21rocsparse_index_base_PKT2_PKT3_PKS2_S3_PS4_PS7_PS2_,comdat
	.globl	_ZN9rocsparseL42csr2bsr_wavefront_per_row_multipass_kernelILj256ELj64ELj8EfiiEEv20rocsparse_direction_T4_S2_S2_S2_S2_21rocsparse_index_base_PKT2_PKT3_PKS2_S3_PS4_PS7_PS2_ ; -- Begin function _ZN9rocsparseL42csr2bsr_wavefront_per_row_multipass_kernelILj256ELj64ELj8EfiiEEv20rocsparse_direction_T4_S2_S2_S2_S2_21rocsparse_index_base_PKT2_PKT3_PKS2_S3_PS4_PS7_PS2_
	.p2align	8
	.type	_ZN9rocsparseL42csr2bsr_wavefront_per_row_multipass_kernelILj256ELj64ELj8EfiiEEv20rocsparse_direction_T4_S2_S2_S2_S2_21rocsparse_index_base_PKT2_PKT3_PKS2_S3_PS4_PS7_PS2_,@function
_ZN9rocsparseL42csr2bsr_wavefront_per_row_multipass_kernelILj256ELj64ELj8EfiiEEv20rocsparse_direction_T4_S2_S2_S2_S2_21rocsparse_index_base_PKT2_PKT3_PKS2_S3_PS4_PS7_PS2_: ; @_ZN9rocsparseL42csr2bsr_wavefront_per_row_multipass_kernelILj256ELj64ELj8EfiiEEv20rocsparse_direction_T4_S2_S2_S2_S2_21rocsparse_index_base_PKT2_PKT3_PKS2_S3_PS4_PS7_PS2_
; %bb.0:
	s_load_dwordx2 s[14:15], s[0:1], 0x0
	s_load_dwordx4 s[4:7], s[0:1], 0xc
	s_load_dwordx2 s[8:9], s[0:1], 0x28
	v_lshrrev_b32_e32 v8, 6, v0
	v_bfe_u32 v4, v0, 3, 3
	v_lshl_or_b32 v6, s2, 2, v8
	s_waitcnt lgkmcnt(0)
	v_mad_u64_u32 v[2:3], s[2:3], v6, s6, v[4:5]
	v_cmp_gt_i32_e64 s[2:3], s15, v2
	v_cmp_gt_i32_e32 vcc, s6, v4
	s_and_b64 s[2:3], vcc, s[2:3]
	v_mov_b32_e32 v9, 0
	v_mov_b32_e32 v17, 0
	s_and_saveexec_b64 s[10:11], s[2:3]
	s_cbranch_execz .LBB38_2
; %bb.1:
	v_ashrrev_i32_e32 v3, 31, v2
	v_lshl_add_u64 v[10:11], v[2:3], 2, s[8:9]
	global_load_dword v1, v[10:11], off
	s_waitcnt vmcnt(0)
	v_subrev_u32_e32 v17, s7, v1
.LBB38_2:
	s_or_b64 exec, exec, s[10:11]
	s_and_saveexec_b64 s[10:11], s[2:3]
	s_cbranch_execz .LBB38_4
; %bb.3:
	v_ashrrev_i32_e32 v3, 31, v2
	v_lshl_add_u64 v[2:3], v[2:3], 2, s[8:9]
	global_load_dword v1, v[2:3], off offset:4
	s_waitcnt vmcnt(0)
	v_subrev_u32_e32 v9, s7, v1
.LBB38_4:
	s_or_b64 exec, exec, s[10:11]
	s_load_dword s20, s[0:1], 0x38
	v_cmp_gt_i32_e64 s[2:3], s4, v6
	v_mov_b32_e32 v2, 0
	s_and_saveexec_b64 s[8:9], s[2:3]
	s_cbranch_execz .LBB38_6
; %bb.5:
	s_load_dwordx2 s[2:3], s[0:1], 0x48
	v_ashrrev_i32_e32 v7, 31, v6
	s_waitcnt lgkmcnt(0)
	v_lshl_add_u64 v[2:3], v[6:7], 2, s[2:3]
	global_load_dword v1, v[2:3], off
	s_waitcnt vmcnt(0)
	v_subrev_u32_e32 v2, s20, v1
.LBB38_6:
	s_or_b64 exec, exec, s[8:9]
	s_cmp_lt_i32 s5, 1
	s_cbranch_scc1 .LBB38_21
; %bb.7:
	v_and_b32_e32 v10, 7, v0
	s_load_dwordx2 s[2:3], s[0:1], 0x20
	s_load_dwordx2 s[8:9], s[0:1], 0x50
	;; [unrolled: 1-line block ×4, first 2 shown]
	v_cmp_gt_u32_e64 s[0:1], s6, v10
	s_and_b64 s[12:13], vcc, s[0:1]
	s_cmp_eq_u32 s14, 0
	s_cselect_b64 vcc, -1, 0
	s_abs_i32 s4, s6
	v_and_b32_e32 v0, 0xc0, v0
	v_cvt_f32_u32_e32 v14, s4
	v_lshl_or_b32 v11, v4, 3, v0
	v_or_b32_e32 v0, v11, v10
	v_lshlrev_b32_e32 v12, 2, v0
	v_mbcnt_lo_u32_b32 v0, -1, 0
	v_mbcnt_hi_u32_b32 v3, -1, v0
	v_mul_lo_u32 v0, v10, s6
	v_mov_b32_e32 v1, 0
	v_rcp_iflag_f32_e32 v15, v14
	s_waitcnt lgkmcnt(0)
	v_lshl_add_u64 v[6:7], v[0:1], 2, s[16:17]
	v_lshlrev_b32_e32 v0, 2, v4
	v_lshl_add_u64 v[6:7], v[6:7], 0, v[0:1]
	v_mul_lo_u32 v0, v4, s6
	v_lshl_add_u64 v[4:5], v[0:1], 2, s[16:17]
	v_lshlrev_b32_e32 v0, 2, v10
	v_lshlrev_b32_e32 v3, 2, v3
	v_lshl_add_u64 v[4:5], v[4:5], 0, v[0:1]
	v_or_b32_e32 v0, 28, v3
	v_or_b32_e32 v14, 0xfc, v3
	v_mul_f32_e32 v3, 0x4f7ffffe, v15
	v_cvt_u32_f32_e32 v3, v3
	s_sub_i32 s0, 0, s4
	v_cndmask_b32_e32 v4, v6, v4, vcc
	v_mov_b32_e32 v13, 0
	v_mul_lo_u32 v6, s0, v3
	v_mul_hi_u32 v6, v3, v6
	s_mul_hi_u32 s21, s6, s6
	s_mul_i32 s22, s6, s6
	v_cndmask_b32_e32 v5, v7, v5, vcc
	s_ashr_i32 s23, s6, 31
	v_add_u32_e32 v15, v3, v6
	s_mov_b64 s[14:15], 0
	v_mov_b32_e32 v16, 1
	v_mov_b32_e32 v3, 0
	s_branch .LBB38_10
.LBB38_8:                               ;   in Loop: Header=BB38_10 Depth=1
	s_or_b64 exec, exec, s[16:17]
	v_mov_b32_e32 v6, 1
.LBB38_9:                               ;   in Loop: Header=BB38_10 Depth=1
	s_or_b64 exec, exec, s[0:1]
	v_mov_b32_dpp v3, v18 row_shr:1 row_mask:0xf bank_mask:0xf
	v_min_i32_e32 v3, v3, v18
	v_add_u32_e32 v2, v6, v2
	s_waitcnt lgkmcnt(0)
	v_mov_b32_dpp v7, v3 row_shr:2 row_mask:0xf bank_mask:0xf
	v_min_i32_e32 v3, v7, v3
	s_nop 1
	v_mov_b32_dpp v7, v3 row_shr:4 row_mask:0xf bank_mask:0xe
	v_min_i32_e32 v3, v7, v3
	s_nop 1
	;; [unrolled: 3-line block ×3, first 2 shown]
	v_mov_b32_dpp v7, v3 row_bcast:15 row_mask:0xa bank_mask:0xf
	v_min_i32_e32 v3, v7, v3
	s_nop 1
	v_mov_b32_dpp v7, v3 row_bcast:31 row_mask:0xc bank_mask:0xf
	v_min_i32_e32 v3, v7, v3
	ds_bpermute_b32 v3, v14, v3
	s_waitcnt lgkmcnt(0)
	v_cmp_le_i32_e32 vcc, s5, v3
	s_or_b64 s[14:15], vcc, s[14:15]
	s_andn2_b64 exec, exec, s[14:15]
	s_cbranch_execz .LBB38_21
.LBB38_10:                              ; =>This Loop Header: Depth=1
                                        ;     Child Loop BB38_13 Depth 2
	v_add_u32_e32 v6, v17, v10
	v_cmp_lt_i32_e32 vcc, v6, v9
	v_mov_b32_e32 v18, s5
	v_mov_b32_e32 v19, v9
	ds_write_b8 v8, v13 offset:1024
	ds_write_b32 v12, v1
	s_waitcnt lgkmcnt(0)
	s_and_saveexec_b64 s[16:17], vcc
	s_cbranch_execz .LBB38_18
; %bb.11:                               ;   in Loop: Header=BB38_10 Depth=1
	v_mul_lo_u32 v17, v3, s6
	s_mov_b64 s[18:19], 0
	v_mov_b32_e32 v18, s5
	v_mov_b32_e32 v19, v9
	s_branch .LBB38_13
.LBB38_12:                              ;   in Loop: Header=BB38_13 Depth=2
	s_or_b64 exec, exec, s[0:1]
	v_add_u32_e32 v6, 8, v6
	v_cmp_ge_i32_e64 s[0:1], v6, v9
	s_xor_b64 s[24:25], vcc, -1
	s_or_b64 s[0:1], s[24:25], s[0:1]
	s_and_b64 s[0:1], exec, s[0:1]
	s_or_b64 s[18:19], s[0:1], s[18:19]
	s_andn2_b64 exec, exec, s[18:19]
	s_cbranch_execz .LBB38_17
.LBB38_13:                              ;   Parent Loop BB38_10 Depth=1
                                        ; =>  This Inner Loop Header: Depth=2
	v_ashrrev_i32_e32 v7, 31, v6
	v_lshl_add_u64 v[20:21], v[6:7], 2, s[10:11]
	global_load_dword v20, v[20:21], off
	s_waitcnt vmcnt(0)
	v_subrev_u32_e32 v20, s7, v20
	v_sub_u32_e32 v22, 0, v20
	v_max_i32_e32 v22, v20, v22
	v_mul_hi_u32 v23, v22, v15
	v_mul_lo_u32 v24, v23, s4
	v_sub_u32_e32 v22, v22, v24
	v_add_u32_e32 v25, 1, v23
	v_cmp_le_u32_e32 vcc, s4, v22
	v_subrev_u32_e32 v24, s4, v22
	v_ashrrev_i32_e32 v21, 31, v20
	v_cndmask_b32_e32 v23, v23, v25, vcc
	v_cndmask_b32_e32 v22, v22, v24, vcc
	v_add_u32_e32 v24, 1, v23
	v_cmp_le_u32_e32 vcc, s4, v22
	v_xor_b32_e32 v21, s23, v21
	s_nop 0
	v_cndmask_b32_e32 v22, v23, v24, vcc
	v_xor_b32_e32 v22, v22, v21
	v_sub_u32_e32 v22, v22, v21
	v_cmp_eq_u32_e32 vcc, v22, v3
	v_cmp_ne_u32_e64 s[0:1], v22, v3
	v_mov_b32_e32 v21, v19
	s_and_saveexec_b64 s[24:25], s[0:1]
	s_xor_b64 s[0:1], exec, s[24:25]
; %bb.14:                               ;   in Loop: Header=BB38_13 Depth=2
	v_min_i32_e32 v18, v22, v18
                                        ; implicit-def: $vgpr20
                                        ; implicit-def: $vgpr21
; %bb.15:                               ;   in Loop: Header=BB38_13 Depth=2
	s_or_saveexec_b64 s[0:1], s[0:1]
	v_mov_b32_e32 v19, v6
	s_xor_b64 exec, exec, s[0:1]
	s_cbranch_execz .LBB38_12
; %bb.16:                               ;   in Loop: Header=BB38_13 Depth=2
	v_lshl_add_u64 v[22:23], v[6:7], 2, s[2:3]
	global_load_dword v7, v[22:23], off
	v_sub_u32_e32 v19, v20, v17
	v_add_lshl_u32 v19, v19, v11, 2
	ds_write_b8 v8, v16 offset:1024
	s_waitcnt vmcnt(0)
	ds_write_b32 v19, v7
	v_mov_b32_e32 v19, v21
	s_branch .LBB38_12
.LBB38_17:                              ;   in Loop: Header=BB38_10 Depth=1
	s_or_b64 exec, exec, s[18:19]
.LBB38_18:                              ;   in Loop: Header=BB38_10 Depth=1
	s_or_b64 exec, exec, s[16:17]
	v_mov_b32_dpp v6, v19 row_shr:1 row_mask:0xf bank_mask:0xf
	v_min_i32_e32 v6, v6, v19
	s_waitcnt lgkmcnt(0)
	s_nop 0
	v_mov_b32_dpp v7, v6 row_shr:2 row_mask:0xf bank_mask:0xf
	v_min_i32_e32 v6, v7, v6
	ds_read_u8 v7, v8 offset:1024
	s_nop 0
	v_mov_b32_dpp v17, v6 row_shr:4 row_mask:0xf bank_mask:0xe
	v_min_i32_e32 v6, v17, v6
	ds_bpermute_b32 v17, v0, v6
	s_waitcnt lgkmcnt(1)
	v_and_b32_e32 v6, 1, v7
	v_cmp_eq_u32_e32 vcc, 1, v6
	v_mov_b32_e32 v6, 0
	s_and_saveexec_b64 s[0:1], vcc
	s_cbranch_execz .LBB38_9
; %bb.19:                               ;   in Loop: Header=BB38_10 Depth=1
	v_add_u32_e32 v19, s20, v3
	v_ashrrev_i32_e32 v3, 31, v2
	v_lshl_add_u64 v[6:7], v[2:3], 2, s[8:9]
	global_store_dword v[6:7], v19, off
	s_and_saveexec_b64 s[16:17], s[12:13]
	s_cbranch_execz .LBB38_8
; %bb.20:                               ;   in Loop: Header=BB38_10 Depth=1
	ds_read_b32 v19, v12
	v_mul_lo_u32 v20, s21, v2
	v_mul_lo_u32 v3, s22, v3
	v_mad_u64_u32 v[6:7], s[18:19], s22, v2, 0
	v_add3_u32 v7, v7, v3, v20
	v_lshl_add_u64 v[6:7], v[6:7], 2, v[4:5]
	s_waitcnt lgkmcnt(0)
	global_store_dword v[6:7], v19, off
	s_branch .LBB38_8
.LBB38_21:
	s_endpgm
	.section	.rodata,"a",@progbits
	.p2align	6, 0x0
	.amdhsa_kernel _ZN9rocsparseL42csr2bsr_wavefront_per_row_multipass_kernelILj256ELj64ELj8EfiiEEv20rocsparse_direction_T4_S2_S2_S2_S2_21rocsparse_index_base_PKT2_PKT3_PKS2_S3_PS4_PS7_PS2_
		.amdhsa_group_segment_fixed_size 1028
		.amdhsa_private_segment_fixed_size 0
		.amdhsa_kernarg_size 88
		.amdhsa_user_sgpr_count 2
		.amdhsa_user_sgpr_dispatch_ptr 0
		.amdhsa_user_sgpr_queue_ptr 0
		.amdhsa_user_sgpr_kernarg_segment_ptr 1
		.amdhsa_user_sgpr_dispatch_id 0
		.amdhsa_user_sgpr_kernarg_preload_length 0
		.amdhsa_user_sgpr_kernarg_preload_offset 0
		.amdhsa_user_sgpr_private_segment_size 0
		.amdhsa_uses_dynamic_stack 0
		.amdhsa_enable_private_segment 0
		.amdhsa_system_sgpr_workgroup_id_x 1
		.amdhsa_system_sgpr_workgroup_id_y 0
		.amdhsa_system_sgpr_workgroup_id_z 0
		.amdhsa_system_sgpr_workgroup_info 0
		.amdhsa_system_vgpr_workitem_id 0
		.amdhsa_next_free_vgpr 26
		.amdhsa_next_free_sgpr 26
		.amdhsa_accum_offset 28
		.amdhsa_reserve_vcc 1
		.amdhsa_float_round_mode_32 0
		.amdhsa_float_round_mode_16_64 0
		.amdhsa_float_denorm_mode_32 3
		.amdhsa_float_denorm_mode_16_64 3
		.amdhsa_dx10_clamp 1
		.amdhsa_ieee_mode 1
		.amdhsa_fp16_overflow 0
		.amdhsa_tg_split 0
		.amdhsa_exception_fp_ieee_invalid_op 0
		.amdhsa_exception_fp_denorm_src 0
		.amdhsa_exception_fp_ieee_div_zero 0
		.amdhsa_exception_fp_ieee_overflow 0
		.amdhsa_exception_fp_ieee_underflow 0
		.amdhsa_exception_fp_ieee_inexact 0
		.amdhsa_exception_int_div_zero 0
	.end_amdhsa_kernel
	.section	.text._ZN9rocsparseL42csr2bsr_wavefront_per_row_multipass_kernelILj256ELj64ELj8EfiiEEv20rocsparse_direction_T4_S2_S2_S2_S2_21rocsparse_index_base_PKT2_PKT3_PKS2_S3_PS4_PS7_PS2_,"axG",@progbits,_ZN9rocsparseL42csr2bsr_wavefront_per_row_multipass_kernelILj256ELj64ELj8EfiiEEv20rocsparse_direction_T4_S2_S2_S2_S2_21rocsparse_index_base_PKT2_PKT3_PKS2_S3_PS4_PS7_PS2_,comdat
.Lfunc_end38:
	.size	_ZN9rocsparseL42csr2bsr_wavefront_per_row_multipass_kernelILj256ELj64ELj8EfiiEEv20rocsparse_direction_T4_S2_S2_S2_S2_21rocsparse_index_base_PKT2_PKT3_PKS2_S3_PS4_PS7_PS2_, .Lfunc_end38-_ZN9rocsparseL42csr2bsr_wavefront_per_row_multipass_kernelILj256ELj64ELj8EfiiEEv20rocsparse_direction_T4_S2_S2_S2_S2_21rocsparse_index_base_PKT2_PKT3_PKS2_S3_PS4_PS7_PS2_
                                        ; -- End function
	.section	.AMDGPU.csdata,"",@progbits
; Kernel info:
; codeLenInByte = 1152
; NumSgprs: 32
; NumVgprs: 26
; NumAgprs: 0
; TotalNumVgprs: 26
; ScratchSize: 0
; MemoryBound: 0
; FloatMode: 240
; IeeeMode: 1
; LDSByteSize: 1028 bytes/workgroup (compile time only)
; SGPRBlocks: 3
; VGPRBlocks: 3
; NumSGPRsForWavesPerEU: 32
; NumVGPRsForWavesPerEU: 26
; AccumOffset: 28
; Occupancy: 8
; WaveLimiterHint : 0
; COMPUTE_PGM_RSRC2:SCRATCH_EN: 0
; COMPUTE_PGM_RSRC2:USER_SGPR: 2
; COMPUTE_PGM_RSRC2:TRAP_HANDLER: 0
; COMPUTE_PGM_RSRC2:TGID_X_EN: 1
; COMPUTE_PGM_RSRC2:TGID_Y_EN: 0
; COMPUTE_PGM_RSRC2:TGID_Z_EN: 0
; COMPUTE_PGM_RSRC2:TIDIG_COMP_CNT: 0
; COMPUTE_PGM_RSRC3_GFX90A:ACCUM_OFFSET: 6
; COMPUTE_PGM_RSRC3_GFX90A:TG_SPLIT: 0
	.section	.text._ZN9rocsparseL42csr2bsr_wavefront_per_row_multipass_kernelILj256ELj32ELj8EfiiEEv20rocsparse_direction_T4_S2_S2_S2_S2_21rocsparse_index_base_PKT2_PKT3_PKS2_S3_PS4_PS7_PS2_,"axG",@progbits,_ZN9rocsparseL42csr2bsr_wavefront_per_row_multipass_kernelILj256ELj32ELj8EfiiEEv20rocsparse_direction_T4_S2_S2_S2_S2_21rocsparse_index_base_PKT2_PKT3_PKS2_S3_PS4_PS7_PS2_,comdat
	.globl	_ZN9rocsparseL42csr2bsr_wavefront_per_row_multipass_kernelILj256ELj32ELj8EfiiEEv20rocsparse_direction_T4_S2_S2_S2_S2_21rocsparse_index_base_PKT2_PKT3_PKS2_S3_PS4_PS7_PS2_ ; -- Begin function _ZN9rocsparseL42csr2bsr_wavefront_per_row_multipass_kernelILj256ELj32ELj8EfiiEEv20rocsparse_direction_T4_S2_S2_S2_S2_21rocsparse_index_base_PKT2_PKT3_PKS2_S3_PS4_PS7_PS2_
	.p2align	8
	.type	_ZN9rocsparseL42csr2bsr_wavefront_per_row_multipass_kernelILj256ELj32ELj8EfiiEEv20rocsparse_direction_T4_S2_S2_S2_S2_21rocsparse_index_base_PKT2_PKT3_PKS2_S3_PS4_PS7_PS2_,@function
_ZN9rocsparseL42csr2bsr_wavefront_per_row_multipass_kernelILj256ELj32ELj8EfiiEEv20rocsparse_direction_T4_S2_S2_S2_S2_21rocsparse_index_base_PKT2_PKT3_PKS2_S3_PS4_PS7_PS2_: ; @_ZN9rocsparseL42csr2bsr_wavefront_per_row_multipass_kernelILj256ELj32ELj8EfiiEEv20rocsparse_direction_T4_S2_S2_S2_S2_21rocsparse_index_base_PKT2_PKT3_PKS2_S3_PS4_PS7_PS2_
; %bb.0:
	s_load_dwordx2 s[14:15], s[0:1], 0x0
	s_load_dwordx4 s[4:7], s[0:1], 0xc
	s_load_dwordx2 s[8:9], s[0:1], 0x28
	v_lshrrev_b32_e32 v1, 5, v0
	v_bfe_u32 v8, v0, 2, 3
	v_lshl_or_b32 v4, s2, 3, v1
	s_waitcnt lgkmcnt(0)
	v_mad_u64_u32 v[2:3], s[2:3], v4, s6, v[8:9]
	v_cmp_gt_i32_e64 s[2:3], s15, v2
	v_cmp_gt_i32_e32 vcc, s6, v8
	s_and_b64 s[2:3], vcc, s[2:3]
	v_mov_b32_e32 v18, 0
	v_mov_b32_e32 v26, 0
	s_and_saveexec_b64 s[10:11], s[2:3]
	s_cbranch_execz .LBB39_2
; %bb.1:
	v_ashrrev_i32_e32 v3, 31, v2
	v_lshl_add_u64 v[6:7], v[2:3], 2, s[8:9]
	global_load_dword v3, v[6:7], off
	s_waitcnt vmcnt(0)
	v_subrev_u32_e32 v26, s7, v3
.LBB39_2:
	s_or_b64 exec, exec, s[10:11]
	s_and_saveexec_b64 s[10:11], s[2:3]
	s_cbranch_execz .LBB39_4
; %bb.3:
	v_ashrrev_i32_e32 v3, 31, v2
	v_lshl_add_u64 v[2:3], v[2:3], 2, s[8:9]
	global_load_dword v2, v[2:3], off offset:4
	s_waitcnt vmcnt(0)
	v_subrev_u32_e32 v18, s7, v2
.LBB39_4:
	s_or_b64 exec, exec, s[10:11]
	s_load_dword s26, s[0:1], 0x38
	v_cmp_gt_i32_e64 s[2:3], s4, v4
	v_mov_b32_e32 v2, 0
	s_and_saveexec_b64 s[8:9], s[2:3]
	s_cbranch_execz .LBB39_6
; %bb.5:
	s_load_dwordx2 s[2:3], s[0:1], 0x48
	v_ashrrev_i32_e32 v5, 31, v4
	s_waitcnt lgkmcnt(0)
	v_lshl_add_u64 v[2:3], v[4:5], 2, s[2:3]
	global_load_dword v2, v[2:3], off
	s_waitcnt vmcnt(0)
	v_subrev_u32_e32 v2, s26, v2
.LBB39_6:
	s_or_b64 exec, exec, s[8:9]
	s_cmp_lt_i32 s5, 1
	s_cbranch_scc1 .LBB39_30
; %bb.7:
	v_lshlrev_b32_e32 v3, 6, v1
	v_lshl_or_b32 v19, v8, 3, v3
	v_mbcnt_lo_u32_b32 v3, -1, 0
	v_mbcnt_hi_u32_b32 v3, -1, v3
	v_and_b32_e32 v0, 3, v0
	v_lshlrev_b32_e32 v3, 2, v3
	s_cmp_lg_u32 s14, 0
	v_or_b32_e32 v21, 12, v3
	v_or_b32_e32 v22, 0x7c, v3
	v_or_b32_e32 v3, v19, v0
	s_cselect_b64 s[14:15], -1, 0
	s_abs_i32 s28, s6
	v_lshlrev_b32_e32 v23, 2, v3
	v_cvt_f32_u32_e32 v3, s28
	s_load_dwordx2 s[8:9], s[0:1], 0x20
	s_load_dwordx2 s[10:11], s[0:1], 0x50
	;; [unrolled: 1-line block ×4, first 2 shown]
	v_lshlrev_b32_e32 v4, 2, v8
	v_mov_b32_e32 v5, 0
	v_rcp_iflag_f32_e32 v3, v3
	s_waitcnt lgkmcnt(0)
	v_lshl_add_u64 v[6:7], s[2:3], 0, v[4:5]
	v_mul_lo_u32 v4, v8, s6
	v_cmp_gt_u32_e64 s[0:1], s6, v0
	v_mul_f32_e32 v3, 0x4f7ffffe, v3
	v_cvt_u32_f32_e32 v3, v3
	v_lshl_add_u64 v[8:9], v[4:5], 2, s[2:3]
	v_or_b32_e32 v4, 4, v0
	s_and_b64 s[16:17], s[0:1], vcc
	s_sub_i32 s0, 0, s28
	v_cmp_gt_u32_e64 s[2:3], s6, v4
	v_mul_lo_u32 v4, s0, v3
	v_mul_hi_u32 v4, v3, v4
	v_mul_lo_u32 v10, v0, s6
	v_add_u32_e32 v24, v3, v4
	v_cndmask_b32_e64 v3, 0, 1, s[14:15]
	v_mov_b32_e32 v20, 0
	s_mul_hi_u32 s4, s6, s6
	s_mul_i32 s27, s6, s6
	v_mov_b32_e32 v11, v5
	v_lshl_add_u32 v12, s6, 2, v10
	v_mov_b32_e32 v13, v5
	s_and_b64 s[18:19], vcc, s[2:3]
	s_ashr_i32 s29, s6, 31
	s_mov_b64 s[20:21], 0
	v_mov_b32_e32 v25, 1
	v_lshlrev_b32_e32 v4, 2, v0
	v_cmp_ne_u32_e64 s[0:1], 1, v3
	v_mov_b32_e32 v3, 0
	s_branch .LBB39_11
.LBB39_8:                               ;   in Loop: Header=BB39_11 Depth=1
	v_mov_b32_e32 v28, s30
.LBB39_9:                               ;   in Loop: Header=BB39_11 Depth=1
	s_or_b64 exec, exec, s[22:23]
.LBB39_10:                              ;   in Loop: Header=BB39_11 Depth=1
	s_or_b64 exec, exec, s[2:3]
	v_mov_b32_dpp v3, v27 row_shr:1 row_mask:0xf bank_mask:0xf
	v_min_i32_e32 v3, v3, v27
	v_add_u32_e32 v2, v28, v2
	s_waitcnt lgkmcnt(0)
	v_mov_b32_dpp v14, v3 row_shr:2 row_mask:0xf bank_mask:0xf
	v_min_i32_e32 v3, v14, v3
	s_nop 1
	v_mov_b32_dpp v14, v3 row_shr:4 row_mask:0xf bank_mask:0xe
	v_min_i32_e32 v3, v14, v3
	s_nop 1
	;; [unrolled: 3-line block ×3, first 2 shown]
	v_mov_b32_dpp v14, v3 row_bcast:15 row_mask:0xa bank_mask:0xf
	v_min_i32_e32 v3, v14, v3
	ds_bpermute_b32 v3, v22, v3
	s_waitcnt lgkmcnt(0)
	v_cmp_le_i32_e32 vcc, s5, v3
	s_or_b64 s[20:21], vcc, s[20:21]
	s_andn2_b64 exec, exec, s[20:21]
	s_cbranch_execz .LBB39_30
.LBB39_11:                              ; =>This Loop Header: Depth=1
                                        ;     Child Loop BB39_14 Depth 2
	v_add_u32_e32 v14, v26, v0
	v_cmp_lt_i32_e32 vcc, v14, v18
	v_mov_b32_e32 v27, s5
	v_mov_b32_e32 v17, v18
	ds_write_b8 v1, v20 offset:2048
	ds_write2_b32 v23, v5, v5 offset1:4
	s_waitcnt lgkmcnt(0)
	s_and_saveexec_b64 s[22:23], vcc
	s_cbranch_execz .LBB39_19
; %bb.12:                               ;   in Loop: Header=BB39_11 Depth=1
	v_mul_lo_u32 v16, v3, s6
	s_mov_b64 s[24:25], 0
	v_mov_b32_e32 v27, s5
	v_mov_b32_e32 v17, v18
	s_branch .LBB39_14
.LBB39_13:                              ;   in Loop: Header=BB39_14 Depth=2
	s_or_b64 exec, exec, s[2:3]
	v_add_u32_e32 v14, 4, v14
	v_cmp_ge_i32_e64 s[2:3], v14, v18
	s_xor_b64 s[30:31], vcc, -1
	s_or_b64 s[2:3], s[30:31], s[2:3]
	s_and_b64 s[2:3], exec, s[2:3]
	s_or_b64 s[24:25], s[2:3], s[24:25]
	s_andn2_b64 exec, exec, s[24:25]
	s_cbranch_execz .LBB39_18
.LBB39_14:                              ;   Parent Loop BB39_11 Depth=1
                                        ; =>  This Inner Loop Header: Depth=2
	v_ashrrev_i32_e32 v15, 31, v14
	v_lshl_add_u64 v[28:29], v[14:15], 2, s[12:13]
	global_load_dword v26, v[28:29], off
	s_waitcnt vmcnt(0)
	v_subrev_u32_e32 v26, s7, v26
	v_sub_u32_e32 v29, 0, v26
	v_max_i32_e32 v29, v26, v29
	v_mul_hi_u32 v30, v29, v24
	v_mul_lo_u32 v31, v30, s28
	v_sub_u32_e32 v29, v29, v31
	v_add_u32_e32 v32, 1, v30
	v_cmp_le_u32_e32 vcc, s28, v29
	v_subrev_u32_e32 v31, s28, v29
	v_ashrrev_i32_e32 v28, 31, v26
	v_cndmask_b32_e32 v30, v30, v32, vcc
	v_cndmask_b32_e32 v29, v29, v31, vcc
	v_add_u32_e32 v31, 1, v30
	v_cmp_le_u32_e32 vcc, s28, v29
	v_xor_b32_e32 v28, s29, v28
	s_nop 0
	v_cndmask_b32_e32 v29, v30, v31, vcc
	v_xor_b32_e32 v29, v29, v28
	v_sub_u32_e32 v29, v29, v28
	v_cmp_eq_u32_e32 vcc, v29, v3
	v_cmp_ne_u32_e64 s[2:3], v29, v3
	v_mov_b32_e32 v28, v17
	s_and_saveexec_b64 s[30:31], s[2:3]
	s_xor_b64 s[2:3], exec, s[30:31]
; %bb.15:                               ;   in Loop: Header=BB39_14 Depth=2
	v_min_i32_e32 v27, v29, v27
                                        ; implicit-def: $vgpr26
                                        ; implicit-def: $vgpr28
; %bb.16:                               ;   in Loop: Header=BB39_14 Depth=2
	s_or_saveexec_b64 s[2:3], s[2:3]
	v_mov_b32_e32 v17, v14
	s_xor_b64 exec, exec, s[2:3]
	s_cbranch_execz .LBB39_13
; %bb.17:                               ;   in Loop: Header=BB39_14 Depth=2
	v_lshl_add_u64 v[30:31], v[14:15], 2, s[8:9]
	global_load_dword v15, v[30:31], off
	v_sub_u32_e32 v17, v26, v16
	v_add_lshl_u32 v17, v19, v17, 2
	ds_write_b8 v1, v25 offset:2048
	s_waitcnt vmcnt(0)
	ds_write_b32 v17, v15
	v_mov_b32_e32 v17, v28
	s_branch .LBB39_13
.LBB39_18:                              ;   in Loop: Header=BB39_11 Depth=1
	s_or_b64 exec, exec, s[24:25]
.LBB39_19:                              ;   in Loop: Header=BB39_11 Depth=1
	s_or_b64 exec, exec, s[22:23]
	v_mov_b32_dpp v14, v17 row_shr:1 row_mask:0xf bank_mask:0xf
	v_min_i32_e32 v14, v14, v17
	s_waitcnt lgkmcnt(0)
	ds_read_u8 v15, v1 offset:2048
	v_mov_b32_dpp v16, v14 row_shr:2 row_mask:0xf bank_mask:0xf
	v_min_i32_e32 v14, v16, v14
	ds_bpermute_b32 v26, v21, v14
	v_mov_b32_e32 v28, 0
	s_waitcnt lgkmcnt(1)
	v_and_b32_e32 v14, 1, v15
	v_cmp_eq_u32_e32 vcc, 1, v14
	s_and_saveexec_b64 s[2:3], vcc
	s_cbranch_execz .LBB39_10
; %bb.20:                               ;   in Loop: Header=BB39_11 Depth=1
	v_add_u32_e32 v16, s26, v3
	v_ashrrev_i32_e32 v3, 31, v2
	v_lshl_add_u64 v[14:15], v[2:3], 2, s[10:11]
	global_store_dword v[14:15], v16, off
	v_mul_lo_u32 v16, s4, v2
	v_mul_lo_u32 v3, s27, v3
	v_mad_u64_u32 v[14:15], s[22:23], s27, v2, 0
	v_add3_u32 v15, v15, v3, v16
	v_lshlrev_b64 v[14:15], 2, v[14:15]
	v_lshl_add_u64 v[16:17], v[6:7], 0, v[14:15]
	v_lshl_add_u64 v[14:15], v[8:9], 0, v[14:15]
	s_and_saveexec_b64 s[22:23], s[16:17]
	s_cbranch_execz .LBB39_24
; %bb.21:                               ;   in Loop: Header=BB39_11 Depth=1
	s_and_b64 vcc, exec, s[14:15]
	s_cbranch_vccz .LBB39_27
; %bb.22:                               ;   in Loop: Header=BB39_11 Depth=1
	ds_read_b32 v3, v23
	v_lshl_add_u64 v[28:29], v[10:11], 2, v[16:17]
	s_waitcnt lgkmcnt(0)
	global_store_dword v[28:29], v3, off
	s_cbranch_execnz .LBB39_24
.LBB39_23:                              ;   in Loop: Header=BB39_11 Depth=1
	ds_read_b32 v3, v23
	v_lshl_add_u64 v[28:29], v[14:15], 0, v[4:5]
	s_waitcnt lgkmcnt(0)
	global_store_dword v[28:29], v3, off
.LBB39_24:                              ;   in Loop: Header=BB39_11 Depth=1
	s_or_b64 exec, exec, s[22:23]
	v_mov_b32_e32 v28, 1
	s_and_saveexec_b64 s[22:23], s[18:19]
	s_cbranch_execz .LBB39_9
; %bb.25:                               ;   in Loop: Header=BB39_11 Depth=1
	s_and_b64 vcc, exec, s[0:1]
	s_cbranch_vccnz .LBB39_28
; %bb.26:                               ;   in Loop: Header=BB39_11 Depth=1
	ds_read_b32 v3, v23 offset:16
	v_lshl_add_u64 v[16:17], v[12:13], 2, v[16:17]
	s_mov_b32 s30, 1
	s_waitcnt lgkmcnt(0)
	global_store_dword v[16:17], v3, off
	s_cbranch_execnz .LBB39_8
	s_branch .LBB39_29
.LBB39_27:                              ;   in Loop: Header=BB39_11 Depth=1
	s_branch .LBB39_23
.LBB39_28:                              ;   in Loop: Header=BB39_11 Depth=1
                                        ; implicit-def: $sgpr30
.LBB39_29:                              ;   in Loop: Header=BB39_11 Depth=1
	ds_read_b32 v3, v23 offset:16
	v_lshl_add_u64 v[14:15], v[14:15], 0, v[4:5]
	s_mov_b32 s30, 1
	s_waitcnt lgkmcnt(0)
	global_store_dword v[14:15], v3, off offset:16
	s_branch .LBB39_8
.LBB39_30:
	s_endpgm
	.section	.rodata,"a",@progbits
	.p2align	6, 0x0
	.amdhsa_kernel _ZN9rocsparseL42csr2bsr_wavefront_per_row_multipass_kernelILj256ELj32ELj8EfiiEEv20rocsparse_direction_T4_S2_S2_S2_S2_21rocsparse_index_base_PKT2_PKT3_PKS2_S3_PS4_PS7_PS2_
		.amdhsa_group_segment_fixed_size 2056
		.amdhsa_private_segment_fixed_size 0
		.amdhsa_kernarg_size 88
		.amdhsa_user_sgpr_count 2
		.amdhsa_user_sgpr_dispatch_ptr 0
		.amdhsa_user_sgpr_queue_ptr 0
		.amdhsa_user_sgpr_kernarg_segment_ptr 1
		.amdhsa_user_sgpr_dispatch_id 0
		.amdhsa_user_sgpr_kernarg_preload_length 0
		.amdhsa_user_sgpr_kernarg_preload_offset 0
		.amdhsa_user_sgpr_private_segment_size 0
		.amdhsa_uses_dynamic_stack 0
		.amdhsa_enable_private_segment 0
		.amdhsa_system_sgpr_workgroup_id_x 1
		.amdhsa_system_sgpr_workgroup_id_y 0
		.amdhsa_system_sgpr_workgroup_id_z 0
		.amdhsa_system_sgpr_workgroup_info 0
		.amdhsa_system_vgpr_workitem_id 0
		.amdhsa_next_free_vgpr 33
		.amdhsa_next_free_sgpr 32
		.amdhsa_accum_offset 36
		.amdhsa_reserve_vcc 1
		.amdhsa_float_round_mode_32 0
		.amdhsa_float_round_mode_16_64 0
		.amdhsa_float_denorm_mode_32 3
		.amdhsa_float_denorm_mode_16_64 3
		.amdhsa_dx10_clamp 1
		.amdhsa_ieee_mode 1
		.amdhsa_fp16_overflow 0
		.amdhsa_tg_split 0
		.amdhsa_exception_fp_ieee_invalid_op 0
		.amdhsa_exception_fp_denorm_src 0
		.amdhsa_exception_fp_ieee_div_zero 0
		.amdhsa_exception_fp_ieee_overflow 0
		.amdhsa_exception_fp_ieee_underflow 0
		.amdhsa_exception_fp_ieee_inexact 0
		.amdhsa_exception_int_div_zero 0
	.end_amdhsa_kernel
	.section	.text._ZN9rocsparseL42csr2bsr_wavefront_per_row_multipass_kernelILj256ELj32ELj8EfiiEEv20rocsparse_direction_T4_S2_S2_S2_S2_21rocsparse_index_base_PKT2_PKT3_PKS2_S3_PS4_PS7_PS2_,"axG",@progbits,_ZN9rocsparseL42csr2bsr_wavefront_per_row_multipass_kernelILj256ELj32ELj8EfiiEEv20rocsparse_direction_T4_S2_S2_S2_S2_21rocsparse_index_base_PKT2_PKT3_PKS2_S3_PS4_PS7_PS2_,comdat
.Lfunc_end39:
	.size	_ZN9rocsparseL42csr2bsr_wavefront_per_row_multipass_kernelILj256ELj32ELj8EfiiEEv20rocsparse_direction_T4_S2_S2_S2_S2_21rocsparse_index_base_PKT2_PKT3_PKS2_S3_PS4_PS7_PS2_, .Lfunc_end39-_ZN9rocsparseL42csr2bsr_wavefront_per_row_multipass_kernelILj256ELj32ELj8EfiiEEv20rocsparse_direction_T4_S2_S2_S2_S2_21rocsparse_index_base_PKT2_PKT3_PKS2_S3_PS4_PS7_PS2_
                                        ; -- End function
	.section	.AMDGPU.csdata,"",@progbits
; Kernel info:
; codeLenInByte = 1300
; NumSgprs: 38
; NumVgprs: 33
; NumAgprs: 0
; TotalNumVgprs: 33
; ScratchSize: 0
; MemoryBound: 0
; FloatMode: 240
; IeeeMode: 1
; LDSByteSize: 2056 bytes/workgroup (compile time only)
; SGPRBlocks: 4
; VGPRBlocks: 4
; NumSGPRsForWavesPerEU: 38
; NumVGPRsForWavesPerEU: 33
; AccumOffset: 36
; Occupancy: 8
; WaveLimiterHint : 0
; COMPUTE_PGM_RSRC2:SCRATCH_EN: 0
; COMPUTE_PGM_RSRC2:USER_SGPR: 2
; COMPUTE_PGM_RSRC2:TRAP_HANDLER: 0
; COMPUTE_PGM_RSRC2:TGID_X_EN: 1
; COMPUTE_PGM_RSRC2:TGID_Y_EN: 0
; COMPUTE_PGM_RSRC2:TGID_Z_EN: 0
; COMPUTE_PGM_RSRC2:TIDIG_COMP_CNT: 0
; COMPUTE_PGM_RSRC3_GFX90A:ACCUM_OFFSET: 8
; COMPUTE_PGM_RSRC3_GFX90A:TG_SPLIT: 0
	.section	.text._ZN9rocsparseL42csr2bsr_wavefront_per_row_multipass_kernelILj256ELj64ELj16EfiiEEv20rocsparse_direction_T4_S2_S2_S2_S2_21rocsparse_index_base_PKT2_PKT3_PKS2_S3_PS4_PS7_PS2_,"axG",@progbits,_ZN9rocsparseL42csr2bsr_wavefront_per_row_multipass_kernelILj256ELj64ELj16EfiiEEv20rocsparse_direction_T4_S2_S2_S2_S2_21rocsparse_index_base_PKT2_PKT3_PKS2_S3_PS4_PS7_PS2_,comdat
	.globl	_ZN9rocsparseL42csr2bsr_wavefront_per_row_multipass_kernelILj256ELj64ELj16EfiiEEv20rocsparse_direction_T4_S2_S2_S2_S2_21rocsparse_index_base_PKT2_PKT3_PKS2_S3_PS4_PS7_PS2_ ; -- Begin function _ZN9rocsparseL42csr2bsr_wavefront_per_row_multipass_kernelILj256ELj64ELj16EfiiEEv20rocsparse_direction_T4_S2_S2_S2_S2_21rocsparse_index_base_PKT2_PKT3_PKS2_S3_PS4_PS7_PS2_
	.p2align	8
	.type	_ZN9rocsparseL42csr2bsr_wavefront_per_row_multipass_kernelILj256ELj64ELj16EfiiEEv20rocsparse_direction_T4_S2_S2_S2_S2_21rocsparse_index_base_PKT2_PKT3_PKS2_S3_PS4_PS7_PS2_,@function
_ZN9rocsparseL42csr2bsr_wavefront_per_row_multipass_kernelILj256ELj64ELj16EfiiEEv20rocsparse_direction_T4_S2_S2_S2_S2_21rocsparse_index_base_PKT2_PKT3_PKS2_S3_PS4_PS7_PS2_: ; @_ZN9rocsparseL42csr2bsr_wavefront_per_row_multipass_kernelILj256ELj64ELj16EfiiEEv20rocsparse_direction_T4_S2_S2_S2_S2_21rocsparse_index_base_PKT2_PKT3_PKS2_S3_PS4_PS7_PS2_
; %bb.0:
	s_load_dwordx2 s[4:5], s[0:1], 0x0
	s_load_dwordx4 s[8:11], s[0:1], 0xc
	s_load_dwordx2 s[6:7], s[0:1], 0x28
	v_lshrrev_b32_e32 v1, 6, v0
	v_bfe_u32 v8, v0, 2, 4
	v_lshl_or_b32 v4, s2, 2, v1
	s_waitcnt lgkmcnt(0)
	v_mad_u64_u32 v[2:3], s[2:3], v4, s10, v[8:9]
	v_cmp_gt_i32_e64 s[2:3], s5, v2
	v_cmp_gt_i32_e32 vcc, s10, v8
	s_and_b64 s[2:3], vcc, s[2:3]
	v_mov_b32_e32 v22, 0
	v_mov_b32_e32 v30, 0
	s_and_saveexec_b64 s[12:13], s[2:3]
	s_cbranch_execz .LBB40_2
; %bb.1:
	v_ashrrev_i32_e32 v3, 31, v2
	v_lshl_add_u64 v[6:7], v[2:3], 2, s[6:7]
	global_load_dword v3, v[6:7], off
	s_waitcnt vmcnt(0)
	v_subrev_u32_e32 v30, s11, v3
.LBB40_2:
	s_or_b64 exec, exec, s[12:13]
	s_and_saveexec_b64 s[12:13], s[2:3]
	s_cbranch_execz .LBB40_4
; %bb.3:
	v_ashrrev_i32_e32 v3, 31, v2
	v_lshl_add_u64 v[2:3], v[2:3], 2, s[6:7]
	global_load_dword v2, v[2:3], off offset:4
	s_waitcnt vmcnt(0)
	v_subrev_u32_e32 v22, s11, v2
.LBB40_4:
	s_or_b64 exec, exec, s[12:13]
	s_load_dword s30, s[0:1], 0x38
	v_cmp_gt_i32_e64 s[2:3], s8, v4
	v_mov_b32_e32 v2, 0
	s_and_saveexec_b64 s[6:7], s[2:3]
	s_cbranch_execz .LBB40_6
; %bb.5:
	s_load_dwordx2 s[2:3], s[0:1], 0x48
	v_ashrrev_i32_e32 v5, 31, v4
	s_waitcnt lgkmcnt(0)
	v_lshl_add_u64 v[2:3], v[4:5], 2, s[2:3]
	global_load_dword v2, v[2:3], off
	s_waitcnt vmcnt(0)
	v_subrev_u32_e32 v2, s30, v2
.LBB40_6:
	s_or_b64 exec, exec, s[6:7]
	s_cmp_lt_i32 s9, 1
	s_cbranch_scc1 .LBB40_40
; %bb.7:
	s_load_dwordx2 s[12:13], s[0:1], 0x20
	s_load_dwordx2 s[14:15], s[0:1], 0x50
	;; [unrolled: 1-line block ×4, first 2 shown]
	v_lshlrev_b32_e32 v3, 8, v1
	v_lshl_or_b32 v23, v8, 4, v3
	v_mbcnt_lo_u32_b32 v3, -1, 0
	v_mbcnt_hi_u32_b32 v3, -1, v3
	s_cmp_lg_u32 s4, 0
	v_lshlrev_b32_e32 v4, 2, v8
	v_mov_b32_e32 v5, 0
	v_and_b32_e32 v0, 3, v0
	v_lshlrev_b32_e32 v3, 2, v3
	s_cselect_b64 s[18:19], -1, 0
	s_waitcnt lgkmcnt(0)
	v_lshl_add_u64 v[6:7], s[2:3], 0, v[4:5]
	v_mul_lo_u32 v4, v8, s10
	s_abs_i32 s33, s10
	v_or_b32_e32 v25, 12, v3
	v_lshl_add_u64 v[8:9], v[4:5], 2, s[2:3]
	v_or_b32_e32 v26, 0xfc, v3
	v_or_b32_e32 v3, v23, v0
	v_cvt_f32_u32_e32 v4, s33
	v_lshlrev_b32_e32 v27, 2, v3
	v_or_b32_e32 v3, 4, v0
	v_cmp_gt_u32_e64 s[2:3], s10, v3
	v_or_b32_e32 v3, 8, v0
	v_cmp_gt_u32_e64 s[4:5], s10, v3
	;; [unrolled: 2-line block ×3, first 2 shown]
	v_rcp_iflag_f32_e32 v3, v4
	v_mul_lo_u32 v10, v0, s10
	s_lshl_b32 s20, s10, 2
	v_add_u32_e32 v12, s20, v10
	v_mul_f32_e32 v3, 0x4f7ffffe, v3
	v_cvt_u32_f32_e32 v3, v3
	v_cmp_gt_u32_e64 s[0:1], s10, v0
	v_add_u32_e32 v14, s20, v12
	v_add_u32_e32 v16, s20, v14
	s_and_b64 s[20:21], s[0:1], vcc
	s_sub_i32 s0, 0, s33
	v_mul_lo_u32 v4, s0, v3
	v_mul_hi_u32 v4, v3, v4
	v_mov_b32_e32 v24, 0
	s_mul_hi_u32 s8, s10, s10
	s_mul_i32 s31, s10, s10
	v_mov_b32_e32 v11, v5
	v_mov_b32_e32 v13, v5
	;; [unrolled: 1-line block ×4, first 2 shown]
	s_and_b64 s[2:3], vcc, s[2:3]
	s_and_b64 s[4:5], vcc, s[4:5]
	;; [unrolled: 1-line block ×3, first 2 shown]
	s_ashr_i32 s34, s10, 31
	v_add_u32_e32 v28, v3, v4
	s_mov_b64 s[22:23], 0
	v_mov_b32_e32 v29, 1
	v_mov_b32_e32 v3, 0
	s_branch .LBB40_11
.LBB40_8:                               ;   in Loop: Header=BB40_11 Depth=1
	v_mov_b32_e32 v4, s28
.LBB40_9:                               ;   in Loop: Header=BB40_11 Depth=1
	s_or_b64 exec, exec, s[26:27]
.LBB40_10:                              ;   in Loop: Header=BB40_11 Depth=1
	s_or_b64 exec, exec, s[24:25]
	v_mov_b32_dpp v3, v31 row_shr:1 row_mask:0xf bank_mask:0xf
	v_min_i32_e32 v3, v3, v31
	v_add_u32_e32 v2, v4, v2
	s_waitcnt lgkmcnt(0)
	v_mov_b32_dpp v18, v3 row_shr:2 row_mask:0xf bank_mask:0xf
	v_min_i32_e32 v3, v18, v3
	s_nop 1
	v_mov_b32_dpp v18, v3 row_shr:4 row_mask:0xf bank_mask:0xe
	v_min_i32_e32 v3, v18, v3
	s_nop 1
	;; [unrolled: 3-line block ×3, first 2 shown]
	v_mov_b32_dpp v18, v3 row_bcast:15 row_mask:0xa bank_mask:0xf
	v_min_i32_e32 v3, v18, v3
	s_nop 1
	v_mov_b32_dpp v18, v3 row_bcast:31 row_mask:0xc bank_mask:0xf
	v_min_i32_e32 v3, v18, v3
	ds_bpermute_b32 v3, v26, v3
	s_waitcnt lgkmcnt(0)
	v_cmp_le_i32_e32 vcc, s9, v3
	s_or_b64 s[22:23], vcc, s[22:23]
	s_andn2_b64 exec, exec, s[22:23]
	s_cbranch_execz .LBB40_40
.LBB40_11:                              ; =>This Loop Header: Depth=1
                                        ;     Child Loop BB40_14 Depth 2
	v_add_u32_e32 v18, v30, v0
	v_cmp_lt_i32_e32 vcc, v18, v22
	v_mov_b32_e32 v31, s9
	v_mov_b32_e32 v20, v22
	ds_write_b8 v1, v24 offset:4096
	ds_write2_b32 v27, v5, v5 offset1:4
	ds_write2_b32 v27, v5, v5 offset0:8 offset1:12
	s_waitcnt lgkmcnt(0)
	s_and_saveexec_b64 s[24:25], vcc
	s_cbranch_execz .LBB40_19
; %bb.12:                               ;   in Loop: Header=BB40_11 Depth=1
	v_mul_lo_u32 v4, v3, s10
	s_mov_b64 s[26:27], 0
	v_mov_b32_e32 v31, s9
	v_mov_b32_e32 v20, v22
	s_branch .LBB40_14
.LBB40_13:                              ;   in Loop: Header=BB40_14 Depth=2
	s_or_b64 exec, exec, s[0:1]
	v_add_u32_e32 v18, 4, v18
	v_cmp_ge_i32_e64 s[0:1], v18, v22
	s_xor_b64 s[28:29], vcc, -1
	s_or_b64 s[0:1], s[28:29], s[0:1]
	s_and_b64 s[0:1], exec, s[0:1]
	s_or_b64 s[26:27], s[0:1], s[26:27]
	s_andn2_b64 exec, exec, s[26:27]
	s_cbranch_execz .LBB40_18
.LBB40_14:                              ;   Parent Loop BB40_11 Depth=1
                                        ; =>  This Inner Loop Header: Depth=2
	v_ashrrev_i32_e32 v19, 31, v18
	v_lshl_add_u64 v[32:33], v[18:19], 2, s[16:17]
	global_load_dword v21, v[32:33], off
	s_waitcnt vmcnt(0)
	v_subrev_u32_e32 v21, s11, v21
	v_sub_u32_e32 v32, 0, v21
	v_max_i32_e32 v32, v21, v32
	v_mul_hi_u32 v33, v32, v28
	v_mul_lo_u32 v34, v33, s33
	v_sub_u32_e32 v32, v32, v34
	v_add_u32_e32 v35, 1, v33
	v_cmp_le_u32_e32 vcc, s33, v32
	v_subrev_u32_e32 v34, s33, v32
	v_ashrrev_i32_e32 v30, 31, v21
	v_cndmask_b32_e32 v33, v33, v35, vcc
	v_cndmask_b32_e32 v32, v32, v34, vcc
	v_add_u32_e32 v34, 1, v33
	v_cmp_le_u32_e32 vcc, s33, v32
	v_xor_b32_e32 v30, s34, v30
	s_nop 0
	v_cndmask_b32_e32 v32, v33, v34, vcc
	v_xor_b32_e32 v32, v32, v30
	v_sub_u32_e32 v32, v32, v30
	v_cmp_eq_u32_e32 vcc, v32, v3
	v_cmp_ne_u32_e64 s[0:1], v32, v3
	v_mov_b32_e32 v30, v20
	s_and_saveexec_b64 s[28:29], s[0:1]
	s_xor_b64 s[0:1], exec, s[28:29]
; %bb.15:                               ;   in Loop: Header=BB40_14 Depth=2
	v_min_i32_e32 v31, v32, v31
                                        ; implicit-def: $vgpr21
                                        ; implicit-def: $vgpr30
; %bb.16:                               ;   in Loop: Header=BB40_14 Depth=2
	s_or_saveexec_b64 s[0:1], s[0:1]
	v_mov_b32_e32 v20, v18
	s_xor_b64 exec, exec, s[0:1]
	s_cbranch_execz .LBB40_13
; %bb.17:                               ;   in Loop: Header=BB40_14 Depth=2
	v_lshl_add_u64 v[32:33], v[18:19], 2, s[12:13]
	global_load_dword v19, v[32:33], off
	v_sub_u32_e32 v20, v21, v4
	v_add_lshl_u32 v20, v23, v20, 2
	ds_write_b8 v1, v29 offset:4096
	s_waitcnt vmcnt(0)
	ds_write_b32 v20, v19
	v_mov_b32_e32 v20, v30
	s_branch .LBB40_13
.LBB40_18:                              ;   in Loop: Header=BB40_11 Depth=1
	s_or_b64 exec, exec, s[26:27]
.LBB40_19:                              ;   in Loop: Header=BB40_11 Depth=1
	s_or_b64 exec, exec, s[24:25]
	v_mov_b32_dpp v4, v20 row_shr:1 row_mask:0xf bank_mask:0xf
	v_min_i32_e32 v4, v4, v20
	s_waitcnt lgkmcnt(0)
	ds_read_u8 v18, v1 offset:4096
	v_mov_b32_dpp v19, v4 row_shr:2 row_mask:0xf bank_mask:0xf
	v_min_i32_e32 v4, v19, v4
	ds_bpermute_b32 v30, v25, v4
	s_waitcnt lgkmcnt(1)
	v_and_b32_e32 v4, 1, v18
	v_cmp_eq_u32_e32 vcc, 1, v4
	v_mov_b32_e32 v4, 0
	s_and_saveexec_b64 s[24:25], vcc
	s_cbranch_execz .LBB40_10
; %bb.20:                               ;   in Loop: Header=BB40_11 Depth=1
	v_add_u32_e32 v4, s30, v3
	v_ashrrev_i32_e32 v3, 31, v2
	v_lshl_add_u64 v[18:19], v[2:3], 2, s[14:15]
	global_store_dword v[18:19], v4, off
	v_mul_lo_u32 v4, s8, v2
	v_mul_lo_u32 v3, s31, v3
	v_mad_u64_u32 v[18:19], s[0:1], s31, v2, 0
	v_add3_u32 v19, v19, v3, v4
	v_lshlrev_b64 v[18:19], 2, v[18:19]
	v_lshl_add_u64 v[20:21], v[6:7], 0, v[18:19]
	v_lshl_add_u64 v[18:19], v[8:9], 0, v[18:19]
	s_and_saveexec_b64 s[0:1], s[20:21]
	s_cbranch_execz .LBB40_24
; %bb.21:                               ;   in Loop: Header=BB40_11 Depth=1
	s_and_b64 vcc, exec, s[18:19]
	s_cbranch_vccz .LBB40_35
; %bb.22:                               ;   in Loop: Header=BB40_11 Depth=1
	ds_read_b32 v3, v27
	v_lshl_add_u64 v[32:33], v[10:11], 2, v[20:21]
	s_waitcnt lgkmcnt(0)
	global_store_dword v[32:33], v3, off
	s_cbranch_execnz .LBB40_24
.LBB40_23:                              ;   in Loop: Header=BB40_11 Depth=1
	ds_read_b32 v3, v27
	v_lshlrev_b32_e32 v4, 2, v0
	v_lshl_add_u64 v[32:33], v[18:19], 0, v[4:5]
	s_waitcnt lgkmcnt(0)
	global_store_dword v[32:33], v3, off
.LBB40_24:                              ;   in Loop: Header=BB40_11 Depth=1
	s_or_b64 exec, exec, s[0:1]
	v_cndmask_b32_e64 v3, 0, 1, s[18:19]
	v_cmp_ne_u32_e64 s[0:1], 1, v3
	s_and_saveexec_b64 s[26:27], s[2:3]
	s_cbranch_execz .LBB40_28
; %bb.25:                               ;   in Loop: Header=BB40_11 Depth=1
	s_and_b64 vcc, exec, s[0:1]
	s_cbranch_vccnz .LBB40_36
; %bb.26:                               ;   in Loop: Header=BB40_11 Depth=1
	ds_read_b32 v3, v27 offset:16
	v_lshl_add_u64 v[32:33], v[12:13], 2, v[20:21]
	s_waitcnt lgkmcnt(0)
	global_store_dword v[32:33], v3, off
	s_cbranch_execnz .LBB40_28
.LBB40_27:                              ;   in Loop: Header=BB40_11 Depth=1
	ds_read_b32 v3, v27 offset:16
	v_lshlrev_b32_e32 v4, 2, v0
	v_lshl_add_u64 v[32:33], v[18:19], 0, v[4:5]
	s_waitcnt lgkmcnt(0)
	global_store_dword v[32:33], v3, off offset:16
.LBB40_28:                              ;   in Loop: Header=BB40_11 Depth=1
	s_or_b64 exec, exec, s[26:27]
	s_and_saveexec_b64 s[26:27], s[4:5]
	s_cbranch_execz .LBB40_32
; %bb.29:                               ;   in Loop: Header=BB40_11 Depth=1
	s_and_b64 vcc, exec, s[0:1]
	s_cbranch_vccnz .LBB40_37
; %bb.30:                               ;   in Loop: Header=BB40_11 Depth=1
	ds_read_b32 v3, v27 offset:32
	v_lshl_add_u64 v[32:33], v[14:15], 2, v[20:21]
	s_waitcnt lgkmcnt(0)
	global_store_dword v[32:33], v3, off
	s_cbranch_execnz .LBB40_32
.LBB40_31:                              ;   in Loop: Header=BB40_11 Depth=1
	ds_read_b32 v3, v27 offset:32
	v_lshlrev_b32_e32 v4, 2, v0
	v_lshl_add_u64 v[32:33], v[18:19], 0, v[4:5]
	s_waitcnt lgkmcnt(0)
	global_store_dword v[32:33], v3, off offset:32
.LBB40_32:                              ;   in Loop: Header=BB40_11 Depth=1
	s_or_b64 exec, exec, s[26:27]
	v_mov_b32_e32 v4, 1
	s_and_saveexec_b64 s[26:27], s[6:7]
	s_cbranch_execz .LBB40_9
; %bb.33:                               ;   in Loop: Header=BB40_11 Depth=1
	s_and_b64 vcc, exec, s[0:1]
	s_cbranch_vccnz .LBB40_38
; %bb.34:                               ;   in Loop: Header=BB40_11 Depth=1
	ds_read_b32 v3, v27 offset:48
	v_lshl_add_u64 v[20:21], v[16:17], 2, v[20:21]
	s_mov_b32 s28, 1
	s_waitcnt lgkmcnt(0)
	global_store_dword v[20:21], v3, off
	s_cbranch_execnz .LBB40_8
	s_branch .LBB40_39
.LBB40_35:                              ;   in Loop: Header=BB40_11 Depth=1
	s_branch .LBB40_23
.LBB40_36:                              ;   in Loop: Header=BB40_11 Depth=1
	s_branch .LBB40_27
.LBB40_37:                              ;   in Loop: Header=BB40_11 Depth=1
	s_branch .LBB40_31
.LBB40_38:                              ;   in Loop: Header=BB40_11 Depth=1
                                        ; implicit-def: $sgpr28
.LBB40_39:                              ;   in Loop: Header=BB40_11 Depth=1
	ds_read_b32 v3, v27 offset:48
	v_lshlrev_b32_e32 v4, 2, v0
	v_lshl_add_u64 v[18:19], v[18:19], 0, v[4:5]
	s_mov_b32 s28, 1
	s_waitcnt lgkmcnt(0)
	global_store_dword v[18:19], v3, off offset:48
	s_branch .LBB40_8
.LBB40_40:
	s_endpgm
	.section	.rodata,"a",@progbits
	.p2align	6, 0x0
	.amdhsa_kernel _ZN9rocsparseL42csr2bsr_wavefront_per_row_multipass_kernelILj256ELj64ELj16EfiiEEv20rocsparse_direction_T4_S2_S2_S2_S2_21rocsparse_index_base_PKT2_PKT3_PKS2_S3_PS4_PS7_PS2_
		.amdhsa_group_segment_fixed_size 4100
		.amdhsa_private_segment_fixed_size 0
		.amdhsa_kernarg_size 88
		.amdhsa_user_sgpr_count 2
		.amdhsa_user_sgpr_dispatch_ptr 0
		.amdhsa_user_sgpr_queue_ptr 0
		.amdhsa_user_sgpr_kernarg_segment_ptr 1
		.amdhsa_user_sgpr_dispatch_id 0
		.amdhsa_user_sgpr_kernarg_preload_length 0
		.amdhsa_user_sgpr_kernarg_preload_offset 0
		.amdhsa_user_sgpr_private_segment_size 0
		.amdhsa_uses_dynamic_stack 0
		.amdhsa_enable_private_segment 0
		.amdhsa_system_sgpr_workgroup_id_x 1
		.amdhsa_system_sgpr_workgroup_id_y 0
		.amdhsa_system_sgpr_workgroup_id_z 0
		.amdhsa_system_sgpr_workgroup_info 0
		.amdhsa_system_vgpr_workitem_id 0
		.amdhsa_next_free_vgpr 36
		.amdhsa_next_free_sgpr 35
		.amdhsa_accum_offset 36
		.amdhsa_reserve_vcc 1
		.amdhsa_float_round_mode_32 0
		.amdhsa_float_round_mode_16_64 0
		.amdhsa_float_denorm_mode_32 3
		.amdhsa_float_denorm_mode_16_64 3
		.amdhsa_dx10_clamp 1
		.amdhsa_ieee_mode 1
		.amdhsa_fp16_overflow 0
		.amdhsa_tg_split 0
		.amdhsa_exception_fp_ieee_invalid_op 0
		.amdhsa_exception_fp_denorm_src 0
		.amdhsa_exception_fp_ieee_div_zero 0
		.amdhsa_exception_fp_ieee_overflow 0
		.amdhsa_exception_fp_ieee_underflow 0
		.amdhsa_exception_fp_ieee_inexact 0
		.amdhsa_exception_int_div_zero 0
	.end_amdhsa_kernel
	.section	.text._ZN9rocsparseL42csr2bsr_wavefront_per_row_multipass_kernelILj256ELj64ELj16EfiiEEv20rocsparse_direction_T4_S2_S2_S2_S2_21rocsparse_index_base_PKT2_PKT3_PKS2_S3_PS4_PS7_PS2_,"axG",@progbits,_ZN9rocsparseL42csr2bsr_wavefront_per_row_multipass_kernelILj256ELj64ELj16EfiiEEv20rocsparse_direction_T4_S2_S2_S2_S2_21rocsparse_index_base_PKT2_PKT3_PKS2_S3_PS4_PS7_PS2_,comdat
.Lfunc_end40:
	.size	_ZN9rocsparseL42csr2bsr_wavefront_per_row_multipass_kernelILj256ELj64ELj16EfiiEEv20rocsparse_direction_T4_S2_S2_S2_S2_21rocsparse_index_base_PKT2_PKT3_PKS2_S3_PS4_PS7_PS2_, .Lfunc_end40-_ZN9rocsparseL42csr2bsr_wavefront_per_row_multipass_kernelILj256ELj64ELj16EfiiEEv20rocsparse_direction_T4_S2_S2_S2_S2_21rocsparse_index_base_PKT2_PKT3_PKS2_S3_PS4_PS7_PS2_
                                        ; -- End function
	.section	.AMDGPU.csdata,"",@progbits
; Kernel info:
; codeLenInByte = 1552
; NumSgprs: 41
; NumVgprs: 36
; NumAgprs: 0
; TotalNumVgprs: 36
; ScratchSize: 0
; MemoryBound: 0
; FloatMode: 240
; IeeeMode: 1
; LDSByteSize: 4100 bytes/workgroup (compile time only)
; SGPRBlocks: 5
; VGPRBlocks: 4
; NumSGPRsForWavesPerEU: 41
; NumVGPRsForWavesPerEU: 36
; AccumOffset: 36
; Occupancy: 8
; WaveLimiterHint : 0
; COMPUTE_PGM_RSRC2:SCRATCH_EN: 0
; COMPUTE_PGM_RSRC2:USER_SGPR: 2
; COMPUTE_PGM_RSRC2:TRAP_HANDLER: 0
; COMPUTE_PGM_RSRC2:TGID_X_EN: 1
; COMPUTE_PGM_RSRC2:TGID_Y_EN: 0
; COMPUTE_PGM_RSRC2:TGID_Z_EN: 0
; COMPUTE_PGM_RSRC2:TIDIG_COMP_CNT: 0
; COMPUTE_PGM_RSRC3_GFX90A:ACCUM_OFFSET: 8
; COMPUTE_PGM_RSRC3_GFX90A:TG_SPLIT: 0
	.section	.text._ZN9rocsparseL42csr2bsr_wavefront_per_row_multipass_kernelILj256ELj32ELj16EfiiEEv20rocsparse_direction_T4_S2_S2_S2_S2_21rocsparse_index_base_PKT2_PKT3_PKS2_S3_PS4_PS7_PS2_,"axG",@progbits,_ZN9rocsparseL42csr2bsr_wavefront_per_row_multipass_kernelILj256ELj32ELj16EfiiEEv20rocsparse_direction_T4_S2_S2_S2_S2_21rocsparse_index_base_PKT2_PKT3_PKS2_S3_PS4_PS7_PS2_,comdat
	.globl	_ZN9rocsparseL42csr2bsr_wavefront_per_row_multipass_kernelILj256ELj32ELj16EfiiEEv20rocsparse_direction_T4_S2_S2_S2_S2_21rocsparse_index_base_PKT2_PKT3_PKS2_S3_PS4_PS7_PS2_ ; -- Begin function _ZN9rocsparseL42csr2bsr_wavefront_per_row_multipass_kernelILj256ELj32ELj16EfiiEEv20rocsparse_direction_T4_S2_S2_S2_S2_21rocsparse_index_base_PKT2_PKT3_PKS2_S3_PS4_PS7_PS2_
	.p2align	8
	.type	_ZN9rocsparseL42csr2bsr_wavefront_per_row_multipass_kernelILj256ELj32ELj16EfiiEEv20rocsparse_direction_T4_S2_S2_S2_S2_21rocsparse_index_base_PKT2_PKT3_PKS2_S3_PS4_PS7_PS2_,@function
_ZN9rocsparseL42csr2bsr_wavefront_per_row_multipass_kernelILj256ELj32ELj16EfiiEEv20rocsparse_direction_T4_S2_S2_S2_S2_21rocsparse_index_base_PKT2_PKT3_PKS2_S3_PS4_PS7_PS2_: ; @_ZN9rocsparseL42csr2bsr_wavefront_per_row_multipass_kernelILj256ELj32ELj16EfiiEEv20rocsparse_direction_T4_S2_S2_S2_S2_21rocsparse_index_base_PKT2_PKT3_PKS2_S3_PS4_PS7_PS2_
; %bb.0:
	s_load_dwordx2 s[4:5], s[0:1], 0x0
	s_load_dwordx4 s[16:19], s[0:1], 0xc
	s_load_dwordx2 s[6:7], s[0:1], 0x28
	v_lshrrev_b32_e32 v1, 5, v0
	v_bfe_u32 v8, v0, 1, 4
	v_lshl_or_b32 v4, s2, 3, v1
	s_waitcnt lgkmcnt(0)
	v_mad_u64_u32 v[2:3], s[2:3], v4, s18, v[8:9]
	v_cmp_gt_i32_e64 s[2:3], s5, v2
	v_cmp_gt_i32_e32 vcc, s18, v8
	s_and_b64 s[2:3], vcc, s[2:3]
	v_mov_b32_e32 v30, 0
	v_mov_b32_e32 v36, 0
	s_and_saveexec_b64 s[8:9], s[2:3]
	s_cbranch_execz .LBB41_2
; %bb.1:
	v_ashrrev_i32_e32 v3, 31, v2
	v_lshl_add_u64 v[6:7], v[2:3], 2, s[6:7]
	global_load_dword v3, v[6:7], off
	s_waitcnt vmcnt(0)
	v_subrev_u32_e32 v36, s19, v3
.LBB41_2:
	s_or_b64 exec, exec, s[8:9]
	s_and_saveexec_b64 s[8:9], s[2:3]
	s_cbranch_execz .LBB41_4
; %bb.3:
	v_ashrrev_i32_e32 v3, 31, v2
	v_lshl_add_u64 v[2:3], v[2:3], 2, s[6:7]
	global_load_dword v2, v[2:3], off offset:4
	s_waitcnt vmcnt(0)
	v_subrev_u32_e32 v30, s19, v2
.LBB41_4:
	s_or_b64 exec, exec, s[8:9]
	s_load_dword s33, s[0:1], 0x38
	v_cmp_gt_i32_e64 s[2:3], s16, v4
	v_mov_b32_e32 v2, 0
	s_and_saveexec_b64 s[6:7], s[2:3]
	s_cbranch_execz .LBB41_6
; %bb.5:
	s_load_dwordx2 s[2:3], s[0:1], 0x48
	v_ashrrev_i32_e32 v5, 31, v4
	s_waitcnt lgkmcnt(0)
	v_lshl_add_u64 v[2:3], v[4:5], 2, s[2:3]
	global_load_dword v2, v[2:3], off
	s_waitcnt vmcnt(0)
	v_subrev_u32_e32 v2, s33, v2
.LBB41_6:
	s_or_b64 exec, exec, s[6:7]
	s_cmp_lt_i32 s17, 1
	s_cbranch_scc1 .LBB41_60
; %bb.7:
	v_lshlrev_b32_e32 v3, 8, v1
	s_load_dwordx2 s[20:21], s[0:1], 0x20
	s_load_dwordx2 s[22:23], s[0:1], 0x50
	;; [unrolled: 1-line block ×4, first 2 shown]
	v_lshl_or_b32 v31, v8, 4, v3
	v_mbcnt_lo_u32_b32 v3, -1, 0
	v_mbcnt_hi_u32_b32 v3, -1, v3
	v_and_b32_e32 v0, 1, v0
	v_lshlrev_b32_e32 v3, 2, v3
	v_or_b32_e32 v33, 4, v3
	v_lshlrev_b32_e32 v4, 2, v8
	v_mov_b32_e32 v5, 0
	v_or_b32_e32 v34, 0x7c, v3
	v_or_b32_e32 v3, v31, v0
	s_waitcnt lgkmcnt(0)
	v_lshl_add_u64 v[6:7], s[2:3], 0, v[4:5]
	v_mul_lo_u32 v4, v8, s18
	v_lshlrev_b32_e32 v35, 2, v3
	v_or_b32_e32 v3, 2, v0
	v_lshl_add_u64 v[8:9], v[4:5], 2, s[2:3]
	v_cmp_gt_u32_e64 s[2:3], s18, v3
	v_or_b32_e32 v3, 4, v0
	s_cmp_lg_u32 s4, 0
	v_cmp_gt_u32_e64 s[4:5], s18, v3
	v_or_b32_e32 v3, 6, v0
	v_cmp_gt_u32_e64 s[6:7], s18, v3
	v_or_b32_e32 v3, 8, v0
	;; [unrolled: 2-line block ×4, first 2 shown]
	s_cselect_b64 s[26:27], -1, 0
	v_cmp_gt_u32_e64 s[12:13], s18, v3
	v_or_b32_e32 v3, 14, v0
	s_abs_i32 s41, s18
	v_cmp_gt_u32_e64 s[14:15], s18, v3
	v_cvt_f32_u32_e32 v3, s41
	v_mul_lo_u32 v10, v0, s18
	s_lshl_b32 s28, s18, 1
	v_add_u32_e32 v12, s28, v10
	v_rcp_iflag_f32_e32 v3, v3
	v_add_u32_e32 v14, s28, v12
	v_add_u32_e32 v16, s28, v14
	;; [unrolled: 1-line block ×3, first 2 shown]
	v_mul_f32_e32 v3, 0x4f7ffffe, v3
	v_cvt_u32_f32_e32 v3, v3
	v_add_u32_e32 v20, s28, v18
	v_cmp_gt_u32_e64 s[0:1], s18, v0
	v_add_u32_e32 v22, s28, v20
	v_add_u32_e32 v24, s28, v22
	s_and_b64 s[28:29], s[0:1], vcc
	s_sub_i32 s0, 0, s41
	v_mul_lo_u32 v4, s0, v3
	v_mul_hi_u32 v4, v3, v4
	v_mov_b32_e32 v32, 0
	s_mul_hi_u32 s16, s18, s18
	s_mul_i32 s40, s18, s18
	v_mov_b32_e32 v11, v5
	v_mov_b32_e32 v13, v5
	;; [unrolled: 1-line block ×8, first 2 shown]
	s_and_b64 s[2:3], vcc, s[2:3]
	s_and_b64 s[4:5], vcc, s[4:5]
	;; [unrolled: 1-line block ×7, first 2 shown]
	s_ashr_i32 s42, s18, 31
	v_add_u32_e32 v37, v3, v4
	s_mov_b64 s[30:31], 0
	v_mov_b32_e32 v38, 1
	v_mov_b32_e32 v3, 0
	s_branch .LBB41_11
.LBB41_8:                               ;   in Loop: Header=BB41_11 Depth=1
	v_mov_b32_e32 v4, s38
.LBB41_9:                               ;   in Loop: Header=BB41_11 Depth=1
	s_or_b64 exec, exec, s[36:37]
.LBB41_10:                              ;   in Loop: Header=BB41_11 Depth=1
	s_or_b64 exec, exec, s[34:35]
	v_mov_b32_dpp v3, v39 row_shr:1 row_mask:0xf bank_mask:0xf
	v_min_i32_e32 v3, v3, v39
	v_add_u32_e32 v2, v4, v2
	s_waitcnt lgkmcnt(0)
	v_mov_b32_dpp v26, v3 row_shr:2 row_mask:0xf bank_mask:0xf
	v_min_i32_e32 v3, v26, v3
	s_nop 1
	v_mov_b32_dpp v26, v3 row_shr:4 row_mask:0xf bank_mask:0xe
	v_min_i32_e32 v3, v26, v3
	s_nop 1
	;; [unrolled: 3-line block ×3, first 2 shown]
	v_mov_b32_dpp v26, v3 row_bcast:15 row_mask:0xa bank_mask:0xf
	v_min_i32_e32 v3, v26, v3
	ds_bpermute_b32 v3, v34, v3
	s_waitcnt lgkmcnt(0)
	v_cmp_le_i32_e32 vcc, s17, v3
	s_or_b64 s[30:31], vcc, s[30:31]
	s_andn2_b64 exec, exec, s[30:31]
	s_cbranch_execz .LBB41_60
.LBB41_11:                              ; =>This Loop Header: Depth=1
                                        ;     Child Loop BB41_14 Depth 2
	v_add_u32_e32 v26, v36, v0
	v_cmp_lt_i32_e32 vcc, v26, v30
	v_mov_b32_e32 v39, s17
	v_mov_b32_e32 v28, v30
	ds_write_b8 v1, v32 offset:8192
	ds_write2_b32 v35, v5, v5 offset1:2
	ds_write2_b32 v35, v5, v5 offset0:4 offset1:6
	ds_write2_b32 v35, v5, v5 offset0:8 offset1:10
	;; [unrolled: 1-line block ×3, first 2 shown]
	s_waitcnt lgkmcnt(0)
	s_and_saveexec_b64 s[34:35], vcc
	s_cbranch_execz .LBB41_19
; %bb.12:                               ;   in Loop: Header=BB41_11 Depth=1
	v_mul_lo_u32 v4, v3, s18
	s_mov_b64 s[36:37], 0
	v_mov_b32_e32 v39, s17
	v_mov_b32_e32 v28, v30
	s_branch .LBB41_14
.LBB41_13:                              ;   in Loop: Header=BB41_14 Depth=2
	s_or_b64 exec, exec, s[0:1]
	v_add_u32_e32 v26, 2, v26
	v_cmp_ge_i32_e64 s[0:1], v26, v30
	s_xor_b64 s[38:39], vcc, -1
	s_or_b64 s[0:1], s[38:39], s[0:1]
	s_and_b64 s[0:1], exec, s[0:1]
	s_or_b64 s[36:37], s[0:1], s[36:37]
	s_andn2_b64 exec, exec, s[36:37]
	s_cbranch_execz .LBB41_18
.LBB41_14:                              ;   Parent Loop BB41_11 Depth=1
                                        ; =>  This Inner Loop Header: Depth=2
	v_ashrrev_i32_e32 v27, 31, v26
	v_lshl_add_u64 v[40:41], v[26:27], 2, s[24:25]
	global_load_dword v29, v[40:41], off
	s_waitcnt vmcnt(0)
	v_subrev_u32_e32 v29, s19, v29
	v_sub_u32_e32 v40, 0, v29
	v_max_i32_e32 v40, v29, v40
	v_mul_hi_u32 v41, v40, v37
	v_mul_lo_u32 v42, v41, s41
	v_sub_u32_e32 v40, v40, v42
	v_add_u32_e32 v43, 1, v41
	v_cmp_le_u32_e32 vcc, s41, v40
	v_subrev_u32_e32 v42, s41, v40
	v_ashrrev_i32_e32 v36, 31, v29
	v_cndmask_b32_e32 v41, v41, v43, vcc
	v_cndmask_b32_e32 v40, v40, v42, vcc
	v_add_u32_e32 v42, 1, v41
	v_cmp_le_u32_e32 vcc, s41, v40
	v_xor_b32_e32 v36, s42, v36
	s_nop 0
	v_cndmask_b32_e32 v40, v41, v42, vcc
	v_xor_b32_e32 v40, v40, v36
	v_sub_u32_e32 v40, v40, v36
	v_cmp_eq_u32_e32 vcc, v40, v3
	v_cmp_ne_u32_e64 s[0:1], v40, v3
	v_mov_b32_e32 v36, v28
	s_and_saveexec_b64 s[38:39], s[0:1]
	s_xor_b64 s[0:1], exec, s[38:39]
; %bb.15:                               ;   in Loop: Header=BB41_14 Depth=2
	v_min_i32_e32 v39, v40, v39
                                        ; implicit-def: $vgpr29
                                        ; implicit-def: $vgpr36
; %bb.16:                               ;   in Loop: Header=BB41_14 Depth=2
	s_or_saveexec_b64 s[0:1], s[0:1]
	v_mov_b32_e32 v28, v26
	s_xor_b64 exec, exec, s[0:1]
	s_cbranch_execz .LBB41_13
; %bb.17:                               ;   in Loop: Header=BB41_14 Depth=2
	v_lshl_add_u64 v[40:41], v[26:27], 2, s[20:21]
	global_load_dword v27, v[40:41], off
	v_sub_u32_e32 v28, v29, v4
	v_add_lshl_u32 v28, v31, v28, 2
	ds_write_b8 v1, v38 offset:8192
	s_waitcnt vmcnt(0)
	ds_write_b32 v28, v27
	v_mov_b32_e32 v28, v36
	s_branch .LBB41_13
.LBB41_18:                              ;   in Loop: Header=BB41_11 Depth=1
	s_or_b64 exec, exec, s[36:37]
.LBB41_19:                              ;   in Loop: Header=BB41_11 Depth=1
	s_or_b64 exec, exec, s[34:35]
	s_waitcnt lgkmcnt(0)
	ds_read_u8 v4, v1 offset:8192
	v_mov_b32_dpp v26, v28 row_shr:1 row_mask:0xf bank_mask:0xf
	v_min_i32_e32 v26, v26, v28
	ds_bpermute_b32 v36, v33, v26
	s_waitcnt lgkmcnt(1)
	v_and_b32_e32 v4, 1, v4
	v_cmp_eq_u32_e32 vcc, 1, v4
	v_mov_b32_e32 v4, 0
	s_and_saveexec_b64 s[34:35], vcc
	s_cbranch_execz .LBB41_10
; %bb.20:                               ;   in Loop: Header=BB41_11 Depth=1
	v_add_u32_e32 v4, s33, v3
	v_ashrrev_i32_e32 v3, 31, v2
	v_lshl_add_u64 v[26:27], v[2:3], 2, s[22:23]
	global_store_dword v[26:27], v4, off
	v_mul_lo_u32 v4, s16, v2
	v_mul_lo_u32 v3, s40, v3
	v_mad_u64_u32 v[26:27], s[0:1], s40, v2, 0
	v_add3_u32 v27, v27, v3, v4
	v_lshlrev_b64 v[26:27], 2, v[26:27]
	v_lshl_add_u64 v[28:29], v[6:7], 0, v[26:27]
	v_lshl_add_u64 v[26:27], v[8:9], 0, v[26:27]
	s_and_saveexec_b64 s[0:1], s[28:29]
	s_cbranch_execz .LBB41_24
; %bb.21:                               ;   in Loop: Header=BB41_11 Depth=1
	s_and_b64 vcc, exec, s[26:27]
	s_cbranch_vccz .LBB41_51
; %bb.22:                               ;   in Loop: Header=BB41_11 Depth=1
	ds_read_b32 v3, v35
	v_lshl_add_u64 v[40:41], v[10:11], 2, v[28:29]
	s_waitcnt lgkmcnt(0)
	global_store_dword v[40:41], v3, off
	s_cbranch_execnz .LBB41_24
.LBB41_23:                              ;   in Loop: Header=BB41_11 Depth=1
	ds_read_b32 v3, v35
	v_lshlrev_b32_e32 v4, 2, v0
	v_lshl_add_u64 v[40:41], v[26:27], 0, v[4:5]
	s_waitcnt lgkmcnt(0)
	global_store_dword v[40:41], v3, off
.LBB41_24:                              ;   in Loop: Header=BB41_11 Depth=1
	s_or_b64 exec, exec, s[0:1]
	v_cndmask_b32_e64 v3, 0, 1, s[26:27]
	v_cmp_ne_u32_e64 s[0:1], 1, v3
	s_and_saveexec_b64 s[36:37], s[2:3]
	s_cbranch_execz .LBB41_28
; %bb.25:                               ;   in Loop: Header=BB41_11 Depth=1
	s_and_b64 vcc, exec, s[0:1]
	s_cbranch_vccnz .LBB41_52
; %bb.26:                               ;   in Loop: Header=BB41_11 Depth=1
	ds_read_b32 v3, v35 offset:8
	v_lshl_add_u64 v[40:41], v[12:13], 2, v[28:29]
	s_waitcnt lgkmcnt(0)
	global_store_dword v[40:41], v3, off
	s_cbranch_execnz .LBB41_28
.LBB41_27:                              ;   in Loop: Header=BB41_11 Depth=1
	ds_read_b32 v3, v35 offset:8
	v_lshlrev_b32_e32 v4, 2, v0
	v_lshl_add_u64 v[40:41], v[26:27], 0, v[4:5]
	s_waitcnt lgkmcnt(0)
	global_store_dword v[40:41], v3, off offset:8
.LBB41_28:                              ;   in Loop: Header=BB41_11 Depth=1
	s_or_b64 exec, exec, s[36:37]
	s_and_saveexec_b64 s[36:37], s[4:5]
	s_cbranch_execz .LBB41_32
; %bb.29:                               ;   in Loop: Header=BB41_11 Depth=1
	s_and_b64 vcc, exec, s[0:1]
	s_cbranch_vccnz .LBB41_53
; %bb.30:                               ;   in Loop: Header=BB41_11 Depth=1
	ds_read_b32 v3, v35 offset:16
	v_lshl_add_u64 v[40:41], v[14:15], 2, v[28:29]
	s_waitcnt lgkmcnt(0)
	global_store_dword v[40:41], v3, off
	s_cbranch_execnz .LBB41_32
.LBB41_31:                              ;   in Loop: Header=BB41_11 Depth=1
	ds_read_b32 v3, v35 offset:16
	v_lshlrev_b32_e32 v4, 2, v0
	v_lshl_add_u64 v[40:41], v[26:27], 0, v[4:5]
	s_waitcnt lgkmcnt(0)
	global_store_dword v[40:41], v3, off offset:16
.LBB41_32:                              ;   in Loop: Header=BB41_11 Depth=1
	s_or_b64 exec, exec, s[36:37]
	s_and_saveexec_b64 s[36:37], s[6:7]
	s_cbranch_execz .LBB41_36
; %bb.33:                               ;   in Loop: Header=BB41_11 Depth=1
	s_and_b64 vcc, exec, s[0:1]
	s_cbranch_vccnz .LBB41_54
; %bb.34:                               ;   in Loop: Header=BB41_11 Depth=1
	ds_read_b32 v3, v35 offset:24
	v_lshl_add_u64 v[40:41], v[16:17], 2, v[28:29]
	s_waitcnt lgkmcnt(0)
	global_store_dword v[40:41], v3, off
	s_cbranch_execnz .LBB41_36
.LBB41_35:                              ;   in Loop: Header=BB41_11 Depth=1
	ds_read_b32 v3, v35 offset:24
	v_lshlrev_b32_e32 v4, 2, v0
	v_lshl_add_u64 v[40:41], v[26:27], 0, v[4:5]
	s_waitcnt lgkmcnt(0)
	global_store_dword v[40:41], v3, off offset:24
.LBB41_36:                              ;   in Loop: Header=BB41_11 Depth=1
	s_or_b64 exec, exec, s[36:37]
	s_and_saveexec_b64 s[36:37], s[8:9]
	s_cbranch_execz .LBB41_40
; %bb.37:                               ;   in Loop: Header=BB41_11 Depth=1
	s_and_b64 vcc, exec, s[0:1]
	s_cbranch_vccnz .LBB41_55
; %bb.38:                               ;   in Loop: Header=BB41_11 Depth=1
	ds_read_b32 v3, v35 offset:32
	v_lshl_add_u64 v[40:41], v[18:19], 2, v[28:29]
	s_waitcnt lgkmcnt(0)
	global_store_dword v[40:41], v3, off
	s_cbranch_execnz .LBB41_40
.LBB41_39:                              ;   in Loop: Header=BB41_11 Depth=1
	ds_read_b32 v3, v35 offset:32
	v_lshlrev_b32_e32 v4, 2, v0
	v_lshl_add_u64 v[40:41], v[26:27], 0, v[4:5]
	s_waitcnt lgkmcnt(0)
	global_store_dword v[40:41], v3, off offset:32
.LBB41_40:                              ;   in Loop: Header=BB41_11 Depth=1
	s_or_b64 exec, exec, s[36:37]
	s_and_saveexec_b64 s[36:37], s[10:11]
	s_cbranch_execz .LBB41_44
; %bb.41:                               ;   in Loop: Header=BB41_11 Depth=1
	s_and_b64 vcc, exec, s[0:1]
	s_cbranch_vccnz .LBB41_56
; %bb.42:                               ;   in Loop: Header=BB41_11 Depth=1
	ds_read_b32 v3, v35 offset:40
	v_lshl_add_u64 v[40:41], v[20:21], 2, v[28:29]
	s_waitcnt lgkmcnt(0)
	global_store_dword v[40:41], v3, off
	s_cbranch_execnz .LBB41_44
.LBB41_43:                              ;   in Loop: Header=BB41_11 Depth=1
	ds_read_b32 v3, v35 offset:40
	v_lshlrev_b32_e32 v4, 2, v0
	v_lshl_add_u64 v[40:41], v[26:27], 0, v[4:5]
	s_waitcnt lgkmcnt(0)
	global_store_dword v[40:41], v3, off offset:40
.LBB41_44:                              ;   in Loop: Header=BB41_11 Depth=1
	s_or_b64 exec, exec, s[36:37]
	s_and_saveexec_b64 s[36:37], s[12:13]
	s_cbranch_execz .LBB41_48
; %bb.45:                               ;   in Loop: Header=BB41_11 Depth=1
	s_and_b64 vcc, exec, s[0:1]
	s_cbranch_vccnz .LBB41_57
; %bb.46:                               ;   in Loop: Header=BB41_11 Depth=1
	ds_read_b32 v3, v35 offset:48
	v_lshl_add_u64 v[40:41], v[22:23], 2, v[28:29]
	s_waitcnt lgkmcnt(0)
	global_store_dword v[40:41], v3, off
	s_cbranch_execnz .LBB41_48
.LBB41_47:                              ;   in Loop: Header=BB41_11 Depth=1
	ds_read_b32 v3, v35 offset:48
	v_lshlrev_b32_e32 v4, 2, v0
	v_lshl_add_u64 v[40:41], v[26:27], 0, v[4:5]
	s_waitcnt lgkmcnt(0)
	global_store_dword v[40:41], v3, off offset:48
.LBB41_48:                              ;   in Loop: Header=BB41_11 Depth=1
	s_or_b64 exec, exec, s[36:37]
	v_mov_b32_e32 v4, 1
	s_and_saveexec_b64 s[36:37], s[14:15]
	s_cbranch_execz .LBB41_9
; %bb.49:                               ;   in Loop: Header=BB41_11 Depth=1
	s_and_b64 vcc, exec, s[0:1]
	s_cbranch_vccnz .LBB41_58
; %bb.50:                               ;   in Loop: Header=BB41_11 Depth=1
	ds_read_b32 v3, v35 offset:56
	v_lshl_add_u64 v[28:29], v[24:25], 2, v[28:29]
	s_mov_b32 s38, 1
	s_waitcnt lgkmcnt(0)
	global_store_dword v[28:29], v3, off
	s_cbranch_execnz .LBB41_8
	s_branch .LBB41_59
.LBB41_51:                              ;   in Loop: Header=BB41_11 Depth=1
	s_branch .LBB41_23
.LBB41_52:                              ;   in Loop: Header=BB41_11 Depth=1
	s_branch .LBB41_27
.LBB41_53:                              ;   in Loop: Header=BB41_11 Depth=1
	s_branch .LBB41_31
.LBB41_54:                              ;   in Loop: Header=BB41_11 Depth=1
	s_branch .LBB41_35
.LBB41_55:                              ;   in Loop: Header=BB41_11 Depth=1
	s_branch .LBB41_39
.LBB41_56:                              ;   in Loop: Header=BB41_11 Depth=1
	s_branch .LBB41_43
.LBB41_57:                              ;   in Loop: Header=BB41_11 Depth=1
	s_branch .LBB41_47
.LBB41_58:                              ;   in Loop: Header=BB41_11 Depth=1
                                        ; implicit-def: $sgpr38
.LBB41_59:                              ;   in Loop: Header=BB41_11 Depth=1
	ds_read_b32 v3, v35 offset:56
	v_lshlrev_b32_e32 v4, 2, v0
	v_lshl_add_u64 v[26:27], v[26:27], 0, v[4:5]
	s_mov_b32 s38, 1
	s_waitcnt lgkmcnt(0)
	global_store_dword v[26:27], v3, off offset:56
	s_branch .LBB41_8
.LBB41_60:
	s_endpgm
	.section	.rodata,"a",@progbits
	.p2align	6, 0x0
	.amdhsa_kernel _ZN9rocsparseL42csr2bsr_wavefront_per_row_multipass_kernelILj256ELj32ELj16EfiiEEv20rocsparse_direction_T4_S2_S2_S2_S2_21rocsparse_index_base_PKT2_PKT3_PKS2_S3_PS4_PS7_PS2_
		.amdhsa_group_segment_fixed_size 8200
		.amdhsa_private_segment_fixed_size 0
		.amdhsa_kernarg_size 88
		.amdhsa_user_sgpr_count 2
		.amdhsa_user_sgpr_dispatch_ptr 0
		.amdhsa_user_sgpr_queue_ptr 0
		.amdhsa_user_sgpr_kernarg_segment_ptr 1
		.amdhsa_user_sgpr_dispatch_id 0
		.amdhsa_user_sgpr_kernarg_preload_length 0
		.amdhsa_user_sgpr_kernarg_preload_offset 0
		.amdhsa_user_sgpr_private_segment_size 0
		.amdhsa_uses_dynamic_stack 0
		.amdhsa_enable_private_segment 0
		.amdhsa_system_sgpr_workgroup_id_x 1
		.amdhsa_system_sgpr_workgroup_id_y 0
		.amdhsa_system_sgpr_workgroup_id_z 0
		.amdhsa_system_sgpr_workgroup_info 0
		.amdhsa_system_vgpr_workitem_id 0
		.amdhsa_next_free_vgpr 44
		.amdhsa_next_free_sgpr 43
		.amdhsa_accum_offset 44
		.amdhsa_reserve_vcc 1
		.amdhsa_float_round_mode_32 0
		.amdhsa_float_round_mode_16_64 0
		.amdhsa_float_denorm_mode_32 3
		.amdhsa_float_denorm_mode_16_64 3
		.amdhsa_dx10_clamp 1
		.amdhsa_ieee_mode 1
		.amdhsa_fp16_overflow 0
		.amdhsa_tg_split 0
		.amdhsa_exception_fp_ieee_invalid_op 0
		.amdhsa_exception_fp_denorm_src 0
		.amdhsa_exception_fp_ieee_div_zero 0
		.amdhsa_exception_fp_ieee_overflow 0
		.amdhsa_exception_fp_ieee_underflow 0
		.amdhsa_exception_fp_ieee_inexact 0
		.amdhsa_exception_int_div_zero 0
	.end_amdhsa_kernel
	.section	.text._ZN9rocsparseL42csr2bsr_wavefront_per_row_multipass_kernelILj256ELj32ELj16EfiiEEv20rocsparse_direction_T4_S2_S2_S2_S2_21rocsparse_index_base_PKT2_PKT3_PKS2_S3_PS4_PS7_PS2_,"axG",@progbits,_ZN9rocsparseL42csr2bsr_wavefront_per_row_multipass_kernelILj256ELj32ELj16EfiiEEv20rocsparse_direction_T4_S2_S2_S2_S2_21rocsparse_index_base_PKT2_PKT3_PKS2_S3_PS4_PS7_PS2_,comdat
.Lfunc_end41:
	.size	_ZN9rocsparseL42csr2bsr_wavefront_per_row_multipass_kernelILj256ELj32ELj16EfiiEEv20rocsparse_direction_T4_S2_S2_S2_S2_21rocsparse_index_base_PKT2_PKT3_PKS2_S3_PS4_PS7_PS2_, .Lfunc_end41-_ZN9rocsparseL42csr2bsr_wavefront_per_row_multipass_kernelILj256ELj32ELj16EfiiEEv20rocsparse_direction_T4_S2_S2_S2_S2_21rocsparse_index_base_PKT2_PKT3_PKS2_S3_PS4_PS7_PS2_
                                        ; -- End function
	.section	.AMDGPU.csdata,"",@progbits
; Kernel info:
; codeLenInByte = 1988
; NumSgprs: 49
; NumVgprs: 44
; NumAgprs: 0
; TotalNumVgprs: 44
; ScratchSize: 0
; MemoryBound: 0
; FloatMode: 240
; IeeeMode: 1
; LDSByteSize: 8200 bytes/workgroup (compile time only)
; SGPRBlocks: 6
; VGPRBlocks: 5
; NumSGPRsForWavesPerEU: 49
; NumVGPRsForWavesPerEU: 44
; AccumOffset: 44
; Occupancy: 7
; WaveLimiterHint : 0
; COMPUTE_PGM_RSRC2:SCRATCH_EN: 0
; COMPUTE_PGM_RSRC2:USER_SGPR: 2
; COMPUTE_PGM_RSRC2:TRAP_HANDLER: 0
; COMPUTE_PGM_RSRC2:TGID_X_EN: 1
; COMPUTE_PGM_RSRC2:TGID_Y_EN: 0
; COMPUTE_PGM_RSRC2:TGID_Z_EN: 0
; COMPUTE_PGM_RSRC2:TIDIG_COMP_CNT: 0
; COMPUTE_PGM_RSRC3_GFX90A:ACCUM_OFFSET: 10
; COMPUTE_PGM_RSRC3_GFX90A:TG_SPLIT: 0
	.section	.text._ZN9rocsparseL38csr2bsr_block_per_row_multipass_kernelILj256ELj32EfiiEEv20rocsparse_direction_T3_S2_S2_S2_S2_21rocsparse_index_base_PKT1_PKT2_PKS2_S3_PS4_PS7_PS2_,"axG",@progbits,_ZN9rocsparseL38csr2bsr_block_per_row_multipass_kernelILj256ELj32EfiiEEv20rocsparse_direction_T3_S2_S2_S2_S2_21rocsparse_index_base_PKT1_PKT2_PKS2_S3_PS4_PS7_PS2_,comdat
	.globl	_ZN9rocsparseL38csr2bsr_block_per_row_multipass_kernelILj256ELj32EfiiEEv20rocsparse_direction_T3_S2_S2_S2_S2_21rocsparse_index_base_PKT1_PKT2_PKS2_S3_PS4_PS7_PS2_ ; -- Begin function _ZN9rocsparseL38csr2bsr_block_per_row_multipass_kernelILj256ELj32EfiiEEv20rocsparse_direction_T3_S2_S2_S2_S2_21rocsparse_index_base_PKT1_PKT2_PKS2_S3_PS4_PS7_PS2_
	.p2align	8
	.type	_ZN9rocsparseL38csr2bsr_block_per_row_multipass_kernelILj256ELj32EfiiEEv20rocsparse_direction_T3_S2_S2_S2_S2_21rocsparse_index_base_PKT1_PKT2_PKS2_S3_PS4_PS7_PS2_,@function
_ZN9rocsparseL38csr2bsr_block_per_row_multipass_kernelILj256ELj32EfiiEEv20rocsparse_direction_T3_S2_S2_S2_S2_21rocsparse_index_base_PKT1_PKT2_PKS2_S3_PS4_PS7_PS2_: ; @_ZN9rocsparseL38csr2bsr_block_per_row_multipass_kernelILj256ELj32EfiiEEv20rocsparse_direction_T3_S2_S2_S2_S2_21rocsparse_index_base_PKT1_PKT2_PKS2_S3_PS4_PS7_PS2_
; %bb.0:
	s_load_dwordx4 s[20:23], s[0:1], 0x10
	s_load_dwordx2 s[6:7], s[0:1], 0x0
	s_load_dwordx2 s[8:9], s[0:1], 0x28
	v_lshrrev_b32_e32 v1, 3, v0
	v_mov_b32_e32 v16, 0
	s_waitcnt lgkmcnt(0)
	s_mul_i32 s3, s2, s21
	v_add_u32_e32 v2, s3, v1
	v_cmp_gt_i32_e64 s[4:5], s7, v2
	v_cmp_gt_i32_e32 vcc, s21, v1
	s_and_b64 s[4:5], vcc, s[4:5]
	v_mov_b32_e32 v25, 0
	s_and_saveexec_b64 s[10:11], s[4:5]
	s_cbranch_execnz .LBB42_3
; %bb.1:
	s_or_b64 exec, exec, s[10:11]
	s_and_saveexec_b64 s[10:11], s[4:5]
	s_cbranch_execnz .LBB42_4
.LBB42_2:
	s_or_b64 exec, exec, s[10:11]
	s_cmp_lt_i32 s20, 1
	s_cbranch_scc0 .LBB42_5
	s_branch .LBB42_41
.LBB42_3:
	v_ashrrev_i32_e32 v3, 31, v2
	v_lshl_add_u64 v[4:5], v[2:3], 2, s[8:9]
	global_load_dword v3, v[4:5], off
	s_waitcnt vmcnt(0)
	v_subrev_u32_e32 v25, s22, v3
	s_or_b64 exec, exec, s[10:11]
	s_and_saveexec_b64 s[10:11], s[4:5]
	s_cbranch_execz .LBB42_2
.LBB42_4:
	v_ashrrev_i32_e32 v3, 31, v2
	v_lshl_add_u64 v[2:3], v[2:3], 2, s[8:9]
	global_load_dword v2, v[2:3], off offset:4
	s_waitcnt vmcnt(0)
	v_subrev_u32_e32 v16, s22, v2
	s_or_b64 exec, exec, s[10:11]
	s_cmp_lt_i32 s20, 1
	s_cbranch_scc1 .LBB42_41
.LBB42_5:
	s_load_dwordx4 s[8:11], s[0:1], 0x40
	s_load_dwordx2 s[24:25], s[0:1], 0x50
	s_load_dword s23, s[0:1], 0x38
	s_ashr_i32 s3, s2, 31
	s_lshl_b64 s[2:3], s[2:3], 2
	s_waitcnt lgkmcnt(0)
	s_add_u32 s2, s10, s2
	s_addc_u32 s3, s11, s3
	s_load_dword s4, s[2:3], 0x0
	s_load_dwordx2 s[26:27], s[0:1], 0x20
	s_load_dwordx2 s[28:29], s[0:1], 0x30
	v_mbcnt_lo_u32_b32 v2, -1, 0
	v_mbcnt_hi_u32_b32 v2, -1, v2
	s_waitcnt lgkmcnt(0)
	s_sub_i32 s30, s4, s23
	s_cmp_eq_u32 s6, 0
	s_cselect_b64 s[0:1], -1, 0
	s_abs_i32 s49, s21
	v_cvt_f32_u32_e32 v10, s49
	v_lshl_or_b32 v20, v2, 2, 28
	v_lshlrev_b32_e32 v2, 2, v1
	v_mov_b32_e32 v3, 0
	v_and_b32_e32 v17, 7, v0
	v_lshlrev_b32_e32 v18, 5, v1
	v_lshl_add_u64 v[4:5], s[8:9], 0, v[2:3]
	v_mul_lo_u32 v2, v1, s21
	s_movk_i32 s2, 0x80
	v_lshl_add_u64 v[6:7], v[2:3], 2, s[8:9]
	v_lshlrev_b32_e32 v21, 2, v0
	v_cmp_gt_u32_e64 s[2:3], s2, v0
	v_cmp_gt_u32_e64 s[4:5], 64, v0
	;; [unrolled: 1-line block ×7, first 2 shown]
	v_cmp_eq_u32_e64 s[16:17], 0, v0
	v_or_b32_e32 v0, v18, v17
	v_rcp_iflag_f32_e32 v12, v10
	v_lshlrev_b32_e32 v22, 2, v0
	v_cmp_gt_u32_e64 s[18:19], s21, v17
	v_or_b32_e32 v0, 8, v17
	s_and_b64 s[34:35], vcc, s[18:19]
	v_cmp_gt_u32_e64 s[18:19], s21, v0
	v_or_b32_e32 v8, 16, v17
	s_and_b64 s[36:37], vcc, s[18:19]
	;; [unrolled: 3-line block ×3, first 2 shown]
	v_cmp_gt_u32_e64 s[18:19], s21, v11
	v_mul_f32_e32 v11, 0x4f7ffffe, v12
	v_cvt_u32_f32_e32 v12, v11
	v_lshlrev_b32_e32 v2, 2, v17
	v_lshl_add_u64 v[6:7], v[6:7], 0, v[2:3]
	v_mul_lo_u32 v2, v17, s21
	s_lshl_b32 s31, s21, 3
	s_and_b64 s[40:41], vcc, s[18:19]
	s_sub_i32 s18, 0, s49
	v_add_u32_e32 v0, s31, v2
	v_mul_lo_u32 v13, s18, v12
	v_add_u32_e32 v8, s31, v0
	v_mul_hi_u32 v13, v12, v13
	v_mov_b32_e32 v19, 0
	s_mul_hi_u32 s33, s21, s21
	s_mul_i32 s48, s21, s21
	v_mov_b32_e32 v1, v3
	v_mov_b32_e32 v9, v3
	v_add_u32_e32 v10, s31, v8
	v_mov_b32_e32 v11, v3
	s_ashr_i32 s50, s21, 31
	v_add_u32_e32 v23, v12, v13
	s_mov_b64 s[42:43], 0x60
	v_mov_b32_e32 v24, 1
	v_mov_b32_e32 v14, 0
	s_branch .LBB42_7
.LBB42_6:                               ;   in Loop: Header=BB42_7 Depth=1
	s_or_b64 exec, exec, s[18:19]
	s_waitcnt lgkmcnt(0)
	s_barrier
	ds_read_b32 v14, v3
	s_add_i32 s30, s31, s30
	s_waitcnt lgkmcnt(0)
	s_barrier
	v_cmp_gt_i32_e32 vcc, s20, v14
	s_cbranch_vccz .LBB42_41
.LBB42_7:                               ; =>This Loop Header: Depth=1
                                        ;     Child Loop BB42_10 Depth 2
	v_add_u32_e32 v12, v25, v17
	v_cmp_lt_i32_e32 vcc, v12, v16
	v_mov_b32_e32 v26, s20
	v_mov_b32_e32 v25, v16
	ds_write_b8 v3, v19 offset:4096
	ds_write2_b32 v22, v3, v3 offset1:8
	ds_write2_b32 v22, v3, v3 offset0:16 offset1:24
	s_waitcnt lgkmcnt(0)
	s_barrier
	s_and_saveexec_b64 s[44:45], vcc
	s_cbranch_execz .LBB42_15
; %bb.8:                                ;   in Loop: Header=BB42_7 Depth=1
	v_mul_lo_u32 v15, v14, s21
	s_mov_b64 s[46:47], 0
	v_mov_b32_e32 v26, s20
	v_mov_b32_e32 v25, v16
	s_branch .LBB42_10
.LBB42_9:                               ;   in Loop: Header=BB42_10 Depth=2
	s_or_b64 exec, exec, s[18:19]
	v_add_u32_e32 v12, 8, v12
	v_cmp_ge_i32_e64 s[18:19], v12, v16
	s_xor_b64 s[52:53], vcc, -1
	s_or_b64 s[18:19], s[52:53], s[18:19]
	s_and_b64 s[18:19], exec, s[18:19]
	s_or_b64 s[46:47], s[18:19], s[46:47]
	s_andn2_b64 exec, exec, s[46:47]
	s_cbranch_execz .LBB42_14
.LBB42_10:                              ;   Parent Loop BB42_7 Depth=1
                                        ; =>  This Inner Loop Header: Depth=2
	v_ashrrev_i32_e32 v13, 31, v12
	v_lshl_add_u64 v[28:29], v[12:13], 2, s[28:29]
	global_load_dword v27, v[28:29], off
	s_waitcnt vmcnt(0)
	v_subrev_u32_e32 v27, s22, v27
	v_sub_u32_e32 v29, 0, v27
	v_max_i32_e32 v29, v27, v29
	v_mul_hi_u32 v30, v29, v23
	v_mul_lo_u32 v31, v30, s49
	v_sub_u32_e32 v29, v29, v31
	v_add_u32_e32 v32, 1, v30
	v_cmp_le_u32_e32 vcc, s49, v29
	v_subrev_u32_e32 v31, s49, v29
	v_ashrrev_i32_e32 v28, 31, v27
	v_cndmask_b32_e32 v30, v30, v32, vcc
	v_cndmask_b32_e32 v29, v29, v31, vcc
	v_add_u32_e32 v31, 1, v30
	v_cmp_le_u32_e32 vcc, s49, v29
	v_xor_b32_e32 v28, s50, v28
	s_nop 0
	v_cndmask_b32_e32 v29, v30, v31, vcc
	v_xor_b32_e32 v29, v29, v28
	v_sub_u32_e32 v29, v29, v28
	v_cmp_eq_u32_e32 vcc, v29, v14
	v_cmp_ne_u32_e64 s[18:19], v29, v14
	v_mov_b32_e32 v28, v25
	s_and_saveexec_b64 s[52:53], s[18:19]
	s_xor_b64 s[18:19], exec, s[52:53]
; %bb.11:                               ;   in Loop: Header=BB42_10 Depth=2
	v_min_i32_e32 v26, v29, v26
                                        ; implicit-def: $vgpr27
                                        ; implicit-def: $vgpr28
; %bb.12:                               ;   in Loop: Header=BB42_10 Depth=2
	s_or_saveexec_b64 s[18:19], s[18:19]
	v_mov_b32_e32 v25, v12
	s_xor_b64 exec, exec, s[18:19]
	s_cbranch_execz .LBB42_9
; %bb.13:                               ;   in Loop: Header=BB42_10 Depth=2
	v_lshl_add_u64 v[30:31], v[12:13], 2, s[26:27]
	global_load_dword v13, v[30:31], off
	v_sub_u32_e32 v25, v27, v15
	v_add_lshl_u32 v25, v25, v18, 2
	ds_write_b8 v3, v24 offset:4096
	s_waitcnt vmcnt(0)
	ds_write_b32 v25, v13
	v_mov_b32_e32 v25, v28
	s_branch .LBB42_9
.LBB42_14:                              ;   in Loop: Header=BB42_7 Depth=1
	s_or_b64 exec, exec, s[46:47]
.LBB42_15:                              ;   in Loop: Header=BB42_7 Depth=1
	s_or_b64 exec, exec, s[44:45]
	v_mov_b32_dpp v12, v25 row_shr:1 row_mask:0xf bank_mask:0xf
	v_min_i32_e32 v12, v12, v25
	s_waitcnt lgkmcnt(0)
	s_barrier
	v_mov_b32_dpp v13, v12 row_shr:2 row_mask:0xf bank_mask:0xf
	v_min_i32_e32 v12, v13, v12
	ds_read_u8 v13, v3 offset:4096
	s_nop 0
	v_mov_b32_dpp v15, v12 row_shr:4 row_mask:0xf bank_mask:0xe
	v_min_i32_e32 v12, v15, v12
	ds_bpermute_b32 v25, v20, v12
	s_mov_b32 s31, 0
	s_waitcnt lgkmcnt(1)
	v_cmp_eq_u32_e32 vcc, 0, v13
	s_cbranch_vccnz .LBB42_22
; %bb.16:                               ;   in Loop: Header=BB42_7 Depth=1
	s_ashr_i32 s31, s30, 31
	s_lshl_b64 s[18:19], s[30:31], 2
	s_add_u32 s18, s24, s18
	v_add_u32_e32 v12, s23, v14
	s_addc_u32 s19, s25, s19
	global_store_dword v3, v12, s[18:19]
	s_mul_hi_u32 s18, s48, s30
	s_mul_i32 s19, s48, s31
	s_add_i32 s18, s18, s19
	s_mul_i32 s19, s33, s30
	s_add_i32 s19, s18, s19
	s_mul_i32 s18, s48, s30
	s_lshl_b64 s[18:19], s[18:19], 2
	v_lshl_add_u64 v[12:13], v[4:5], 0, s[18:19]
	v_lshl_add_u64 v[14:15], v[6:7], 0, s[18:19]
	s_and_saveexec_b64 s[18:19], s[34:35]
	s_cbranch_execnz .LBB42_38
; %bb.17:                               ;   in Loop: Header=BB42_7 Depth=1
	s_or_b64 exec, exec, s[18:19]
	s_and_saveexec_b64 s[18:19], s[36:37]
	s_cbranch_execnz .LBB42_39
.LBB42_18:                              ;   in Loop: Header=BB42_7 Depth=1
	s_or_b64 exec, exec, s[18:19]
	s_and_saveexec_b64 s[18:19], s[38:39]
	s_cbranch_execnz .LBB42_40
.LBB42_19:                              ;   in Loop: Header=BB42_7 Depth=1
	s_or_b64 exec, exec, s[18:19]
	s_and_saveexec_b64 s[18:19], s[40:41]
	s_cbranch_execz .LBB42_21
.LBB42_20:                              ;   in Loop: Header=BB42_7 Depth=1
	ds_read_b32 v27, v22 offset:96
	v_lshl_add_u64 v[14:15], v[14:15], 0, s[42:43]
	v_lshl_add_u64 v[12:13], v[10:11], 2, v[12:13]
	v_cndmask_b32_e64 v13, v13, v15, s[0:1]
	v_cndmask_b32_e64 v12, v12, v14, s[0:1]
	s_waitcnt lgkmcnt(0)
	global_store_dword v[12:13], v27, off
.LBB42_21:                              ;   in Loop: Header=BB42_7 Depth=1
	s_or_b64 exec, exec, s[18:19]
	s_mov_b32 s31, 1
.LBB42_22:                              ;   in Loop: Header=BB42_7 Depth=1
	s_waitcnt lgkmcnt(0)
	s_barrier
	ds_write_b32 v21, v26
	s_waitcnt lgkmcnt(0)
	s_barrier
	s_and_saveexec_b64 s[18:19], s[2:3]
	s_cbranch_execz .LBB42_24
; %bb.23:                               ;   in Loop: Header=BB42_7 Depth=1
	ds_read2st64_b32 v[12:13], v21 offset1:2
	s_waitcnt lgkmcnt(0)
	v_min_i32_e32 v12, v13, v12
	ds_write_b32 v21, v12
.LBB42_24:                              ;   in Loop: Header=BB42_7 Depth=1
	s_or_b64 exec, exec, s[18:19]
	s_waitcnt lgkmcnt(0)
	s_barrier
	s_and_saveexec_b64 s[18:19], s[4:5]
	s_cbranch_execz .LBB42_26
; %bb.25:                               ;   in Loop: Header=BB42_7 Depth=1
	ds_read2st64_b32 v[12:13], v21 offset1:1
	s_waitcnt lgkmcnt(0)
	v_min_i32_e32 v12, v13, v12
	ds_write_b32 v21, v12
.LBB42_26:                              ;   in Loop: Header=BB42_7 Depth=1
	s_or_b64 exec, exec, s[18:19]
	s_waitcnt lgkmcnt(0)
	s_barrier
	s_and_saveexec_b64 s[18:19], s[6:7]
	s_cbranch_execz .LBB42_28
; %bb.27:                               ;   in Loop: Header=BB42_7 Depth=1
	ds_read2_b32 v[12:13], v21 offset1:32
	s_waitcnt lgkmcnt(0)
	v_min_i32_e32 v12, v13, v12
	ds_write_b32 v21, v12
.LBB42_28:                              ;   in Loop: Header=BB42_7 Depth=1
	s_or_b64 exec, exec, s[18:19]
	s_waitcnt lgkmcnt(0)
	s_barrier
	s_and_saveexec_b64 s[18:19], s[8:9]
	s_cbranch_execz .LBB42_30
; %bb.29:                               ;   in Loop: Header=BB42_7 Depth=1
	ds_read2_b32 v[12:13], v21 offset1:16
	s_waitcnt lgkmcnt(0)
	v_min_i32_e32 v12, v13, v12
	ds_write_b32 v21, v12
.LBB42_30:                              ;   in Loop: Header=BB42_7 Depth=1
	;; [unrolled: 11-line block ×5, first 2 shown]
	s_or_b64 exec, exec, s[18:19]
	s_waitcnt lgkmcnt(0)
	s_barrier
	s_and_saveexec_b64 s[18:19], s[16:17]
	s_cbranch_execz .LBB42_6
; %bb.37:                               ;   in Loop: Header=BB42_7 Depth=1
	ds_read_b64 v[12:13], v3
	s_waitcnt lgkmcnt(0)
	v_min_i32_e32 v12, v13, v12
	ds_write_b32 v3, v12
	s_branch .LBB42_6
.LBB42_38:                              ;   in Loop: Header=BB42_7 Depth=1
	ds_read_b32 v27, v22
	v_lshl_add_u64 v[28:29], v[2:3], 2, v[12:13]
	v_cndmask_b32_e64 v29, v29, v15, s[0:1]
	v_cndmask_b32_e64 v28, v28, v14, s[0:1]
	s_waitcnt lgkmcnt(0)
	global_store_dword v[28:29], v27, off
	s_or_b64 exec, exec, s[18:19]
	s_and_saveexec_b64 s[18:19], s[36:37]
	s_cbranch_execz .LBB42_18
.LBB42_39:                              ;   in Loop: Header=BB42_7 Depth=1
	ds_read_b32 v27, v22 offset:32
	v_lshl_add_u64 v[28:29], v[14:15], 0, 32
	v_lshl_add_u64 v[30:31], v[0:1], 2, v[12:13]
	v_cndmask_b32_e64 v29, v31, v29, s[0:1]
	v_cndmask_b32_e64 v28, v30, v28, s[0:1]
	s_waitcnt lgkmcnt(0)
	global_store_dword v[28:29], v27, off
	s_or_b64 exec, exec, s[18:19]
	s_and_saveexec_b64 s[18:19], s[38:39]
	s_cbranch_execz .LBB42_19
.LBB42_40:                              ;   in Loop: Header=BB42_7 Depth=1
	ds_read_b32 v27, v22 offset:64
	v_lshl_add_u64 v[28:29], v[14:15], 0, 64
	v_lshl_add_u64 v[30:31], v[8:9], 2, v[12:13]
	v_cndmask_b32_e64 v29, v31, v29, s[0:1]
	v_cndmask_b32_e64 v28, v30, v28, s[0:1]
	s_waitcnt lgkmcnt(0)
	global_store_dword v[28:29], v27, off
	s_or_b64 exec, exec, s[18:19]
	s_and_saveexec_b64 s[18:19], s[40:41]
	s_cbranch_execnz .LBB42_20
	s_branch .LBB42_21
.LBB42_41:
	s_endpgm
	.section	.rodata,"a",@progbits
	.p2align	6, 0x0
	.amdhsa_kernel _ZN9rocsparseL38csr2bsr_block_per_row_multipass_kernelILj256ELj32EfiiEEv20rocsparse_direction_T3_S2_S2_S2_S2_21rocsparse_index_base_PKT1_PKT2_PKS2_S3_PS4_PS7_PS2_
		.amdhsa_group_segment_fixed_size 4100
		.amdhsa_private_segment_fixed_size 0
		.amdhsa_kernarg_size 88
		.amdhsa_user_sgpr_count 2
		.amdhsa_user_sgpr_dispatch_ptr 0
		.amdhsa_user_sgpr_queue_ptr 0
		.amdhsa_user_sgpr_kernarg_segment_ptr 1
		.amdhsa_user_sgpr_dispatch_id 0
		.amdhsa_user_sgpr_kernarg_preload_length 0
		.amdhsa_user_sgpr_kernarg_preload_offset 0
		.amdhsa_user_sgpr_private_segment_size 0
		.amdhsa_uses_dynamic_stack 0
		.amdhsa_enable_private_segment 0
		.amdhsa_system_sgpr_workgroup_id_x 1
		.amdhsa_system_sgpr_workgroup_id_y 0
		.amdhsa_system_sgpr_workgroup_id_z 0
		.amdhsa_system_sgpr_workgroup_info 0
		.amdhsa_system_vgpr_workitem_id 0
		.amdhsa_next_free_vgpr 33
		.amdhsa_next_free_sgpr 54
		.amdhsa_accum_offset 36
		.amdhsa_reserve_vcc 1
		.amdhsa_float_round_mode_32 0
		.amdhsa_float_round_mode_16_64 0
		.amdhsa_float_denorm_mode_32 3
		.amdhsa_float_denorm_mode_16_64 3
		.amdhsa_dx10_clamp 1
		.amdhsa_ieee_mode 1
		.amdhsa_fp16_overflow 0
		.amdhsa_tg_split 0
		.amdhsa_exception_fp_ieee_invalid_op 0
		.amdhsa_exception_fp_denorm_src 0
		.amdhsa_exception_fp_ieee_div_zero 0
		.amdhsa_exception_fp_ieee_overflow 0
		.amdhsa_exception_fp_ieee_underflow 0
		.amdhsa_exception_fp_ieee_inexact 0
		.amdhsa_exception_int_div_zero 0
	.end_amdhsa_kernel
	.section	.text._ZN9rocsparseL38csr2bsr_block_per_row_multipass_kernelILj256ELj32EfiiEEv20rocsparse_direction_T3_S2_S2_S2_S2_21rocsparse_index_base_PKT1_PKT2_PKS2_S3_PS4_PS7_PS2_,"axG",@progbits,_ZN9rocsparseL38csr2bsr_block_per_row_multipass_kernelILj256ELj32EfiiEEv20rocsparse_direction_T3_S2_S2_S2_S2_21rocsparse_index_base_PKT1_PKT2_PKS2_S3_PS4_PS7_PS2_,comdat
.Lfunc_end42:
	.size	_ZN9rocsparseL38csr2bsr_block_per_row_multipass_kernelILj256ELj32EfiiEEv20rocsparse_direction_T3_S2_S2_S2_S2_21rocsparse_index_base_PKT1_PKT2_PKS2_S3_PS4_PS7_PS2_, .Lfunc_end42-_ZN9rocsparseL38csr2bsr_block_per_row_multipass_kernelILj256ELj32EfiiEEv20rocsparse_direction_T3_S2_S2_S2_S2_21rocsparse_index_base_PKT1_PKT2_PKS2_S3_PS4_PS7_PS2_
                                        ; -- End function
	.section	.AMDGPU.csdata,"",@progbits
; Kernel info:
; codeLenInByte = 1792
; NumSgprs: 60
; NumVgprs: 33
; NumAgprs: 0
; TotalNumVgprs: 33
; ScratchSize: 0
; MemoryBound: 0
; FloatMode: 240
; IeeeMode: 1
; LDSByteSize: 4100 bytes/workgroup (compile time only)
; SGPRBlocks: 7
; VGPRBlocks: 4
; NumSGPRsForWavesPerEU: 60
; NumVGPRsForWavesPerEU: 33
; AccumOffset: 36
; Occupancy: 8
; WaveLimiterHint : 0
; COMPUTE_PGM_RSRC2:SCRATCH_EN: 0
; COMPUTE_PGM_RSRC2:USER_SGPR: 2
; COMPUTE_PGM_RSRC2:TRAP_HANDLER: 0
; COMPUTE_PGM_RSRC2:TGID_X_EN: 1
; COMPUTE_PGM_RSRC2:TGID_Y_EN: 0
; COMPUTE_PGM_RSRC2:TGID_Z_EN: 0
; COMPUTE_PGM_RSRC2:TIDIG_COMP_CNT: 0
; COMPUTE_PGM_RSRC3_GFX90A:ACCUM_OFFSET: 8
; COMPUTE_PGM_RSRC3_GFX90A:TG_SPLIT: 0
	.section	.text._ZN9rocsparseL38csr2bsr_block_per_row_multipass_kernelILj256ELj64EfiiEEv20rocsparse_direction_T3_S2_S2_S2_S2_21rocsparse_index_base_PKT1_PKT2_PKS2_S3_PS4_PS7_PS2_,"axG",@progbits,_ZN9rocsparseL38csr2bsr_block_per_row_multipass_kernelILj256ELj64EfiiEEv20rocsparse_direction_T3_S2_S2_S2_S2_21rocsparse_index_base_PKT1_PKT2_PKS2_S3_PS4_PS7_PS2_,comdat
	.globl	_ZN9rocsparseL38csr2bsr_block_per_row_multipass_kernelILj256ELj64EfiiEEv20rocsparse_direction_T3_S2_S2_S2_S2_21rocsparse_index_base_PKT1_PKT2_PKS2_S3_PS4_PS7_PS2_ ; -- Begin function _ZN9rocsparseL38csr2bsr_block_per_row_multipass_kernelILj256ELj64EfiiEEv20rocsparse_direction_T3_S2_S2_S2_S2_21rocsparse_index_base_PKT1_PKT2_PKS2_S3_PS4_PS7_PS2_
	.p2align	8
	.type	_ZN9rocsparseL38csr2bsr_block_per_row_multipass_kernelILj256ELj64EfiiEEv20rocsparse_direction_T3_S2_S2_S2_S2_21rocsparse_index_base_PKT1_PKT2_PKS2_S3_PS4_PS7_PS2_,@function
_ZN9rocsparseL38csr2bsr_block_per_row_multipass_kernelILj256ELj64EfiiEEv20rocsparse_direction_T3_S2_S2_S2_S2_21rocsparse_index_base_PKT1_PKT2_PKS2_S3_PS4_PS7_PS2_: ; @_ZN9rocsparseL38csr2bsr_block_per_row_multipass_kernelILj256ELj64EfiiEEv20rocsparse_direction_T3_S2_S2_S2_S2_21rocsparse_index_base_PKT1_PKT2_PKS2_S3_PS4_PS7_PS2_
; %bb.0:
	s_load_dwordx4 s[20:23], s[0:1], 0x10
	s_load_dwordx2 s[6:7], s[0:1], 0x0
	s_load_dwordx2 s[8:9], s[0:1], 0x28
	v_lshrrev_b32_e32 v1, 2, v0
	v_mov_b32_e32 v40, 0
	s_waitcnt lgkmcnt(0)
	s_mul_i32 s3, s2, s21
	v_add_u32_e32 v2, s3, v1
	v_cmp_gt_i32_e64 s[4:5], s7, v2
	v_cmp_gt_i32_e32 vcc, s21, v1
	s_and_b64 s[4:5], vcc, s[4:5]
	v_mov_b32_e32 v47, 0
	s_and_saveexec_b64 s[10:11], s[4:5]
	s_cbranch_execnz .LBB43_3
; %bb.1:
	s_or_b64 exec, exec, s[10:11]
	s_and_saveexec_b64 s[10:11], s[4:5]
	s_cbranch_execnz .LBB43_4
.LBB43_2:
	s_or_b64 exec, exec, s[10:11]
	s_cmp_lt_i32 s20, 1
	s_cbranch_scc0 .LBB43_5
	s_branch .LBB43_65
.LBB43_3:
	v_ashrrev_i32_e32 v3, 31, v2
	v_lshl_add_u64 v[4:5], v[2:3], 2, s[8:9]
	global_load_dword v3, v[4:5], off
	s_waitcnt vmcnt(0)
	v_subrev_u32_e32 v47, s22, v3
	s_or_b64 exec, exec, s[10:11]
	s_and_saveexec_b64 s[10:11], s[4:5]
	s_cbranch_execz .LBB43_2
.LBB43_4:
	v_ashrrev_i32_e32 v3, 31, v2
	v_lshl_add_u64 v[2:3], v[2:3], 2, s[8:9]
	global_load_dword v2, v[2:3], off offset:4
	s_waitcnt vmcnt(0)
	v_subrev_u32_e32 v40, s22, v2
	s_or_b64 exec, exec, s[10:11]
	s_cmp_lt_i32 s20, 1
	s_cbranch_scc1 .LBB43_65
.LBB43_5:
	s_load_dwordx4 s[8:11], s[0:1], 0x40
	s_load_dwordx2 s[24:25], s[0:1], 0x50
	s_load_dword s23, s[0:1], 0x38
	s_ashr_i32 s3, s2, 31
	s_lshl_b64 s[2:3], s[2:3], 2
	s_waitcnt lgkmcnt(0)
	s_add_u32 s2, s10, s2
	s_addc_u32 s3, s11, s3
	s_load_dword s4, s[2:3], 0x0
	s_load_dwordx2 s[26:27], s[0:1], 0x20
	s_load_dwordx2 s[28:29], s[0:1], 0x30
	v_mbcnt_lo_u32_b32 v2, -1, 0
	v_mbcnt_hi_u32_b32 v2, -1, v2
	v_lshl_or_b32 v44, v2, 2, 12
	v_lshlrev_b32_e32 v2, 2, v1
	v_mov_b32_e32 v3, 0
	v_and_b32_e32 v41, 3, v0
	v_lshlrev_b32_e32 v42, 6, v1
	s_waitcnt lgkmcnt(0)
	s_sub_i32 s30, s4, s23
	v_lshl_add_u64 v[4:5], s[8:9], 0, v[2:3]
	v_mul_lo_u32 v2, v1, s21
	s_movk_i32 s2, 0x80
	s_cmp_eq_u32 s6, 0
	v_lshl_add_u64 v[6:7], v[2:3], 2, s[8:9]
	v_lshlrev_b32_e32 v45, 2, v0
	v_cmp_gt_u32_e64 s[2:3], s2, v0
	v_cmp_gt_u32_e64 s[4:5], 64, v0
	;; [unrolled: 1-line block ×7, first 2 shown]
	v_cmp_eq_u32_e64 s[16:17], 0, v0
	v_or_b32_e32 v0, v42, v41
	v_lshlrev_b32_e32 v46, 2, v0
	v_cmp_gt_u32_e64 s[18:19], s21, v41
	v_or_b32_e32 v0, 4, v41
	s_cselect_b64 s[0:1], -1, 0
	s_and_b64 s[34:35], vcc, s[18:19]
	v_cmp_gt_u32_e64 s[18:19], s21, v0
	v_or_b32_e32 v8, 8, v41
	s_and_b64 s[36:37], vcc, s[18:19]
	v_cmp_gt_u32_e64 s[18:19], s21, v8
	v_or_b32_e32 v10, 12, v41
	;; [unrolled: 3-line block ×5, first 2 shown]
	v_lshlrev_b32_e32 v2, 2, v41
	s_and_b64 s[44:45], vcc, s[18:19]
	v_cmp_gt_u32_e64 s[18:19], s21, v16
	v_or_b32_e32 v18, 28, v41
	s_abs_i32 s93, s21
	v_lshl_add_u64 v[6:7], v[6:7], 0, v[2:3]
	v_mul_lo_u32 v2, v41, s21
	s_lshl_b32 s31, s21, 2
	s_and_b64 s[46:47], vcc, s[18:19]
	v_cmp_gt_u32_e64 s[18:19], s21, v18
	v_or_b32_e32 v20, 32, v41
	v_cvt_f32_u32_e32 v34, s93
	v_add_u32_e32 v0, s31, v2
	s_and_b64 s[48:49], vcc, s[18:19]
	v_cmp_gt_u32_e64 s[18:19], s21, v20
	v_or_b32_e32 v22, 36, v41
	v_add_u32_e32 v8, s31, v0
	s_and_b64 s[50:51], vcc, s[18:19]
	v_cmp_gt_u32_e64 s[18:19], s21, v22
	v_or_b32_e32 v24, 40, v41
	;; [unrolled: 4-line block ×4, first 2 shown]
	v_rcp_iflag_f32_e32 v36, v34
	v_add_u32_e32 v14, s31, v12
	s_and_b64 s[56:57], vcc, s[18:19]
	v_cmp_gt_u32_e64 s[18:19], s21, v28
	v_or_b32_e32 v30, 52, v41
	v_add_u32_e32 v16, s31, v14
	s_and_b64 s[58:59], vcc, s[18:19]
	v_cmp_gt_u32_e64 s[18:19], s21, v30
	v_or_b32_e32 v32, 56, v41
	;; [unrolled: 4-line block ×3, first 2 shown]
	v_add_u32_e32 v20, s31, v18
	s_and_b64 s[62:63], vcc, s[18:19]
	v_cmp_gt_u32_e64 s[18:19], s21, v35
	v_mul_f32_e32 v35, 0x4f7ffffe, v36
	v_add_u32_e32 v22, s31, v20
	v_cvt_u32_f32_e32 v36, v35
	v_add_u32_e32 v24, s31, v22
	v_add_u32_e32 v26, s31, v24
	;; [unrolled: 1-line block ×3, first 2 shown]
	s_and_b64 s[64:65], vcc, s[18:19]
	s_sub_i32 s18, 0, s93
	v_add_u32_e32 v30, s31, v28
	v_mul_lo_u32 v37, s18, v36
	v_add_u32_e32 v32, s31, v30
	v_mul_hi_u32 v37, v36, v37
	v_mov_b32_e32 v43, 0
	s_mul_hi_u32 s33, s21, s21
	s_mul_i32 s92, s21, s21
	v_mov_b32_e32 v1, v3
	v_mov_b32_e32 v9, v3
	;; [unrolled: 1-line block ×14, first 2 shown]
	v_add_u32_e32 v34, s31, v32
	v_mov_b32_e32 v35, v3
	s_ashr_i32 s94, s21, 31
	v_add_u32_e32 v48, v36, v37
	s_mov_b64 s[66:67], 0x50
	s_mov_b64 s[68:69], 0x60
	;; [unrolled: 1-line block ×11, first 2 shown]
	v_mov_b32_e32 v49, 1
	v_mov_b32_e32 v38, 0
	s_branch .LBB43_7
.LBB43_6:                               ;   in Loop: Header=BB43_7 Depth=1
	s_or_b64 exec, exec, s[18:19]
	s_waitcnt lgkmcnt(0)
	s_barrier
	ds_read_b32 v38, v3
	s_add_i32 s30, s31, s30
	s_waitcnt lgkmcnt(0)
	s_barrier
	v_cmp_gt_i32_e32 vcc, s20, v38
	s_cbranch_vccz .LBB43_65
.LBB43_7:                               ; =>This Loop Header: Depth=1
                                        ;     Child Loop BB43_10 Depth 2
	v_add_u32_e32 v36, v47, v41
	v_cmp_lt_i32_e32 vcc, v36, v40
	v_mov_b32_e32 v50, s20
	v_mov_b32_e32 v47, v40
	ds_write_b8 v3, v43 offset:16384
	ds_write2_b32 v46, v3, v3 offset1:4
	ds_write2_b32 v46, v3, v3 offset0:8 offset1:12
	ds_write2_b32 v46, v3, v3 offset0:16 offset1:20
	;; [unrolled: 1-line block ×7, first 2 shown]
	s_waitcnt lgkmcnt(0)
	s_barrier
	s_and_saveexec_b64 s[88:89], vcc
	s_cbranch_execz .LBB43_15
; %bb.8:                                ;   in Loop: Header=BB43_7 Depth=1
	v_mul_lo_u32 v39, v38, s21
	s_mov_b64 s[90:91], 0
	v_mov_b32_e32 v50, s20
	v_mov_b32_e32 v47, v40
	s_branch .LBB43_10
.LBB43_9:                               ;   in Loop: Header=BB43_10 Depth=2
	s_or_b64 exec, exec, s[18:19]
	v_add_u32_e32 v36, 4, v36
	v_cmp_ge_i32_e64 s[18:19], v36, v40
	s_xor_b64 s[96:97], vcc, -1
	s_or_b64 s[18:19], s[96:97], s[18:19]
	s_and_b64 s[18:19], exec, s[18:19]
	s_or_b64 s[90:91], s[18:19], s[90:91]
	s_andn2_b64 exec, exec, s[90:91]
	s_cbranch_execz .LBB43_14
.LBB43_10:                              ;   Parent Loop BB43_7 Depth=1
                                        ; =>  This Inner Loop Header: Depth=2
	v_ashrrev_i32_e32 v37, 31, v36
	v_lshl_add_u64 v[52:53], v[36:37], 2, s[28:29]
	global_load_dword v51, v[52:53], off
	s_waitcnt vmcnt(0)
	v_subrev_u32_e32 v51, s22, v51
	v_sub_u32_e32 v53, 0, v51
	v_max_i32_e32 v53, v51, v53
	v_mul_hi_u32 v54, v53, v48
	v_mul_lo_u32 v55, v54, s93
	v_sub_u32_e32 v53, v53, v55
	v_add_u32_e32 v56, 1, v54
	v_cmp_le_u32_e32 vcc, s93, v53
	v_subrev_u32_e32 v55, s93, v53
	v_ashrrev_i32_e32 v52, 31, v51
	v_cndmask_b32_e32 v54, v54, v56, vcc
	v_cndmask_b32_e32 v53, v53, v55, vcc
	v_add_u32_e32 v55, 1, v54
	v_cmp_le_u32_e32 vcc, s93, v53
	v_xor_b32_e32 v52, s94, v52
	s_nop 0
	v_cndmask_b32_e32 v53, v54, v55, vcc
	v_xor_b32_e32 v53, v53, v52
	v_sub_u32_e32 v53, v53, v52
	v_cmp_eq_u32_e32 vcc, v53, v38
	v_cmp_ne_u32_e64 s[18:19], v53, v38
	v_mov_b32_e32 v52, v47
	s_and_saveexec_b64 s[96:97], s[18:19]
	s_xor_b64 s[18:19], exec, s[96:97]
; %bb.11:                               ;   in Loop: Header=BB43_10 Depth=2
	v_min_i32_e32 v50, v53, v50
                                        ; implicit-def: $vgpr51
                                        ; implicit-def: $vgpr52
; %bb.12:                               ;   in Loop: Header=BB43_10 Depth=2
	s_or_saveexec_b64 s[18:19], s[18:19]
	v_mov_b32_e32 v47, v36
	s_xor_b64 exec, exec, s[18:19]
	s_cbranch_execz .LBB43_9
; %bb.13:                               ;   in Loop: Header=BB43_10 Depth=2
	v_lshl_add_u64 v[54:55], v[36:37], 2, s[26:27]
	global_load_dword v37, v[54:55], off
	v_sub_u32_e32 v47, v51, v39
	v_add_lshl_u32 v47, v47, v42, 2
	ds_write_b8 v3, v49 offset:16384
	s_waitcnt vmcnt(0)
	ds_write_b32 v47, v37
	v_mov_b32_e32 v47, v52
	s_branch .LBB43_9
.LBB43_14:                              ;   in Loop: Header=BB43_7 Depth=1
	s_or_b64 exec, exec, s[90:91]
.LBB43_15:                              ;   in Loop: Header=BB43_7 Depth=1
	s_or_b64 exec, exec, s[88:89]
	v_mov_b32_dpp v36, v47 row_shr:1 row_mask:0xf bank_mask:0xf
	v_min_i32_e32 v36, v36, v47
	s_waitcnt lgkmcnt(0)
	s_barrier
	ds_read_u8 v37, v3 offset:16384
	v_mov_b32_dpp v39, v36 row_shr:2 row_mask:0xf bank_mask:0xf
	v_min_i32_e32 v36, v39, v36
	ds_bpermute_b32 v47, v44, v36
	s_mov_b32 s31, 0
	s_waitcnt lgkmcnt(1)
	v_cmp_eq_u32_e32 vcc, 0, v37
	s_cbranch_vccnz .LBB43_34
; %bb.16:                               ;   in Loop: Header=BB43_7 Depth=1
	s_ashr_i32 s31, s30, 31
	s_lshl_b64 s[18:19], s[30:31], 2
	s_add_u32 s18, s24, s18
	v_add_u32_e32 v36, s23, v38
	s_addc_u32 s19, s25, s19
	global_store_dword v3, v36, s[18:19]
	s_mul_hi_u32 s18, s92, s30
	s_mul_i32 s19, s92, s31
	s_add_i32 s18, s18, s19
	s_mul_i32 s19, s33, s30
	s_add_i32 s19, s18, s19
	s_mul_i32 s18, s92, s30
	s_lshl_b64 s[18:19], s[18:19], 2
	v_lshl_add_u64 v[36:37], v[4:5], 0, s[18:19]
	v_lshl_add_u64 v[38:39], v[6:7], 0, s[18:19]
	s_and_saveexec_b64 s[18:19], s[34:35]
	s_cbranch_execnz .LBB43_50
; %bb.17:                               ;   in Loop: Header=BB43_7 Depth=1
	s_or_b64 exec, exec, s[18:19]
	s_and_saveexec_b64 s[18:19], s[36:37]
	s_cbranch_execnz .LBB43_51
.LBB43_18:                              ;   in Loop: Header=BB43_7 Depth=1
	s_or_b64 exec, exec, s[18:19]
	s_and_saveexec_b64 s[18:19], s[38:39]
	s_cbranch_execnz .LBB43_52
.LBB43_19:                              ;   in Loop: Header=BB43_7 Depth=1
	s_or_b64 exec, exec, s[18:19]
	s_and_saveexec_b64 s[18:19], s[40:41]
	s_cbranch_execnz .LBB43_53
.LBB43_20:                              ;   in Loop: Header=BB43_7 Depth=1
	s_or_b64 exec, exec, s[18:19]
	s_and_saveexec_b64 s[18:19], s[42:43]
	s_cbranch_execnz .LBB43_54
.LBB43_21:                              ;   in Loop: Header=BB43_7 Depth=1
	s_or_b64 exec, exec, s[18:19]
	s_and_saveexec_b64 s[18:19], s[44:45]
	s_cbranch_execnz .LBB43_55
.LBB43_22:                              ;   in Loop: Header=BB43_7 Depth=1
	s_or_b64 exec, exec, s[18:19]
	s_and_saveexec_b64 s[18:19], s[46:47]
	s_cbranch_execnz .LBB43_56
.LBB43_23:                              ;   in Loop: Header=BB43_7 Depth=1
	s_or_b64 exec, exec, s[18:19]
	s_and_saveexec_b64 s[18:19], s[48:49]
	s_cbranch_execnz .LBB43_57
.LBB43_24:                              ;   in Loop: Header=BB43_7 Depth=1
	s_or_b64 exec, exec, s[18:19]
	s_and_saveexec_b64 s[18:19], s[50:51]
	s_cbranch_execnz .LBB43_58
.LBB43_25:                              ;   in Loop: Header=BB43_7 Depth=1
	s_or_b64 exec, exec, s[18:19]
	s_and_saveexec_b64 s[18:19], s[52:53]
	s_cbranch_execnz .LBB43_59
.LBB43_26:                              ;   in Loop: Header=BB43_7 Depth=1
	s_or_b64 exec, exec, s[18:19]
	s_and_saveexec_b64 s[18:19], s[54:55]
	s_cbranch_execnz .LBB43_60
.LBB43_27:                              ;   in Loop: Header=BB43_7 Depth=1
	s_or_b64 exec, exec, s[18:19]
	s_and_saveexec_b64 s[18:19], s[56:57]
	s_cbranch_execnz .LBB43_61
.LBB43_28:                              ;   in Loop: Header=BB43_7 Depth=1
	s_or_b64 exec, exec, s[18:19]
	s_and_saveexec_b64 s[18:19], s[58:59]
	s_cbranch_execnz .LBB43_62
.LBB43_29:                              ;   in Loop: Header=BB43_7 Depth=1
	s_or_b64 exec, exec, s[18:19]
	s_and_saveexec_b64 s[18:19], s[60:61]
	s_cbranch_execnz .LBB43_63
.LBB43_30:                              ;   in Loop: Header=BB43_7 Depth=1
	s_or_b64 exec, exec, s[18:19]
	s_and_saveexec_b64 s[18:19], s[62:63]
	s_cbranch_execnz .LBB43_64
.LBB43_31:                              ;   in Loop: Header=BB43_7 Depth=1
	s_or_b64 exec, exec, s[18:19]
	s_and_saveexec_b64 s[18:19], s[64:65]
	s_cbranch_execz .LBB43_33
.LBB43_32:                              ;   in Loop: Header=BB43_7 Depth=1
	ds_read_b32 v51, v46 offset:240
	v_lshl_add_u64 v[38:39], v[38:39], 0, s[86:87]
	v_lshl_add_u64 v[36:37], v[34:35], 2, v[36:37]
	v_cndmask_b32_e64 v37, v37, v39, s[0:1]
	v_cndmask_b32_e64 v36, v36, v38, s[0:1]
	s_waitcnt lgkmcnt(0)
	global_store_dword v[36:37], v51, off
.LBB43_33:                              ;   in Loop: Header=BB43_7 Depth=1
	s_or_b64 exec, exec, s[18:19]
	s_mov_b32 s31, 1
.LBB43_34:                              ;   in Loop: Header=BB43_7 Depth=1
	s_waitcnt lgkmcnt(0)
	s_barrier
	ds_write_b32 v45, v50
	s_waitcnt lgkmcnt(0)
	s_barrier
	s_and_saveexec_b64 s[18:19], s[2:3]
	s_cbranch_execz .LBB43_36
; %bb.35:                               ;   in Loop: Header=BB43_7 Depth=1
	ds_read2st64_b32 v[36:37], v45 offset1:2
	s_waitcnt lgkmcnt(0)
	v_min_i32_e32 v36, v37, v36
	ds_write_b32 v45, v36
.LBB43_36:                              ;   in Loop: Header=BB43_7 Depth=1
	s_or_b64 exec, exec, s[18:19]
	s_waitcnt lgkmcnt(0)
	s_barrier
	s_and_saveexec_b64 s[18:19], s[4:5]
	s_cbranch_execz .LBB43_38
; %bb.37:                               ;   in Loop: Header=BB43_7 Depth=1
	ds_read2st64_b32 v[36:37], v45 offset1:1
	s_waitcnt lgkmcnt(0)
	v_min_i32_e32 v36, v37, v36
	ds_write_b32 v45, v36
.LBB43_38:                              ;   in Loop: Header=BB43_7 Depth=1
	s_or_b64 exec, exec, s[18:19]
	s_waitcnt lgkmcnt(0)
	s_barrier
	s_and_saveexec_b64 s[18:19], s[6:7]
	s_cbranch_execz .LBB43_40
; %bb.39:                               ;   in Loop: Header=BB43_7 Depth=1
	ds_read2_b32 v[36:37], v45 offset1:32
	s_waitcnt lgkmcnt(0)
	v_min_i32_e32 v36, v37, v36
	ds_write_b32 v45, v36
.LBB43_40:                              ;   in Loop: Header=BB43_7 Depth=1
	s_or_b64 exec, exec, s[18:19]
	s_waitcnt lgkmcnt(0)
	s_barrier
	s_and_saveexec_b64 s[18:19], s[8:9]
	s_cbranch_execz .LBB43_42
; %bb.41:                               ;   in Loop: Header=BB43_7 Depth=1
	ds_read2_b32 v[36:37], v45 offset1:16
	s_waitcnt lgkmcnt(0)
	v_min_i32_e32 v36, v37, v36
	ds_write_b32 v45, v36
.LBB43_42:                              ;   in Loop: Header=BB43_7 Depth=1
	s_or_b64 exec, exec, s[18:19]
	s_waitcnt lgkmcnt(0)
	s_barrier
	s_and_saveexec_b64 s[18:19], s[10:11]
	s_cbranch_execz .LBB43_44
; %bb.43:                               ;   in Loop: Header=BB43_7 Depth=1
	ds_read2_b32 v[36:37], v45 offset1:8
	s_waitcnt lgkmcnt(0)
	v_min_i32_e32 v36, v37, v36
	ds_write_b32 v45, v36
.LBB43_44:                              ;   in Loop: Header=BB43_7 Depth=1
	s_or_b64 exec, exec, s[18:19]
	s_waitcnt lgkmcnt(0)
	s_barrier
	s_and_saveexec_b64 s[18:19], s[12:13]
	s_cbranch_execz .LBB43_46
; %bb.45:                               ;   in Loop: Header=BB43_7 Depth=1
	ds_read2_b32 v[36:37], v45 offset1:4
	s_waitcnt lgkmcnt(0)
	v_min_i32_e32 v36, v37, v36
	ds_write_b32 v45, v36
.LBB43_46:                              ;   in Loop: Header=BB43_7 Depth=1
	s_or_b64 exec, exec, s[18:19]
	s_waitcnt lgkmcnt(0)
	s_barrier
	s_and_saveexec_b64 s[18:19], s[14:15]
	s_cbranch_execz .LBB43_48
; %bb.47:                               ;   in Loop: Header=BB43_7 Depth=1
	ds_read2_b32 v[36:37], v45 offset1:2
	s_waitcnt lgkmcnt(0)
	v_min_i32_e32 v36, v37, v36
	ds_write_b32 v45, v36
.LBB43_48:                              ;   in Loop: Header=BB43_7 Depth=1
	s_or_b64 exec, exec, s[18:19]
	s_waitcnt lgkmcnt(0)
	s_barrier
	s_and_saveexec_b64 s[18:19], s[16:17]
	s_cbranch_execz .LBB43_6
; %bb.49:                               ;   in Loop: Header=BB43_7 Depth=1
	ds_read_b64 v[36:37], v3
	s_waitcnt lgkmcnt(0)
	v_min_i32_e32 v36, v37, v36
	ds_write_b32 v3, v36
	s_branch .LBB43_6
.LBB43_50:                              ;   in Loop: Header=BB43_7 Depth=1
	ds_read_b32 v51, v46
	v_lshl_add_u64 v[52:53], v[2:3], 2, v[36:37]
	v_cndmask_b32_e64 v53, v53, v39, s[0:1]
	v_cndmask_b32_e64 v52, v52, v38, s[0:1]
	s_waitcnt lgkmcnt(0)
	global_store_dword v[52:53], v51, off
	s_or_b64 exec, exec, s[18:19]
	s_and_saveexec_b64 s[18:19], s[36:37]
	s_cbranch_execz .LBB43_18
.LBB43_51:                              ;   in Loop: Header=BB43_7 Depth=1
	ds_read_b32 v51, v46 offset:16
	v_lshl_add_u64 v[52:53], v[38:39], 0, 16
	v_lshl_add_u64 v[54:55], v[0:1], 2, v[36:37]
	v_cndmask_b32_e64 v53, v55, v53, s[0:1]
	v_cndmask_b32_e64 v52, v54, v52, s[0:1]
	s_waitcnt lgkmcnt(0)
	global_store_dword v[52:53], v51, off
	s_or_b64 exec, exec, s[18:19]
	s_and_saveexec_b64 s[18:19], s[38:39]
	s_cbranch_execz .LBB43_19
.LBB43_52:                              ;   in Loop: Header=BB43_7 Depth=1
	ds_read_b32 v51, v46 offset:32
	v_lshl_add_u64 v[52:53], v[38:39], 0, 32
	v_lshl_add_u64 v[54:55], v[8:9], 2, v[36:37]
	v_cndmask_b32_e64 v53, v55, v53, s[0:1]
	v_cndmask_b32_e64 v52, v54, v52, s[0:1]
	s_waitcnt lgkmcnt(0)
	global_store_dword v[52:53], v51, off
	s_or_b64 exec, exec, s[18:19]
	s_and_saveexec_b64 s[18:19], s[40:41]
	s_cbranch_execz .LBB43_20
.LBB43_53:                              ;   in Loop: Header=BB43_7 Depth=1
	ds_read_b32 v51, v46 offset:48
	v_lshl_add_u64 v[52:53], v[38:39], 0, 48
	v_lshl_add_u64 v[54:55], v[10:11], 2, v[36:37]
	v_cndmask_b32_e64 v53, v55, v53, s[0:1]
	v_cndmask_b32_e64 v52, v54, v52, s[0:1]
	s_waitcnt lgkmcnt(0)
	global_store_dword v[52:53], v51, off
	s_or_b64 exec, exec, s[18:19]
	s_and_saveexec_b64 s[18:19], s[42:43]
	s_cbranch_execz .LBB43_21
.LBB43_54:                              ;   in Loop: Header=BB43_7 Depth=1
	ds_read_b32 v51, v46 offset:64
	v_lshl_add_u64 v[52:53], v[38:39], 0, 64
	v_lshl_add_u64 v[54:55], v[12:13], 2, v[36:37]
	v_cndmask_b32_e64 v53, v55, v53, s[0:1]
	v_cndmask_b32_e64 v52, v54, v52, s[0:1]
	s_waitcnt lgkmcnt(0)
	global_store_dword v[52:53], v51, off
	s_or_b64 exec, exec, s[18:19]
	s_and_saveexec_b64 s[18:19], s[44:45]
	s_cbranch_execz .LBB43_22
.LBB43_55:                              ;   in Loop: Header=BB43_7 Depth=1
	ds_read_b32 v51, v46 offset:80
	v_lshl_add_u64 v[52:53], v[38:39], 0, s[66:67]
	v_lshl_add_u64 v[54:55], v[14:15], 2, v[36:37]
	v_cndmask_b32_e64 v53, v55, v53, s[0:1]
	v_cndmask_b32_e64 v52, v54, v52, s[0:1]
	s_waitcnt lgkmcnt(0)
	global_store_dword v[52:53], v51, off
	s_or_b64 exec, exec, s[18:19]
	s_and_saveexec_b64 s[18:19], s[46:47]
	s_cbranch_execz .LBB43_23
.LBB43_56:                              ;   in Loop: Header=BB43_7 Depth=1
	ds_read_b32 v51, v46 offset:96
	v_lshl_add_u64 v[52:53], v[38:39], 0, s[68:69]
	v_lshl_add_u64 v[54:55], v[16:17], 2, v[36:37]
	v_cndmask_b32_e64 v53, v55, v53, s[0:1]
	v_cndmask_b32_e64 v52, v54, v52, s[0:1]
	s_waitcnt lgkmcnt(0)
	global_store_dword v[52:53], v51, off
	s_or_b64 exec, exec, s[18:19]
	s_and_saveexec_b64 s[18:19], s[48:49]
	s_cbranch_execz .LBB43_24
.LBB43_57:                              ;   in Loop: Header=BB43_7 Depth=1
	ds_read_b32 v51, v46 offset:112
	v_lshl_add_u64 v[52:53], v[38:39], 0, s[70:71]
	v_lshl_add_u64 v[54:55], v[18:19], 2, v[36:37]
	v_cndmask_b32_e64 v53, v55, v53, s[0:1]
	v_cndmask_b32_e64 v52, v54, v52, s[0:1]
	s_waitcnt lgkmcnt(0)
	global_store_dword v[52:53], v51, off
	s_or_b64 exec, exec, s[18:19]
	s_and_saveexec_b64 s[18:19], s[50:51]
	s_cbranch_execz .LBB43_25
.LBB43_58:                              ;   in Loop: Header=BB43_7 Depth=1
	ds_read_b32 v51, v46 offset:128
	v_lshl_add_u64 v[52:53], v[38:39], 0, s[72:73]
	v_lshl_add_u64 v[54:55], v[20:21], 2, v[36:37]
	v_cndmask_b32_e64 v53, v55, v53, s[0:1]
	v_cndmask_b32_e64 v52, v54, v52, s[0:1]
	s_waitcnt lgkmcnt(0)
	global_store_dword v[52:53], v51, off
	s_or_b64 exec, exec, s[18:19]
	s_and_saveexec_b64 s[18:19], s[52:53]
	s_cbranch_execz .LBB43_26
.LBB43_59:                              ;   in Loop: Header=BB43_7 Depth=1
	ds_read_b32 v51, v46 offset:144
	v_lshl_add_u64 v[52:53], v[38:39], 0, s[74:75]
	v_lshl_add_u64 v[54:55], v[22:23], 2, v[36:37]
	v_cndmask_b32_e64 v53, v55, v53, s[0:1]
	v_cndmask_b32_e64 v52, v54, v52, s[0:1]
	s_waitcnt lgkmcnt(0)
	global_store_dword v[52:53], v51, off
	s_or_b64 exec, exec, s[18:19]
	s_and_saveexec_b64 s[18:19], s[54:55]
	s_cbranch_execz .LBB43_27
.LBB43_60:                              ;   in Loop: Header=BB43_7 Depth=1
	ds_read_b32 v51, v46 offset:160
	v_lshl_add_u64 v[52:53], v[38:39], 0, s[76:77]
	v_lshl_add_u64 v[54:55], v[24:25], 2, v[36:37]
	v_cndmask_b32_e64 v53, v55, v53, s[0:1]
	v_cndmask_b32_e64 v52, v54, v52, s[0:1]
	s_waitcnt lgkmcnt(0)
	global_store_dword v[52:53], v51, off
	s_or_b64 exec, exec, s[18:19]
	s_and_saveexec_b64 s[18:19], s[56:57]
	s_cbranch_execz .LBB43_28
.LBB43_61:                              ;   in Loop: Header=BB43_7 Depth=1
	ds_read_b32 v51, v46 offset:176
	v_lshl_add_u64 v[52:53], v[38:39], 0, s[78:79]
	v_lshl_add_u64 v[54:55], v[26:27], 2, v[36:37]
	v_cndmask_b32_e64 v53, v55, v53, s[0:1]
	v_cndmask_b32_e64 v52, v54, v52, s[0:1]
	s_waitcnt lgkmcnt(0)
	global_store_dword v[52:53], v51, off
	s_or_b64 exec, exec, s[18:19]
	s_and_saveexec_b64 s[18:19], s[58:59]
	s_cbranch_execz .LBB43_29
.LBB43_62:                              ;   in Loop: Header=BB43_7 Depth=1
	ds_read_b32 v51, v46 offset:192
	v_lshl_add_u64 v[52:53], v[38:39], 0, s[80:81]
	v_lshl_add_u64 v[54:55], v[28:29], 2, v[36:37]
	v_cndmask_b32_e64 v53, v55, v53, s[0:1]
	v_cndmask_b32_e64 v52, v54, v52, s[0:1]
	s_waitcnt lgkmcnt(0)
	global_store_dword v[52:53], v51, off
	s_or_b64 exec, exec, s[18:19]
	s_and_saveexec_b64 s[18:19], s[60:61]
	s_cbranch_execz .LBB43_30
.LBB43_63:                              ;   in Loop: Header=BB43_7 Depth=1
	ds_read_b32 v51, v46 offset:208
	v_lshl_add_u64 v[52:53], v[38:39], 0, s[82:83]
	v_lshl_add_u64 v[54:55], v[30:31], 2, v[36:37]
	v_cndmask_b32_e64 v53, v55, v53, s[0:1]
	v_cndmask_b32_e64 v52, v54, v52, s[0:1]
	s_waitcnt lgkmcnt(0)
	global_store_dword v[52:53], v51, off
	s_or_b64 exec, exec, s[18:19]
	s_and_saveexec_b64 s[18:19], s[62:63]
	s_cbranch_execz .LBB43_31
.LBB43_64:                              ;   in Loop: Header=BB43_7 Depth=1
	ds_read_b32 v51, v46 offset:224
	v_lshl_add_u64 v[52:53], v[38:39], 0, s[84:85]
	v_lshl_add_u64 v[54:55], v[32:33], 2, v[36:37]
	v_cndmask_b32_e64 v53, v55, v53, s[0:1]
	v_cndmask_b32_e64 v52, v54, v52, s[0:1]
	s_waitcnt lgkmcnt(0)
	global_store_dword v[52:53], v51, off
	s_or_b64 exec, exec, s[18:19]
	s_and_saveexec_b64 s[18:19], s[64:65]
	s_cbranch_execnz .LBB43_32
	s_branch .LBB43_33
.LBB43_65:
	s_endpgm
	.section	.rodata,"a",@progbits
	.p2align	6, 0x0
	.amdhsa_kernel _ZN9rocsparseL38csr2bsr_block_per_row_multipass_kernelILj256ELj64EfiiEEv20rocsparse_direction_T3_S2_S2_S2_S2_21rocsparse_index_base_PKT1_PKT2_PKS2_S3_PS4_PS7_PS2_
		.amdhsa_group_segment_fixed_size 16388
		.amdhsa_private_segment_fixed_size 0
		.amdhsa_kernarg_size 88
		.amdhsa_user_sgpr_count 2
		.amdhsa_user_sgpr_dispatch_ptr 0
		.amdhsa_user_sgpr_queue_ptr 0
		.amdhsa_user_sgpr_kernarg_segment_ptr 1
		.amdhsa_user_sgpr_dispatch_id 0
		.amdhsa_user_sgpr_kernarg_preload_length 0
		.amdhsa_user_sgpr_kernarg_preload_offset 0
		.amdhsa_user_sgpr_private_segment_size 0
		.amdhsa_uses_dynamic_stack 0
		.amdhsa_enable_private_segment 0
		.amdhsa_system_sgpr_workgroup_id_x 1
		.amdhsa_system_sgpr_workgroup_id_y 0
		.amdhsa_system_sgpr_workgroup_id_z 0
		.amdhsa_system_sgpr_workgroup_info 0
		.amdhsa_system_vgpr_workitem_id 0
		.amdhsa_next_free_vgpr 57
		.amdhsa_next_free_sgpr 98
		.amdhsa_accum_offset 60
		.amdhsa_reserve_vcc 1
		.amdhsa_float_round_mode_32 0
		.amdhsa_float_round_mode_16_64 0
		.amdhsa_float_denorm_mode_32 3
		.amdhsa_float_denorm_mode_16_64 3
		.amdhsa_dx10_clamp 1
		.amdhsa_ieee_mode 1
		.amdhsa_fp16_overflow 0
		.amdhsa_tg_split 0
		.amdhsa_exception_fp_ieee_invalid_op 0
		.amdhsa_exception_fp_denorm_src 0
		.amdhsa_exception_fp_ieee_div_zero 0
		.amdhsa_exception_fp_ieee_overflow 0
		.amdhsa_exception_fp_ieee_underflow 0
		.amdhsa_exception_fp_ieee_inexact 0
		.amdhsa_exception_int_div_zero 0
	.end_amdhsa_kernel
	.section	.text._ZN9rocsparseL38csr2bsr_block_per_row_multipass_kernelILj256ELj64EfiiEEv20rocsparse_direction_T3_S2_S2_S2_S2_21rocsparse_index_base_PKT1_PKT2_PKS2_S3_PS4_PS7_PS2_,"axG",@progbits,_ZN9rocsparseL38csr2bsr_block_per_row_multipass_kernelILj256ELj64EfiiEEv20rocsparse_direction_T3_S2_S2_S2_S2_21rocsparse_index_base_PKT1_PKT2_PKS2_S3_PS4_PS7_PS2_,comdat
.Lfunc_end43:
	.size	_ZN9rocsparseL38csr2bsr_block_per_row_multipass_kernelILj256ELj64EfiiEEv20rocsparse_direction_T3_S2_S2_S2_S2_21rocsparse_index_base_PKT1_PKT2_PKS2_S3_PS4_PS7_PS2_, .Lfunc_end43-_ZN9rocsparseL38csr2bsr_block_per_row_multipass_kernelILj256ELj64EfiiEEv20rocsparse_direction_T3_S2_S2_S2_S2_21rocsparse_index_base_PKT1_PKT2_PKS2_S3_PS4_PS7_PS2_
                                        ; -- End function
	.section	.AMDGPU.csdata,"",@progbits
; Kernel info:
; codeLenInByte = 3104
; NumSgprs: 104
; NumVgprs: 57
; NumAgprs: 0
; TotalNumVgprs: 57
; ScratchSize: 0
; MemoryBound: 0
; FloatMode: 240
; IeeeMode: 1
; LDSByteSize: 16388 bytes/workgroup (compile time only)
; SGPRBlocks: 12
; VGPRBlocks: 7
; NumSGPRsForWavesPerEU: 104
; NumVGPRsForWavesPerEU: 57
; AccumOffset: 60
; Occupancy: 3
; WaveLimiterHint : 0
; COMPUTE_PGM_RSRC2:SCRATCH_EN: 0
; COMPUTE_PGM_RSRC2:USER_SGPR: 2
; COMPUTE_PGM_RSRC2:TRAP_HANDLER: 0
; COMPUTE_PGM_RSRC2:TGID_X_EN: 1
; COMPUTE_PGM_RSRC2:TGID_Y_EN: 0
; COMPUTE_PGM_RSRC2:TGID_Z_EN: 0
; COMPUTE_PGM_RSRC2:TIDIG_COMP_CNT: 0
; COMPUTE_PGM_RSRC3_GFX90A:ACCUM_OFFSET: 14
; COMPUTE_PGM_RSRC3_GFX90A:TG_SPLIT: 0
	.section	.text._ZN9rocsparseL21csr2bsr_65_inf_kernelILj32EfiiEEv20rocsparse_direction_T2_S2_S2_S2_S2_S2_21rocsparse_index_base_PKT0_PKT1_PKS2_S3_PS4_PS7_PS2_SD_SE_SC_,"axG",@progbits,_ZN9rocsparseL21csr2bsr_65_inf_kernelILj32EfiiEEv20rocsparse_direction_T2_S2_S2_S2_S2_S2_21rocsparse_index_base_PKT0_PKT1_PKS2_S3_PS4_PS7_PS2_SD_SE_SC_,comdat
	.globl	_ZN9rocsparseL21csr2bsr_65_inf_kernelILj32EfiiEEv20rocsparse_direction_T2_S2_S2_S2_S2_S2_21rocsparse_index_base_PKT0_PKT1_PKS2_S3_PS4_PS7_PS2_SD_SE_SC_ ; -- Begin function _ZN9rocsparseL21csr2bsr_65_inf_kernelILj32EfiiEEv20rocsparse_direction_T2_S2_S2_S2_S2_S2_21rocsparse_index_base_PKT0_PKT1_PKS2_S3_PS4_PS7_PS2_SD_SE_SC_
	.p2align	8
	.type	_ZN9rocsparseL21csr2bsr_65_inf_kernelILj32EfiiEEv20rocsparse_direction_T2_S2_S2_S2_S2_S2_21rocsparse_index_base_PKT0_PKT1_PKS2_S3_PS4_PS7_PS2_SD_SE_SC_,@function
_ZN9rocsparseL21csr2bsr_65_inf_kernelILj32EfiiEEv20rocsparse_direction_T2_S2_S2_S2_S2_S2_21rocsparse_index_base_PKT0_PKT1_PKS2_S3_PS4_PS7_PS2_SD_SE_SC_: ; @_ZN9rocsparseL21csr2bsr_65_inf_kernelILj32EfiiEEv20rocsparse_direction_T2_S2_S2_S2_S2_S2_21rocsparse_index_base_PKT0_PKT1_PKS2_S3_PS4_PS7_PS2_SD_SE_SC_
; %bb.0:
	s_load_dwordx4 s[8:11], s[0:1], 0x0
	s_load_dwordx2 s[4:5], s[0:1], 0x58
	s_load_dword s33, s[0:1], 0x38
	s_mov_b32 s21, 0
	s_waitcnt lgkmcnt(0)
	s_cmp_ge_i32 s2, s11
	s_mov_b32 s11, 0
	s_cbranch_scc1 .LBB44_2
; %bb.1:
	s_load_dwordx2 s[6:7], s[0:1], 0x48
	s_ashr_i32 s3, s2, 31
	s_lshl_b64 s[12:13], s[2:3], 2
	s_waitcnt lgkmcnt(0)
	s_add_u32 s6, s6, s12
	s_addc_u32 s7, s7, s13
	s_load_dword s3, s[6:7], 0x0
	s_waitcnt lgkmcnt(0)
	s_sub_i32 s11, s3, s33
.LBB44_2:
	s_load_dwordx4 s[12:15], s[0:1], 0x14
	s_waitcnt lgkmcnt(0)
	s_mul_i32 s3, s2, s13
	s_lshl_b32 s20, s3, 6
	s_lshl_b64 s[6:7], s[20:21], 2
	s_add_u32 s22, s4, s6
	v_mul_lo_u32 v4, v0, s13
	s_addc_u32 s23, s5, s7
	s_lshl_b32 s20, s13, 5
	v_ashrrev_i32_e32 v5, 31, v4
	s_cmp_gt_i32 s13, 0
	s_cselect_b64 s[24:25], -1, 0
	s_cmp_lt_i32 s13, 1
	v_lshl_add_u64 v[2:3], v[4:5], 2, s[22:23]
	s_cbranch_scc1 .LBB44_7
; %bb.3:
	s_load_dwordx2 s[6:7], s[0:1], 0x28
	s_mul_i32 s3, s2, s12
	s_lshl_b64 s[16:17], s[20:21], 2
	v_mov_b32_e32 v1, 0
	v_mov_b32_e32 v12, v0
	v_mov_b64_e32 v[6:7], v[2:3]
	s_mov_b32 s15, s13
	s_branch .LBB44_5
.LBB44_4:                               ;   in Loop: Header=BB44_5 Depth=1
	s_or_b64 exec, exec, s[4:5]
	s_add_i32 s15, s15, -1
	v_lshl_add_u64 v[6:7], v[6:7], 0, 4
	s_cmp_eq_u32 s15, 0
	v_add_u32_e32 v12, 32, v12
	s_cbranch_scc1 .LBB44_7
.LBB44_5:                               ; =>This Inner Loop Header: Depth=1
	v_add_u32_e32 v10, s3, v12
	v_cmp_gt_i32_e32 vcc, s9, v10
	v_cmp_gt_u32_e64 s[4:5], s12, v12
	v_lshl_add_u64 v[8:9], v[6:7], 0, s[16:17]
	s_and_b64 s[18:19], s[4:5], vcc
	global_store_dword v[6:7], v1, off
	global_store_dword v[8:9], v1, off
	s_and_saveexec_b64 s[4:5], s[18:19]
	s_cbranch_execz .LBB44_4
; %bb.6:                                ;   in Loop: Header=BB44_5 Depth=1
	v_ashrrev_i32_e32 v11, 31, v10
	s_waitcnt lgkmcnt(0)
	v_lshl_add_u64 v[10:11], v[10:11], 2, s[6:7]
	global_load_dwordx2 v[10:11], v[10:11], off
	s_waitcnt vmcnt(0)
	v_subrev_u32_e32 v10, s14, v10
	v_subrev_u32_e32 v11, s14, v11
	global_store_dword v[6:7], v10, off
	global_store_dword v[8:9], v11, off
	s_branch .LBB44_4
.LBB44_7:
	s_cmp_lt_i32 s10, 1
	s_cbranch_scc1 .LBB44_37
; %bb.8:
	s_load_dwordx4 s[28:31], s[0:1], 0x60
	s_load_dwordx2 s[4:5], s[0:1], 0x20
	s_waitcnt lgkmcnt(0)
	s_load_dwordx2 s[6:7], s[0:1], 0x50
	s_load_dwordx2 s[16:17], s[0:1], 0x40
	;; [unrolled: 1-line block ×3, first 2 shown]
	s_lshl_b64 s[0:1], s[20:21], 2
	s_add_u32 s0, s22, s0
	s_addc_u32 s1, s23, s1
	v_lshlrev_b64 v[8:9], 2, v[4:5]
	s_mul_i32 s20, s20, s2
	s_mov_b32 s21, 0
	v_lshl_add_u64 v[4:5], s[0:1], 0, v[8:9]
	s_lshl_b64 s[0:1], s[20:21], 2
	s_add_u32 s2, s28, s0
	s_addc_u32 s3, s29, s1
	s_add_u32 s0, s30, s0
	s_addc_u32 s1, s31, s1
	s_cmp_lg_u32 s8, 0
	s_cselect_b64 s[8:9], -1, 0
	s_abs_i32 s15, s12
	v_cvt_f32_u32_e32 v1, s15
	v_mbcnt_lo_u32_b32 v11, -1, 0
	v_mbcnt_hi_u32_b32 v11, -1, v11
	v_mov_b32_e32 v12, 0x7c
	v_rcp_iflag_f32_e32 v13, v1
	v_lshl_or_b32 v1, v11, 2, v12
	v_lshl_add_u64 v[6:7], s[2:3], 0, v[8:9]
	s_sub_i32 s2, 0, s15
	v_mul_f32_e32 v11, 0x4f7ffffe, v13
	v_cvt_u32_f32_e32 v11, v11
	v_lshl_add_u64 v[8:9], s[0:1], 0, v[8:9]
	v_cmp_eq_u32_e64 s[0:1], 31, v0
	v_mov_b32_e32 v10, 0
	v_mul_lo_u32 v12, s2, v11
	v_mul_hi_u32 v12, v11, v12
	v_add_u32_e32 v24, v11, v12
	v_cndmask_b32_e64 v11, 0, 1, s[24:25]
	s_add_i32 s38, s11, -1
	s_mul_hi_i32 s39, s12, s12
	s_mul_i32 s40, s12, s12
	s_ashr_i32 s41, s12, 31
	v_mul_lo_u32 v25, v0, s12
	s_lshl_b32 s42, s12, 5
	s_mov_b64 s[22:23], 0
	v_cmp_ne_u32_e64 s[2:3], 1, v11
	v_mov_b32_e32 v11, 0
	v_mov_b32_e32 v26, 0
	;; [unrolled: 1-line block ×3, first 2 shown]
	s_branch .LBB44_10
.LBB44_9:                               ;   in Loop: Header=BB44_10 Depth=1
	s_waitcnt lgkmcnt(0)
	v_add_u32_e32 v10, 1, v28
	v_cmp_le_i32_e32 vcc, s10, v10
	s_or_b64 s[22:23], vcc, s[22:23]
	s_andn2_b64 exec, exec, s[22:23]
	s_cbranch_execz .LBB44_37
.LBB44_10:                              ; =>This Loop Header: Depth=1
                                        ;     Child Loop BB44_14 Depth 2
                                        ;       Child Loop BB44_17 Depth 3
                                        ;     Child Loop BB44_31 Depth 2
	s_and_b64 vcc, exec, s[2:3]
	v_mov_b32_e32 v28, s10
	s_cbranch_vccnz .LBB44_23
; %bb.11:                               ;   in Loop: Header=BB44_10 Depth=1
	s_mov_b32 s20, 0
	v_mov_b32_e32 v28, s10
	s_branch .LBB44_14
.LBB44_12:                              ;   in Loop: Header=BB44_14 Depth=2
	s_or_b64 exec, exec, s[26:27]
.LBB44_13:                              ;   in Loop: Header=BB44_14 Depth=2
	s_or_b64 exec, exec, s[24:25]
	s_add_i32 s20, s20, 1
	s_cmp_eq_u32 s20, s13
	s_cbranch_scc1 .LBB44_23
.LBB44_14:                              ;   Parent Loop BB44_10 Depth=1
                                        ; =>  This Loop Header: Depth=2
                                        ;       Child Loop BB44_17 Depth 3
	s_lshl_b64 s[24:25], s[20:21], 2
	v_lshl_add_u64 v[12:13], v[2:3], 0, s[24:25]
	v_lshl_add_u64 v[14:15], v[4:5], 0, s[24:25]
	global_load_dword v20, v[12:13], off
	global_load_dword v30, v[14:15], off
	v_lshl_add_u64 v[14:15], v[8:9], 0, s[24:25]
	v_lshl_add_u64 v[16:17], v[6:7], 0, s[24:25]
	v_mov_b32_e32 v18, s10
	global_store_dword v[14:15], v11, off
	global_store_dword v[16:17], v18, off
	s_waitcnt vmcnt(2)
	v_cmp_lt_i32_e32 vcc, v20, v30
	s_and_saveexec_b64 s[24:25], vcc
	s_cbranch_execz .LBB44_13
; %bb.15:                               ;   in Loop: Header=BB44_14 Depth=2
	v_ashrrev_i32_e32 v21, 31, v20
	s_waitcnt lgkmcnt(0)
	v_lshl_add_u64 v[22:23], v[20:21], 2, s[18:19]
	s_mov_b64 s[26:27], 0
                                        ; implicit-def: $sgpr28_sgpr29
                                        ; implicit-def: $sgpr34_sgpr35
                                        ; implicit-def: $sgpr30_sgpr31
	s_branch .LBB44_17
.LBB44_16:                              ;   in Loop: Header=BB44_17 Depth=3
	s_or_b64 exec, exec, s[36:37]
	s_and_b64 s[36:37], exec, s[34:35]
	s_or_b64 s[26:27], s[36:37], s[26:27]
	s_andn2_b64 s[28:29], s[28:29], exec
	s_and_b64 s[36:37], s[30:31], exec
	s_or_b64 s[28:29], s[28:29], s[36:37]
	s_andn2_b64 exec, exec, s[26:27]
	s_cbranch_execz .LBB44_19
.LBB44_17:                              ;   Parent Loop BB44_10 Depth=1
                                        ;     Parent Loop BB44_14 Depth=2
                                        ; =>    This Inner Loop Header: Depth=3
	global_load_dword v29, v[22:23], off
	v_mov_b64_e32 v[18:19], v[20:21]
	s_or_b64 s[30:31], s[30:31], exec
	s_or_b64 s[34:35], s[34:35], exec
                                        ; implicit-def: $vgpr20_vgpr21
	s_waitcnt vmcnt(0)
	v_subrev_u32_e32 v29, s14, v29
	v_cmp_lt_i32_e32 vcc, v29, v10
	s_and_saveexec_b64 s[36:37], vcc
	s_cbranch_execz .LBB44_16
; %bb.18:                               ;   in Loop: Header=BB44_17 Depth=3
	v_lshl_add_u64 v[20:21], v[18:19], 0, 1
	v_cmp_ge_i32_e32 vcc, v20, v30
	s_andn2_b64 s[34:35], s[34:35], exec
	s_and_b64 s[44:45], vcc, exec
	v_lshl_add_u64 v[22:23], v[22:23], 0, 4
	s_andn2_b64 s[30:31], s[30:31], exec
	s_or_b64 s[34:35], s[34:35], s[44:45]
	s_branch .LBB44_16
.LBB44_19:                              ;   in Loop: Header=BB44_14 Depth=2
	s_or_b64 exec, exec, s[26:27]
	s_xor_b64 s[26:27], s[28:29], -1
	v_lshl_add_u64 v[20:21], v[18:19], 2, s[4:5]
	s_and_saveexec_b64 s[28:29], s[26:27]
	s_xor_b64 s[26:27], exec, s[28:29]
	s_cbranch_execz .LBB44_21
; %bb.20:                               ;   in Loop: Header=BB44_14 Depth=2
	global_load_dword v12, v[20:21], off
                                        ; implicit-def: $vgpr20_vgpr21
	s_waitcnt vmcnt(0)
	global_store_dword v[14:15], v12, off
	global_store_dword v[16:17], v29, off
                                        ; implicit-def: $vgpr14_vgpr15
                                        ; implicit-def: $vgpr16_vgpr17
                                        ; implicit-def: $vgpr12_vgpr13
.LBB44_21:                              ;   in Loop: Header=BB44_14 Depth=2
	s_andn2_saveexec_b64 s[26:27], s[26:27]
	s_cbranch_execz .LBB44_12
; %bb.22:                               ;   in Loop: Header=BB44_14 Depth=2
	global_load_dword v19, v[20:21], off
	v_min_i32_e32 v28, v29, v28
	global_store_dword v[16:17], v29, off
	s_waitcnt vmcnt(1)
	global_store_dword v[14:15], v19, off
	global_store_dword v[12:13], v18, off
	s_branch .LBB44_12
.LBB44_23:                              ;   in Loop: Header=BB44_10 Depth=1
	s_nop 0
	v_mov_b32_dpp v10, v28 row_shr:1 row_mask:0xf bank_mask:0xf
	v_min_i32_e32 v10, v10, v28
	s_nop 1
	v_mov_b32_dpp v12, v10 row_shr:2 row_mask:0xf bank_mask:0xf
	v_min_i32_e32 v10, v12, v10
	;; [unrolled: 3-line block ×4, first 2 shown]
	s_nop 1
	v_mov_b32_dpp v12, v10 row_bcast:15 row_mask:0xa bank_mask:0xf
	v_min_i32_e32 v10, v12, v10
	v_cmp_gt_i32_e32 vcc, s10, v10
	s_and_b64 s[26:27], s[0:1], vcc
	s_and_saveexec_b64 s[24:25], s[26:27]
	s_cbranch_execz .LBB44_27
; %bb.24:                               ;   in Loop: Header=BB44_10 Depth=1
	v_sub_u32_e32 v13, 0, v10
	v_max_i32_e32 v13, v10, v13
	v_mul_hi_u32 v14, v13, v24
	v_mul_lo_u32 v15, v14, s15
	v_sub_u32_e32 v13, v13, v15
	v_add_u32_e32 v15, 1, v14
	v_cmp_le_u32_e32 vcc, s15, v13
	v_ashrrev_i32_e32 v12, 31, v10
	v_xor_b32_e32 v12, s41, v12
	v_cndmask_b32_e32 v14, v14, v15, vcc
	v_subrev_u32_e32 v15, s15, v13
	v_cndmask_b32_e32 v13, v13, v15, vcc
	v_add_u32_e32 v15, 1, v14
	v_cmp_le_u32_e32 vcc, s15, v13
	s_nop 1
	v_cndmask_b32_e32 v13, v14, v15, vcc
	v_xor_b32_e32 v13, v13, v12
	v_sub_u32_e32 v12, v13, v12
	v_cmp_ge_i32_e32 vcc, v12, v26
	s_and_saveexec_b64 s[26:27], vcc
	s_cbranch_execz .LBB44_26
; %bb.25:                               ;   in Loop: Header=BB44_10 Depth=1
	v_add_u32_e32 v14, s11, v27
	v_add_u32_e32 v13, 1, v27
	v_ashrrev_i32_e32 v15, 31, v14
	v_add_u32_e32 v26, 1, v12
	s_waitcnt lgkmcnt(0)
	v_lshl_add_u64 v[14:15], v[14:15], 2, s[6:7]
	v_add_u32_e32 v12, s33, v12
	v_mov_b32_e32 v27, v13
	global_store_dword v[14:15], v12, off
.LBB44_26:                              ;   in Loop: Header=BB44_10 Depth=1
	s_or_b64 exec, exec, s[26:27]
.LBB44_27:                              ;   in Loop: Header=BB44_10 Depth=1
	s_or_b64 exec, exec, s[24:25]
	ds_bpermute_b32 v28, v1, v10
	ds_bpermute_b32 v27, v1, v27
	s_and_b64 vcc, exec, s[2:3]
	s_cbranch_vccnz .LBB44_9
; %bb.28:                               ;   in Loop: Header=BB44_10 Depth=1
	s_waitcnt lgkmcnt(0)
	v_add_u32_e32 v10, s38, v27
	v_ashrrev_i32_e32 v12, 31, v10
	v_mul_lo_u32 v14, s40, v12
	v_mul_lo_u32 v15, s39, v10
	v_mad_u64_u32 v[12:13], s[24:25], s40, v10, 0
	v_add3_u32 v13, v13, v14, v15
	v_sub_u32_e32 v14, 0, v28
	v_max_i32_e32 v14, v28, v14
	v_mul_hi_u32 v15, v14, v24
	v_mul_lo_u32 v16, v15, s15
	v_sub_u32_e32 v14, v14, v16
	v_add_u32_e32 v16, 1, v15
	v_cmp_le_u32_e32 vcc, s15, v14
	v_ashrrev_i32_e32 v10, 31, v28
	v_xor_b32_e32 v10, s41, v10
	v_cndmask_b32_e32 v15, v15, v16, vcc
	v_subrev_u32_e32 v16, s15, v14
	v_cndmask_b32_e32 v14, v14, v16, vcc
	v_add_u32_e32 v16, 1, v15
	v_cmp_le_u32_e32 vcc, s15, v14
	v_lshl_add_u64 v[12:13], v[12:13], 2, s[16:17]
	s_mov_b32 s20, s13
	v_cndmask_b32_e32 v14, v15, v16, vcc
	v_xor_b32_e32 v14, v14, v10
	v_sub_u32_e32 v29, v14, v10
	v_mov_b64_e32 v[14:15], v[8:9]
	v_mov_b64_e32 v[16:17], v[6:7]
	v_mov_b32_e32 v18, v0
	v_mov_b32_e32 v10, v25
	s_branch .LBB44_31
.LBB44_29:                              ;   in Loop: Header=BB44_31 Depth=2
	v_lshl_add_u64 v[20:21], v[20:21], 2, v[12:13]
	v_lshl_add_u64 v[20:21], v[22:23], 2, v[20:21]
	s_waitcnt vmcnt(0)
	global_store_dword v[20:21], v32, off
.LBB44_30:                              ;   in Loop: Header=BB44_31 Depth=2
	s_or_b64 exec, exec, s[24:25]
	s_add_i32 s20, s20, -1
	v_add_u32_e32 v10, s42, v10
	v_add_u32_e32 v18, 32, v18
	v_lshl_add_u64 v[16:17], v[16:17], 0, 4
	s_cmp_eq_u32 s20, 0
	v_lshl_add_u64 v[14:15], v[14:15], 0, 4
	s_cbranch_scc1 .LBB44_9
.LBB44_31:                              ;   Parent Loop BB44_10 Depth=1
                                        ; =>  This Inner Loop Header: Depth=2
	global_load_dword v19, v[16:17], off
	s_waitcnt vmcnt(0)
	v_cmp_gt_i32_e32 vcc, s10, v19
	s_and_saveexec_b64 s[24:25], vcc
	s_cbranch_execz .LBB44_30
; %bb.32:                               ;   in Loop: Header=BB44_31 Depth=2
	v_sub_u32_e32 v21, 0, v19
	v_max_i32_e32 v21, v19, v21
	v_mul_hi_u32 v22, v21, v24
	v_mul_lo_u32 v23, v22, s15
	v_sub_u32_e32 v31, v21, v23
	v_add_u32_e32 v21, 1, v22
	v_cmp_le_u32_e32 vcc, s15, v31
	v_subrev_u32_e32 v33, s15, v31
	v_ashrrev_i32_e32 v30, 31, v19
	v_cndmask_b32_e32 v21, v22, v21, vcc
	v_cndmask_b32_e32 v22, v31, v33, vcc
	v_add_u32_e32 v23, 1, v21
	v_cmp_le_u32_e32 vcc, s15, v22
	v_xor_b32_e32 v20, s41, v30
	s_nop 0
	v_cndmask_b32_e32 v21, v21, v23, vcc
	v_xor_b32_e32 v21, v21, v20
	v_sub_u32_e32 v20, v21, v20
	v_cmp_eq_u32_e32 vcc, v20, v29
	s_and_b64 exec, exec, vcc
	s_cbranch_execz .LBB44_30
; %bb.33:                               ;   in Loop: Header=BB44_31 Depth=2
	global_load_dword v32, v[14:15], off
	s_and_b64 vcc, exec, s[8:9]
	s_cbranch_vccz .LBB44_35
; %bb.34:                               ;   in Loop: Header=BB44_31 Depth=2
	v_mul_lo_u32 v20, v29, s12
	v_sub_u32_e32 v19, v19, v20
	v_mul_lo_u32 v20, v19, s12
	v_mov_b32_e32 v19, v11
	v_ashrrev_i32_e32 v21, 31, v20
	v_mov_b64_e32 v[22:23], v[18:19]
	s_cbranch_execnz .LBB44_29
	s_branch .LBB44_36
.LBB44_35:                              ;   in Loop: Header=BB44_31 Depth=2
                                        ; implicit-def: $vgpr22_vgpr23
                                        ; implicit-def: $vgpr20_vgpr21
.LBB44_36:                              ;   in Loop: Header=BB44_31 Depth=2
	v_cmp_le_u32_e32 vcc, s15, v31
	s_nop 1
	v_cndmask_b32_e32 v19, v31, v33, vcc
	v_subrev_u32_e32 v20, s15, v19
	v_cmp_le_u32_e32 vcc, s15, v19
	s_nop 1
	v_cndmask_b32_e32 v19, v19, v20, vcc
	v_xor_b32_e32 v19, v19, v30
	v_sub_u32_e32 v22, v19, v30
	v_ashrrev_i32_e32 v23, 31, v22
	v_mov_b64_e32 v[20:21], v[10:11]
	s_branch .LBB44_29
.LBB44_37:
	s_endpgm
	.section	.rodata,"a",@progbits
	.p2align	6, 0x0
	.amdhsa_kernel _ZN9rocsparseL21csr2bsr_65_inf_kernelILj32EfiiEEv20rocsparse_direction_T2_S2_S2_S2_S2_S2_21rocsparse_index_base_PKT0_PKT1_PKS2_S3_PS4_PS7_PS2_SD_SE_SC_
		.amdhsa_group_segment_fixed_size 0
		.amdhsa_private_segment_fixed_size 0
		.amdhsa_kernarg_size 112
		.amdhsa_user_sgpr_count 2
		.amdhsa_user_sgpr_dispatch_ptr 0
		.amdhsa_user_sgpr_queue_ptr 0
		.amdhsa_user_sgpr_kernarg_segment_ptr 1
		.amdhsa_user_sgpr_dispatch_id 0
		.amdhsa_user_sgpr_kernarg_preload_length 0
		.amdhsa_user_sgpr_kernarg_preload_offset 0
		.amdhsa_user_sgpr_private_segment_size 0
		.amdhsa_uses_dynamic_stack 0
		.amdhsa_enable_private_segment 0
		.amdhsa_system_sgpr_workgroup_id_x 1
		.amdhsa_system_sgpr_workgroup_id_y 0
		.amdhsa_system_sgpr_workgroup_id_z 0
		.amdhsa_system_sgpr_workgroup_info 0
		.amdhsa_system_vgpr_workitem_id 0
		.amdhsa_next_free_vgpr 34
		.amdhsa_next_free_sgpr 46
		.amdhsa_accum_offset 36
		.amdhsa_reserve_vcc 1
		.amdhsa_float_round_mode_32 0
		.amdhsa_float_round_mode_16_64 0
		.amdhsa_float_denorm_mode_32 3
		.amdhsa_float_denorm_mode_16_64 3
		.amdhsa_dx10_clamp 1
		.amdhsa_ieee_mode 1
		.amdhsa_fp16_overflow 0
		.amdhsa_tg_split 0
		.amdhsa_exception_fp_ieee_invalid_op 0
		.amdhsa_exception_fp_denorm_src 0
		.amdhsa_exception_fp_ieee_div_zero 0
		.amdhsa_exception_fp_ieee_overflow 0
		.amdhsa_exception_fp_ieee_underflow 0
		.amdhsa_exception_fp_ieee_inexact 0
		.amdhsa_exception_int_div_zero 0
	.end_amdhsa_kernel
	.section	.text._ZN9rocsparseL21csr2bsr_65_inf_kernelILj32EfiiEEv20rocsparse_direction_T2_S2_S2_S2_S2_S2_21rocsparse_index_base_PKT0_PKT1_PKS2_S3_PS4_PS7_PS2_SD_SE_SC_,"axG",@progbits,_ZN9rocsparseL21csr2bsr_65_inf_kernelILj32EfiiEEv20rocsparse_direction_T2_S2_S2_S2_S2_S2_21rocsparse_index_base_PKT0_PKT1_PKS2_S3_PS4_PS7_PS2_SD_SE_SC_,comdat
.Lfunc_end44:
	.size	_ZN9rocsparseL21csr2bsr_65_inf_kernelILj32EfiiEEv20rocsparse_direction_T2_S2_S2_S2_S2_S2_21rocsparse_index_base_PKT0_PKT1_PKS2_S3_PS4_PS7_PS2_SD_SE_SC_, .Lfunc_end44-_ZN9rocsparseL21csr2bsr_65_inf_kernelILj32EfiiEEv20rocsparse_direction_T2_S2_S2_S2_S2_S2_21rocsparse_index_base_PKT0_PKT1_PKS2_S3_PS4_PS7_PS2_SD_SE_SC_
                                        ; -- End function
	.section	.AMDGPU.csdata,"",@progbits
; Kernel info:
; codeLenInByte = 1728
; NumSgprs: 52
; NumVgprs: 34
; NumAgprs: 0
; TotalNumVgprs: 34
; ScratchSize: 0
; MemoryBound: 0
; FloatMode: 240
; IeeeMode: 1
; LDSByteSize: 0 bytes/workgroup (compile time only)
; SGPRBlocks: 6
; VGPRBlocks: 4
; NumSGPRsForWavesPerEU: 52
; NumVGPRsForWavesPerEU: 34
; AccumOffset: 36
; Occupancy: 8
; WaveLimiterHint : 0
; COMPUTE_PGM_RSRC2:SCRATCH_EN: 0
; COMPUTE_PGM_RSRC2:USER_SGPR: 2
; COMPUTE_PGM_RSRC2:TRAP_HANDLER: 0
; COMPUTE_PGM_RSRC2:TGID_X_EN: 1
; COMPUTE_PGM_RSRC2:TGID_Y_EN: 0
; COMPUTE_PGM_RSRC2:TGID_Z_EN: 0
; COMPUTE_PGM_RSRC2:TIDIG_COMP_CNT: 0
; COMPUTE_PGM_RSRC3_GFX90A:ACCUM_OFFSET: 8
; COMPUTE_PGM_RSRC3_GFX90A:TG_SPLIT: 0
	.section	.text._ZN9rocsparseL35csr2bsr_block_dim_equals_one_kernelILj256EfliEEvT2_S1_S1_S1_21rocsparse_index_base_PKT0_PKT1_PKS1_S2_PS3_PS6_PS1_,"axG",@progbits,_ZN9rocsparseL35csr2bsr_block_dim_equals_one_kernelILj256EfliEEvT2_S1_S1_S1_21rocsparse_index_base_PKT0_PKT1_PKS1_S2_PS3_PS6_PS1_,comdat
	.globl	_ZN9rocsparseL35csr2bsr_block_dim_equals_one_kernelILj256EfliEEvT2_S1_S1_S1_21rocsparse_index_base_PKT0_PKT1_PKS1_S2_PS3_PS6_PS1_ ; -- Begin function _ZN9rocsparseL35csr2bsr_block_dim_equals_one_kernelILj256EfliEEvT2_S1_S1_S1_21rocsparse_index_base_PKT0_PKT1_PKS1_S2_PS3_PS6_PS1_
	.p2align	8
	.type	_ZN9rocsparseL35csr2bsr_block_dim_equals_one_kernelILj256EfliEEvT2_S1_S1_S1_21rocsparse_index_base_PKT0_PKT1_PKS1_S2_PS3_PS6_PS1_,@function
_ZN9rocsparseL35csr2bsr_block_dim_equals_one_kernelILj256EfliEEvT2_S1_S1_S1_21rocsparse_index_base_PKT0_PKT1_PKS1_S2_PS3_PS6_PS1_: ; @_ZN9rocsparseL35csr2bsr_block_dim_equals_one_kernelILj256EfliEEvT2_S1_S1_S1_21rocsparse_index_base_PKT0_PKT1_PKS1_S2_PS3_PS6_PS1_
; %bb.0:
	s_load_dword s8, s[0:1], 0x0
	s_load_dwordx4 s[4:7], s[0:1], 0x18
	v_lshl_or_b32 v0, s2, 8, v0
	v_ashrrev_i32_e32 v1, 31, v0
	s_waitcnt lgkmcnt(0)
	s_ashr_i32 s9, s8, 31
	s_lshl_b64 s[8:9], s[8:9], 3
	s_add_u32 s8, s6, s8
	s_addc_u32 s9, s7, s9
	s_load_dwordx2 s[10:11], s[8:9], 0x0
	s_load_dwordx2 s[12:13], s[6:7], 0x0
	s_waitcnt lgkmcnt(0)
	s_sub_u32 s2, s10, s12
	s_subb_u32 s3, s11, s13
	v_cmp_gt_i64_e32 vcc, s[2:3], v[0:1]
	s_and_saveexec_b64 s[6:7], vcc
	s_cbranch_execz .LBB45_3
; %bb.1:
	s_load_dword s12, s[0:1], 0x30
	s_load_dwordx2 s[6:7], s[0:1], 0x38
	s_load_dword s13, s[0:1], 0x10
	s_load_dword s14, s[0:1], 0x50
	s_load_dwordx2 s[8:9], s[0:1], 0x28
	s_load_dwordx2 s[10:11], s[0:1], 0x48
	s_mov_b32 s1, 0
	s_waitcnt lgkmcnt(0)
	s_sub_i32 s16, s12, s13
	s_lshl_b32 s0, s14, 8
	v_lshlrev_b64 v[2:3], 2, v[0:1]
	s_lshl_b64 s[12:13], s[0:1], 2
	s_mov_b64 s[14:15], 0
.LBB45_2:                               ; =>This Inner Loop Header: Depth=1
	v_lshl_add_u64 v[4:5], s[8:9], 0, v[2:3]
	v_lshl_add_u64 v[6:7], s[4:5], 0, v[2:3]
	global_load_dword v8, v[4:5], off
	global_load_dword v9, v[6:7], off
	v_lshl_add_u64 v[0:1], v[0:1], 0, s[0:1]
	v_cmp_le_i64_e32 vcc, s[2:3], v[0:1]
	v_lshl_add_u64 v[4:5], s[10:11], 0, v[2:3]
	v_lshl_add_u64 v[6:7], s[6:7], 0, v[2:3]
	;; [unrolled: 1-line block ×3, first 2 shown]
	s_or_b64 s[14:15], vcc, s[14:15]
	s_waitcnt vmcnt(1)
	v_add_u32_e32 v8, s16, v8
	s_waitcnt vmcnt(0)
	global_store_dword v[6:7], v9, off
	global_store_dword v[4:5], v8, off
	s_andn2_b64 exec, exec, s[14:15]
	s_cbranch_execnz .LBB45_2
.LBB45_3:
	s_endpgm
	.section	.rodata,"a",@progbits
	.p2align	6, 0x0
	.amdhsa_kernel _ZN9rocsparseL35csr2bsr_block_dim_equals_one_kernelILj256EfliEEvT2_S1_S1_S1_21rocsparse_index_base_PKT0_PKT1_PKS1_S2_PS3_PS6_PS1_
		.amdhsa_group_segment_fixed_size 0
		.amdhsa_private_segment_fixed_size 0
		.amdhsa_kernarg_size 336
		.amdhsa_user_sgpr_count 2
		.amdhsa_user_sgpr_dispatch_ptr 0
		.amdhsa_user_sgpr_queue_ptr 0
		.amdhsa_user_sgpr_kernarg_segment_ptr 1
		.amdhsa_user_sgpr_dispatch_id 0
		.amdhsa_user_sgpr_kernarg_preload_length 0
		.amdhsa_user_sgpr_kernarg_preload_offset 0
		.amdhsa_user_sgpr_private_segment_size 0
		.amdhsa_uses_dynamic_stack 0
		.amdhsa_enable_private_segment 0
		.amdhsa_system_sgpr_workgroup_id_x 1
		.amdhsa_system_sgpr_workgroup_id_y 0
		.amdhsa_system_sgpr_workgroup_id_z 0
		.amdhsa_system_sgpr_workgroup_info 0
		.amdhsa_system_vgpr_workitem_id 0
		.amdhsa_next_free_vgpr 10
		.amdhsa_next_free_sgpr 17
		.amdhsa_accum_offset 12
		.amdhsa_reserve_vcc 1
		.amdhsa_float_round_mode_32 0
		.amdhsa_float_round_mode_16_64 0
		.amdhsa_float_denorm_mode_32 3
		.amdhsa_float_denorm_mode_16_64 3
		.amdhsa_dx10_clamp 1
		.amdhsa_ieee_mode 1
		.amdhsa_fp16_overflow 0
		.amdhsa_tg_split 0
		.amdhsa_exception_fp_ieee_invalid_op 0
		.amdhsa_exception_fp_denorm_src 0
		.amdhsa_exception_fp_ieee_div_zero 0
		.amdhsa_exception_fp_ieee_overflow 0
		.amdhsa_exception_fp_ieee_underflow 0
		.amdhsa_exception_fp_ieee_inexact 0
		.amdhsa_exception_int_div_zero 0
	.end_amdhsa_kernel
	.section	.text._ZN9rocsparseL35csr2bsr_block_dim_equals_one_kernelILj256EfliEEvT2_S1_S1_S1_21rocsparse_index_base_PKT0_PKT1_PKS1_S2_PS3_PS6_PS1_,"axG",@progbits,_ZN9rocsparseL35csr2bsr_block_dim_equals_one_kernelILj256EfliEEvT2_S1_S1_S1_21rocsparse_index_base_PKT0_PKT1_PKS1_S2_PS3_PS6_PS1_,comdat
.Lfunc_end45:
	.size	_ZN9rocsparseL35csr2bsr_block_dim_equals_one_kernelILj256EfliEEvT2_S1_S1_S1_21rocsparse_index_base_PKT0_PKT1_PKS1_S2_PS3_PS6_PS1_, .Lfunc_end45-_ZN9rocsparseL35csr2bsr_block_dim_equals_one_kernelILj256EfliEEvT2_S1_S1_S1_21rocsparse_index_base_PKT0_PKT1_PKS1_S2_PS3_PS6_PS1_
                                        ; -- End function
	.section	.AMDGPU.csdata,"",@progbits
; Kernel info:
; codeLenInByte = 280
; NumSgprs: 23
; NumVgprs: 10
; NumAgprs: 0
; TotalNumVgprs: 10
; ScratchSize: 0
; MemoryBound: 0
; FloatMode: 240
; IeeeMode: 1
; LDSByteSize: 0 bytes/workgroup (compile time only)
; SGPRBlocks: 2
; VGPRBlocks: 1
; NumSGPRsForWavesPerEU: 23
; NumVGPRsForWavesPerEU: 10
; AccumOffset: 12
; Occupancy: 8
; WaveLimiterHint : 0
; COMPUTE_PGM_RSRC2:SCRATCH_EN: 0
; COMPUTE_PGM_RSRC2:USER_SGPR: 2
; COMPUTE_PGM_RSRC2:TRAP_HANDLER: 0
; COMPUTE_PGM_RSRC2:TGID_X_EN: 1
; COMPUTE_PGM_RSRC2:TGID_Y_EN: 0
; COMPUTE_PGM_RSRC2:TGID_Z_EN: 0
; COMPUTE_PGM_RSRC2:TIDIG_COMP_CNT: 0
; COMPUTE_PGM_RSRC3_GFX90A:ACCUM_OFFSET: 2
; COMPUTE_PGM_RSRC3_GFX90A:TG_SPLIT: 0
	.section	.text._ZN9rocsparseL42csr2bsr_wavefront_per_row_multipass_kernelILj256ELj16ELj4EfliEEv20rocsparse_direction_T4_S2_S2_S2_S2_21rocsparse_index_base_PKT2_PKT3_PKS2_S3_PS4_PS7_PS2_,"axG",@progbits,_ZN9rocsparseL42csr2bsr_wavefront_per_row_multipass_kernelILj256ELj16ELj4EfliEEv20rocsparse_direction_T4_S2_S2_S2_S2_21rocsparse_index_base_PKT2_PKT3_PKS2_S3_PS4_PS7_PS2_,comdat
	.globl	_ZN9rocsparseL42csr2bsr_wavefront_per_row_multipass_kernelILj256ELj16ELj4EfliEEv20rocsparse_direction_T4_S2_S2_S2_S2_21rocsparse_index_base_PKT2_PKT3_PKS2_S3_PS4_PS7_PS2_ ; -- Begin function _ZN9rocsparseL42csr2bsr_wavefront_per_row_multipass_kernelILj256ELj16ELj4EfliEEv20rocsparse_direction_T4_S2_S2_S2_S2_21rocsparse_index_base_PKT2_PKT3_PKS2_S3_PS4_PS7_PS2_
	.p2align	8
	.type	_ZN9rocsparseL42csr2bsr_wavefront_per_row_multipass_kernelILj256ELj16ELj4EfliEEv20rocsparse_direction_T4_S2_S2_S2_S2_21rocsparse_index_base_PKT2_PKT3_PKS2_S3_PS4_PS7_PS2_,@function
_ZN9rocsparseL42csr2bsr_wavefront_per_row_multipass_kernelILj256ELj16ELj4EfliEEv20rocsparse_direction_T4_S2_S2_S2_S2_21rocsparse_index_base_PKT2_PKT3_PKS2_S3_PS4_PS7_PS2_: ; @_ZN9rocsparseL42csr2bsr_wavefront_per_row_multipass_kernelILj256ELj16ELj4EfliEEv20rocsparse_direction_T4_S2_S2_S2_S2_21rocsparse_index_base_PKT2_PKT3_PKS2_S3_PS4_PS7_PS2_
; %bb.0:
	s_load_dwordx2 s[14:15], s[0:1], 0x0
	s_load_dwordx4 s[4:7], s[0:1], 0xc
	s_load_dwordx2 s[8:9], s[0:1], 0x28
	v_lshrrev_b32_e32 v22, 4, v0
	v_bfe_u32 v10, v0, 2, 2
	v_lshl_or_b32 v6, s2, 4, v22
	s_waitcnt lgkmcnt(0)
	v_mad_u64_u32 v[4:5], s[2:3], v6, s6, v[10:11]
	v_cmp_gt_i32_e64 s[2:3], s15, v4
	v_cmp_gt_i32_e32 vcc, s6, v10
	v_mov_b64_e32 v[2:3], 0
	s_and_b64 s[10:11], vcc, s[2:3]
	v_mov_b64_e32 v[8:9], v[2:3]
	s_and_saveexec_b64 s[12:13], s[10:11]
	s_cbranch_execz .LBB46_2
; %bb.1:
	v_ashrrev_i32_e32 v5, 31, v4
	v_lshl_add_u64 v[8:9], v[4:5], 3, s[8:9]
	global_load_dwordx2 v[8:9], v[8:9], off
	s_waitcnt vmcnt(0)
	v_subrev_co_u32_e64 v8, s[2:3], s7, v8
	s_nop 1
	v_subbrev_co_u32_e64 v9, s[2:3], 0, v9, s[2:3]
.LBB46_2:
	s_or_b64 exec, exec, s[12:13]
	s_and_saveexec_b64 s[12:13], s[10:11]
	s_cbranch_execz .LBB46_4
; %bb.3:
	v_ashrrev_i32_e32 v5, 31, v4
	v_lshl_add_u64 v[2:3], v[4:5], 3, s[8:9]
	global_load_dwordx2 v[2:3], v[2:3], off offset:8
	s_waitcnt vmcnt(0)
	v_subrev_co_u32_e64 v2, s[2:3], s7, v2
	s_nop 1
	v_subbrev_co_u32_e64 v3, s[2:3], 0, v3, s[2:3]
.LBB46_4:
	s_or_b64 exec, exec, s[12:13]
	s_load_dword s20, s[0:1], 0x38
	v_cmp_gt_i32_e64 s[2:3], s4, v6
	v_mov_b64_e32 v[4:5], 0
	s_and_saveexec_b64 s[8:9], s[2:3]
	s_cbranch_execz .LBB46_6
; %bb.5:
	s_load_dwordx2 s[2:3], s[0:1], 0x48
	v_ashrrev_i32_e32 v7, 31, v6
	s_waitcnt lgkmcnt(0)
	v_lshl_add_u64 v[4:5], v[6:7], 3, s[2:3]
	global_load_dwordx2 v[4:5], v[4:5], off
	s_waitcnt vmcnt(0)
	v_subrev_co_u32_e64 v4, s[2:3], s20, v4
	s_nop 1
	v_subbrev_co_u32_e64 v5, s[2:3], 0, v5, s[2:3]
.LBB46_6:
	s_or_b64 exec, exec, s[8:9]
	s_cmp_lt_i32 s5, 1
	s_cbranch_scc1 .LBB46_21
; %bb.7:
	s_load_dwordx2 s[2:3], s[0:1], 0x20
	s_load_dwordx2 s[8:9], s[0:1], 0x50
	;; [unrolled: 1-line block ×4, first 2 shown]
	v_lshlrev_b32_e32 v12, 2, v10
	s_movk_i32 s0, 0xf0
	v_and_b32_e32 v6, 3, v0
	v_and_or_b32 v23, v0, s0, v12
	v_or_b32_e32 v0, v23, v6
	v_lshlrev_b32_e32 v24, 2, v0
	v_mov_b32_e32 v7, 0
	v_mbcnt_lo_u32_b32 v0, -1, 0
	v_cmp_gt_u32_e64 s[0:1], s6, v6
	v_mbcnt_hi_u32_b32 v14, -1, v0
	s_and_b64 s[12:13], vcc, s[0:1]
	v_mul_lo_u32 v0, v6, s6
	v_mov_b32_e32 v1, v7
	s_cmp_eq_u32 s14, 0
	s_waitcnt lgkmcnt(0)
	v_lshl_add_u64 v[0:1], v[0:1], 2, s[16:17]
	v_mov_b32_e32 v13, v7
	v_mul_lo_u32 v10, v10, s6
	v_mov_b32_e32 v11, v7
	v_lshl_add_u64 v[0:1], v[0:1], 0, v[12:13]
	v_lshl_add_u64 v[10:11], v[10:11], 2, s[16:17]
	v_lshlrev_b32_e32 v12, 2, v6
	s_cselect_b64 vcc, -1, 0
	s_abs_i32 s4, s6
	v_lshl_add_u64 v[10:11], v[10:11], 0, v[12:13]
	v_cvt_f32_u32_e32 v12, s4
	v_cndmask_b32_e32 v1, v1, v11, vcc
	s_sub_i32 s0, 0, s4
	v_cndmask_b32_e32 v0, v0, v10, vcc
	v_rcp_iflag_f32_e32 v12, v12
	v_lshlrev_b32_e32 v13, 2, v14
	v_or_b32_e32 v25, 12, v13
	s_mul_hi_u32 s21, s6, s6
	v_mul_f32_e32 v11, 0x4f7ffffe, v12
	v_cvt_u32_f32_e32 v11, v11
	s_mul_i32 s22, s6, s6
	v_or_b32_e32 v26, 60, v13
	s_ashr_i32 s23, s6, 31
	v_mul_lo_u32 v10, s0, v11
	v_mul_hi_u32 v10, v11, v10
	v_add_u32_e32 v27, v11, v10
	s_mov_b64 s[14:15], 0
	v_mov_b64_e32 v[10:11], 0
	v_mov_b32_e32 v28, 1
	s_branch .LBB46_10
.LBB46_8:                               ;   in Loop: Header=BB46_10 Depth=1
	s_or_b64 exec, exec, s[16:17]
	v_mov_b64_e32 v[12:13], 1
.LBB46_9:                               ;   in Loop: Header=BB46_10 Depth=1
	s_or_b64 exec, exec, s[0:1]
	v_mov_b32_dpp v10, v29 row_shr:1 row_mask:0xf bank_mask:0xf
	v_min_i32_e32 v10, v10, v29
	v_lshl_add_u64 v[4:5], v[12:13], 0, v[4:5]
	s_waitcnt lgkmcnt(0)
	v_mov_b32_dpp v11, v10 row_shr:2 row_mask:0xf bank_mask:0xf
	v_min_i32_e32 v10, v11, v10
	s_nop 1
	v_mov_b32_dpp v11, v10 row_shr:4 row_mask:0xf bank_mask:0xe
	v_min_i32_e32 v10, v11, v10
	s_nop 1
	v_mov_b32_dpp v11, v10 row_shr:8 row_mask:0xf bank_mask:0xc
	v_min_i32_e32 v10, v11, v10
	ds_bpermute_b32 v10, v26, v10
	s_waitcnt lgkmcnt(0)
	v_cmp_le_i32_e32 vcc, s5, v10
	v_ashrrev_i32_e32 v11, 31, v10
	s_or_b64 s[14:15], vcc, s[14:15]
	s_andn2_b64 exec, exec, s[14:15]
	s_cbranch_execz .LBB46_21
.LBB46_10:                              ; =>This Loop Header: Depth=1
                                        ;     Child Loop BB46_13 Depth 2
	v_lshl_add_u64 v[8:9], v[8:9], 0, v[6:7]
	v_cmp_lt_i64_e32 vcc, v[8:9], v[2:3]
	v_mov_b32_e32 v29, s5
	v_mov_b64_e32 v[16:17], v[2:3]
	ds_write_b8 v22, v7 offset:1024
	ds_write_b32 v24, v7
	s_waitcnt lgkmcnt(0)
	s_and_saveexec_b64 s[16:17], vcc
	s_cbranch_execz .LBB46_18
; %bb.11:                               ;   in Loop: Header=BB46_10 Depth=1
	v_lshlrev_b64 v[14:15], 2, v[8:9]
	v_lshl_add_u64 v[12:13], s[2:3], 0, v[14:15]
	v_lshl_add_u64 v[14:15], s[10:11], 0, v[14:15]
	s_mov_b64 s[18:19], 0
	v_mov_b32_e32 v29, s5
	v_mov_b64_e32 v[16:17], v[2:3]
	s_branch .LBB46_13
.LBB46_12:                              ;   in Loop: Header=BB46_13 Depth=2
	s_or_b64 exec, exec, s[0:1]
	v_lshl_add_u64 v[8:9], v[8:9], 0, 4
	v_cmp_ge_i64_e64 s[0:1], v[8:9], v[2:3]
	s_xor_b64 s[24:25], vcc, -1
	s_or_b64 s[0:1], s[24:25], s[0:1]
	s_and_b64 s[0:1], exec, s[0:1]
	v_lshl_add_u64 v[12:13], v[12:13], 0, 16
	s_or_b64 s[18:19], s[0:1], s[18:19]
	v_lshl_add_u64 v[14:15], v[14:15], 0, 16
	s_andn2_b64 exec, exec, s[18:19]
	s_cbranch_execz .LBB46_17
.LBB46_13:                              ;   Parent Loop BB46_10 Depth=1
                                        ; =>  This Inner Loop Header: Depth=2
	global_load_dword v18, v[14:15], off
	s_waitcnt vmcnt(0)
	v_subrev_u32_e32 v30, s7, v18
	v_sub_u32_e32 v19, 0, v30
	v_max_i32_e32 v19, v30, v19
	v_mul_hi_u32 v20, v19, v27
	v_mul_lo_u32 v21, v20, s4
	v_sub_u32_e32 v19, v19, v21
	v_add_u32_e32 v31, 1, v20
	v_cmp_le_u32_e32 vcc, s4, v19
	v_subrev_u32_e32 v21, s4, v19
	v_ashrrev_i32_e32 v18, 31, v30
	v_cndmask_b32_e32 v20, v20, v31, vcc
	v_cndmask_b32_e32 v19, v19, v21, vcc
	v_add_u32_e32 v21, 1, v20
	v_cmp_le_u32_e32 vcc, s4, v19
	v_xor_b32_e32 v18, s23, v18
	s_nop 0
	v_cndmask_b32_e32 v19, v20, v21, vcc
	v_xor_b32_e32 v19, v19, v18
	v_sub_u32_e32 v18, v19, v18
	v_ashrrev_i32_e32 v19, 31, v18
	v_cmp_eq_u64_e32 vcc, v[10:11], v[18:19]
	v_cmp_ne_u64_e64 s[0:1], v[10:11], v[18:19]
	v_mov_b64_e32 v[20:21], v[16:17]
	s_and_saveexec_b64 s[24:25], s[0:1]
	s_xor_b64 s[0:1], exec, s[24:25]
; %bb.14:                               ;   in Loop: Header=BB46_13 Depth=2
	v_min_i32_e32 v29, v18, v29
                                        ; implicit-def: $vgpr18
                                        ; implicit-def: $vgpr30
                                        ; implicit-def: $vgpr20_vgpr21
; %bb.15:                               ;   in Loop: Header=BB46_13 Depth=2
	s_or_saveexec_b64 s[0:1], s[0:1]
	v_mov_b64_e32 v[16:17], v[8:9]
	s_xor_b64 exec, exec, s[0:1]
	s_cbranch_execz .LBB46_12
; %bb.16:                               ;   in Loop: Header=BB46_13 Depth=2
	global_load_dword v16, v[12:13], off
	v_mul_lo_u32 v17, v18, s6
	v_sub_u32_e32 v17, v30, v17
	v_add_lshl_u32 v17, v17, v23, 2
	ds_write_b8 v22, v28 offset:1024
	s_waitcnt vmcnt(0)
	ds_write_b32 v17, v16
	v_mov_b64_e32 v[16:17], v[20:21]
	s_branch .LBB46_12
.LBB46_17:                              ;   in Loop: Header=BB46_10 Depth=1
	s_or_b64 exec, exec, s[18:19]
.LBB46_18:                              ;   in Loop: Header=BB46_10 Depth=1
	s_or_b64 exec, exec, s[16:17]
	v_mov_b32_dpp v8, v16 row_shr:1 row_mask:0xf bank_mask:0xf
	v_mov_b32_dpp v9, v17 row_shr:1 row_mask:0xf bank_mask:0xf
	v_cmp_lt_i64_e32 vcc, v[8:9], v[16:17]
	s_waitcnt lgkmcnt(0)
	ds_read_u8 v11, v22 offset:1024
	v_cndmask_b32_e32 v9, v17, v9, vcc
	v_cndmask_b32_e32 v8, v16, v8, vcc
	s_waitcnt lgkmcnt(0)
	v_and_b32_e32 v11, 1, v11
	v_mov_b32_dpp v12, v8 row_shr:2 row_mask:0xf bank_mask:0xf
	v_mov_b32_dpp v13, v9 row_shr:2 row_mask:0xf bank_mask:0xf
	v_cmp_lt_i64_e32 vcc, v[12:13], v[8:9]
	s_nop 1
	v_cndmask_b32_e32 v9, v9, v13, vcc
	v_cndmask_b32_e32 v8, v8, v12, vcc
	ds_bpermute_b32 v8, v25, v8
	ds_bpermute_b32 v9, v25, v9
	v_cmp_eq_u32_e32 vcc, 1, v11
	v_mov_b64_e32 v[12:13], 0
	s_and_saveexec_b64 s[0:1], vcc
	s_cbranch_execz .LBB46_9
; %bb.19:                               ;   in Loop: Header=BB46_10 Depth=1
	v_add_u32_e32 v12, s20, v10
	v_lshl_add_u64 v[10:11], v[4:5], 2, s[8:9]
	global_store_dword v[10:11], v12, off
	s_and_saveexec_b64 s[16:17], s[12:13]
	s_cbranch_execz .LBB46_8
; %bb.20:                               ;   in Loop: Header=BB46_10 Depth=1
	ds_read_b32 v12, v24
	v_mul_lo_u32 v13, s21, v4
	v_mul_lo_u32 v14, s22, v5
	v_mad_u64_u32 v[10:11], s[18:19], s22, v4, 0
	v_add3_u32 v11, v11, v14, v13
	v_lshl_add_u64 v[10:11], v[10:11], 2, v[0:1]
	s_waitcnt lgkmcnt(0)
	global_store_dword v[10:11], v12, off
	s_branch .LBB46_8
.LBB46_21:
	s_endpgm
	.section	.rodata,"a",@progbits
	.p2align	6, 0x0
	.amdhsa_kernel _ZN9rocsparseL42csr2bsr_wavefront_per_row_multipass_kernelILj256ELj16ELj4EfliEEv20rocsparse_direction_T4_S2_S2_S2_S2_21rocsparse_index_base_PKT2_PKT3_PKS2_S3_PS4_PS7_PS2_
		.amdhsa_group_segment_fixed_size 1040
		.amdhsa_private_segment_fixed_size 0
		.amdhsa_kernarg_size 88
		.amdhsa_user_sgpr_count 2
		.amdhsa_user_sgpr_dispatch_ptr 0
		.amdhsa_user_sgpr_queue_ptr 0
		.amdhsa_user_sgpr_kernarg_segment_ptr 1
		.amdhsa_user_sgpr_dispatch_id 0
		.amdhsa_user_sgpr_kernarg_preload_length 0
		.amdhsa_user_sgpr_kernarg_preload_offset 0
		.amdhsa_user_sgpr_private_segment_size 0
		.amdhsa_uses_dynamic_stack 0
		.amdhsa_enable_private_segment 0
		.amdhsa_system_sgpr_workgroup_id_x 1
		.amdhsa_system_sgpr_workgroup_id_y 0
		.amdhsa_system_sgpr_workgroup_id_z 0
		.amdhsa_system_sgpr_workgroup_info 0
		.amdhsa_system_vgpr_workitem_id 0
		.amdhsa_next_free_vgpr 32
		.amdhsa_next_free_sgpr 26
		.amdhsa_accum_offset 32
		.amdhsa_reserve_vcc 1
		.amdhsa_float_round_mode_32 0
		.amdhsa_float_round_mode_16_64 0
		.amdhsa_float_denorm_mode_32 3
		.amdhsa_float_denorm_mode_16_64 3
		.amdhsa_dx10_clamp 1
		.amdhsa_ieee_mode 1
		.amdhsa_fp16_overflow 0
		.amdhsa_tg_split 0
		.amdhsa_exception_fp_ieee_invalid_op 0
		.amdhsa_exception_fp_denorm_src 0
		.amdhsa_exception_fp_ieee_div_zero 0
		.amdhsa_exception_fp_ieee_overflow 0
		.amdhsa_exception_fp_ieee_underflow 0
		.amdhsa_exception_fp_ieee_inexact 0
		.amdhsa_exception_int_div_zero 0
	.end_amdhsa_kernel
	.section	.text._ZN9rocsparseL42csr2bsr_wavefront_per_row_multipass_kernelILj256ELj16ELj4EfliEEv20rocsparse_direction_T4_S2_S2_S2_S2_21rocsparse_index_base_PKT2_PKT3_PKS2_S3_PS4_PS7_PS2_,"axG",@progbits,_ZN9rocsparseL42csr2bsr_wavefront_per_row_multipass_kernelILj256ELj16ELj4EfliEEv20rocsparse_direction_T4_S2_S2_S2_S2_21rocsparse_index_base_PKT2_PKT3_PKS2_S3_PS4_PS7_PS2_,comdat
.Lfunc_end46:
	.size	_ZN9rocsparseL42csr2bsr_wavefront_per_row_multipass_kernelILj256ELj16ELj4EfliEEv20rocsparse_direction_T4_S2_S2_S2_S2_21rocsparse_index_base_PKT2_PKT3_PKS2_S3_PS4_PS7_PS2_, .Lfunc_end46-_ZN9rocsparseL42csr2bsr_wavefront_per_row_multipass_kernelILj256ELj16ELj4EfliEEv20rocsparse_direction_T4_S2_S2_S2_S2_21rocsparse_index_base_PKT2_PKT3_PKS2_S3_PS4_PS7_PS2_
                                        ; -- End function
	.section	.AMDGPU.csdata,"",@progbits
; Kernel info:
; codeLenInByte = 1228
; NumSgprs: 32
; NumVgprs: 32
; NumAgprs: 0
; TotalNumVgprs: 32
; ScratchSize: 0
; MemoryBound: 0
; FloatMode: 240
; IeeeMode: 1
; LDSByteSize: 1040 bytes/workgroup (compile time only)
; SGPRBlocks: 3
; VGPRBlocks: 3
; NumSGPRsForWavesPerEU: 32
; NumVGPRsForWavesPerEU: 32
; AccumOffset: 32
; Occupancy: 8
; WaveLimiterHint : 0
; COMPUTE_PGM_RSRC2:SCRATCH_EN: 0
; COMPUTE_PGM_RSRC2:USER_SGPR: 2
; COMPUTE_PGM_RSRC2:TRAP_HANDLER: 0
; COMPUTE_PGM_RSRC2:TGID_X_EN: 1
; COMPUTE_PGM_RSRC2:TGID_Y_EN: 0
; COMPUTE_PGM_RSRC2:TGID_Z_EN: 0
; COMPUTE_PGM_RSRC2:TIDIG_COMP_CNT: 0
; COMPUTE_PGM_RSRC3_GFX90A:ACCUM_OFFSET: 7
; COMPUTE_PGM_RSRC3_GFX90A:TG_SPLIT: 0
	.section	.text._ZN9rocsparseL42csr2bsr_wavefront_per_row_multipass_kernelILj256ELj64ELj8EfliEEv20rocsparse_direction_T4_S2_S2_S2_S2_21rocsparse_index_base_PKT2_PKT3_PKS2_S3_PS4_PS7_PS2_,"axG",@progbits,_ZN9rocsparseL42csr2bsr_wavefront_per_row_multipass_kernelILj256ELj64ELj8EfliEEv20rocsparse_direction_T4_S2_S2_S2_S2_21rocsparse_index_base_PKT2_PKT3_PKS2_S3_PS4_PS7_PS2_,comdat
	.globl	_ZN9rocsparseL42csr2bsr_wavefront_per_row_multipass_kernelILj256ELj64ELj8EfliEEv20rocsparse_direction_T4_S2_S2_S2_S2_21rocsparse_index_base_PKT2_PKT3_PKS2_S3_PS4_PS7_PS2_ ; -- Begin function _ZN9rocsparseL42csr2bsr_wavefront_per_row_multipass_kernelILj256ELj64ELj8EfliEEv20rocsparse_direction_T4_S2_S2_S2_S2_21rocsparse_index_base_PKT2_PKT3_PKS2_S3_PS4_PS7_PS2_
	.p2align	8
	.type	_ZN9rocsparseL42csr2bsr_wavefront_per_row_multipass_kernelILj256ELj64ELj8EfliEEv20rocsparse_direction_T4_S2_S2_S2_S2_21rocsparse_index_base_PKT2_PKT3_PKS2_S3_PS4_PS7_PS2_,@function
_ZN9rocsparseL42csr2bsr_wavefront_per_row_multipass_kernelILj256ELj64ELj8EfliEEv20rocsparse_direction_T4_S2_S2_S2_S2_21rocsparse_index_base_PKT2_PKT3_PKS2_S3_PS4_PS7_PS2_: ; @_ZN9rocsparseL42csr2bsr_wavefront_per_row_multipass_kernelILj256ELj64ELj8EfliEEv20rocsparse_direction_T4_S2_S2_S2_S2_21rocsparse_index_base_PKT2_PKT3_PKS2_S3_PS4_PS7_PS2_
; %bb.0:
	s_load_dwordx2 s[14:15], s[0:1], 0x0
	s_load_dwordx4 s[4:7], s[0:1], 0xc
	s_load_dwordx2 s[8:9], s[0:1], 0x28
	v_lshrrev_b32_e32 v22, 6, v0
	v_bfe_u32 v10, v0, 3, 3
	v_lshl_or_b32 v6, s2, 2, v22
	s_waitcnt lgkmcnt(0)
	v_mad_u64_u32 v[4:5], s[2:3], v6, s6, v[10:11]
	v_cmp_gt_i32_e64 s[2:3], s15, v4
	v_cmp_gt_i32_e32 vcc, s6, v10
	v_mov_b64_e32 v[2:3], 0
	s_and_b64 s[10:11], vcc, s[2:3]
	v_mov_b64_e32 v[8:9], v[2:3]
	s_and_saveexec_b64 s[12:13], s[10:11]
	s_cbranch_execz .LBB47_2
; %bb.1:
	v_ashrrev_i32_e32 v5, 31, v4
	v_lshl_add_u64 v[8:9], v[4:5], 3, s[8:9]
	global_load_dwordx2 v[8:9], v[8:9], off
	s_waitcnt vmcnt(0)
	v_subrev_co_u32_e64 v8, s[2:3], s7, v8
	s_nop 1
	v_subbrev_co_u32_e64 v9, s[2:3], 0, v9, s[2:3]
.LBB47_2:
	s_or_b64 exec, exec, s[12:13]
	s_and_saveexec_b64 s[12:13], s[10:11]
	s_cbranch_execz .LBB47_4
; %bb.3:
	v_ashrrev_i32_e32 v5, 31, v4
	v_lshl_add_u64 v[2:3], v[4:5], 3, s[8:9]
	global_load_dwordx2 v[2:3], v[2:3], off offset:8
	s_waitcnt vmcnt(0)
	v_subrev_co_u32_e64 v2, s[2:3], s7, v2
	s_nop 1
	v_subbrev_co_u32_e64 v3, s[2:3], 0, v3, s[2:3]
.LBB47_4:
	s_or_b64 exec, exec, s[12:13]
	s_load_dword s20, s[0:1], 0x38
	v_cmp_gt_i32_e64 s[2:3], s4, v6
	v_mov_b64_e32 v[4:5], 0
	s_and_saveexec_b64 s[8:9], s[2:3]
	s_cbranch_execz .LBB47_6
; %bb.5:
	s_load_dwordx2 s[2:3], s[0:1], 0x48
	v_ashrrev_i32_e32 v7, 31, v6
	s_waitcnt lgkmcnt(0)
	v_lshl_add_u64 v[4:5], v[6:7], 3, s[2:3]
	global_load_dwordx2 v[4:5], v[4:5], off
	s_waitcnt vmcnt(0)
	v_subrev_co_u32_e64 v4, s[2:3], s20, v4
	s_nop 1
	v_subbrev_co_u32_e64 v5, s[2:3], 0, v5, s[2:3]
.LBB47_6:
	s_or_b64 exec, exec, s[8:9]
	s_cmp_lt_i32 s5, 1
	s_cbranch_scc1 .LBB47_21
; %bb.7:
	v_and_b32_e32 v6, 7, v0
	v_and_b32_e32 v0, 0xc0, v0
	s_load_dwordx2 s[2:3], s[0:1], 0x20
	s_load_dwordx2 s[8:9], s[0:1], 0x50
	;; [unrolled: 1-line block ×4, first 2 shown]
	v_lshl_or_b32 v23, v10, 3, v0
	v_or_b32_e32 v0, v23, v6
	v_lshlrev_b32_e32 v24, 2, v0
	v_mov_b32_e32 v7, 0
	v_mbcnt_lo_u32_b32 v0, -1, 0
	v_cmp_gt_u32_e64 s[0:1], s6, v6
	v_mbcnt_hi_u32_b32 v14, -1, v0
	s_and_b64 s[12:13], vcc, s[0:1]
	v_mul_lo_u32 v0, v6, s6
	v_mov_b32_e32 v1, v7
	s_cmp_eq_u32 s14, 0
	s_waitcnt lgkmcnt(0)
	v_lshl_add_u64 v[0:1], v[0:1], 2, s[16:17]
	v_lshlrev_b32_e32 v12, 2, v10
	v_mov_b32_e32 v13, v7
	v_mul_lo_u32 v10, v10, s6
	v_mov_b32_e32 v11, v7
	v_lshl_add_u64 v[0:1], v[0:1], 0, v[12:13]
	v_lshl_add_u64 v[10:11], v[10:11], 2, s[16:17]
	v_lshlrev_b32_e32 v12, 2, v6
	s_cselect_b64 vcc, -1, 0
	s_abs_i32 s4, s6
	v_lshl_add_u64 v[10:11], v[10:11], 0, v[12:13]
	v_cvt_f32_u32_e32 v12, s4
	v_cndmask_b32_e32 v1, v1, v11, vcc
	s_sub_i32 s0, 0, s4
	v_cndmask_b32_e32 v0, v0, v10, vcc
	v_rcp_iflag_f32_e32 v12, v12
	v_lshlrev_b32_e32 v13, 2, v14
	v_or_b32_e32 v25, 28, v13
	s_mul_hi_u32 s21, s6, s6
	v_mul_f32_e32 v11, 0x4f7ffffe, v12
	v_cvt_u32_f32_e32 v11, v11
	s_mul_i32 s22, s6, s6
	v_or_b32_e32 v26, 0xfc, v13
	s_ashr_i32 s23, s6, 31
	v_mul_lo_u32 v10, s0, v11
	v_mul_hi_u32 v10, v11, v10
	v_add_u32_e32 v27, v11, v10
	s_mov_b64 s[14:15], 0
	v_mov_b64_e32 v[10:11], 0
	v_mov_b32_e32 v28, 1
	s_branch .LBB47_10
.LBB47_8:                               ;   in Loop: Header=BB47_10 Depth=1
	s_or_b64 exec, exec, s[16:17]
	v_mov_b64_e32 v[12:13], 1
.LBB47_9:                               ;   in Loop: Header=BB47_10 Depth=1
	s_or_b64 exec, exec, s[0:1]
	v_mov_b32_dpp v10, v29 row_shr:1 row_mask:0xf bank_mask:0xf
	v_min_i32_e32 v10, v10, v29
	v_lshl_add_u64 v[4:5], v[12:13], 0, v[4:5]
	s_waitcnt lgkmcnt(0)
	v_mov_b32_dpp v11, v10 row_shr:2 row_mask:0xf bank_mask:0xf
	v_min_i32_e32 v10, v11, v10
	s_nop 1
	v_mov_b32_dpp v11, v10 row_shr:4 row_mask:0xf bank_mask:0xe
	v_min_i32_e32 v10, v11, v10
	s_nop 1
	;; [unrolled: 3-line block ×3, first 2 shown]
	v_mov_b32_dpp v11, v10 row_bcast:15 row_mask:0xa bank_mask:0xf
	v_min_i32_e32 v10, v11, v10
	s_nop 1
	v_mov_b32_dpp v11, v10 row_bcast:31 row_mask:0xc bank_mask:0xf
	v_min_i32_e32 v10, v11, v10
	ds_bpermute_b32 v10, v26, v10
	s_waitcnt lgkmcnt(0)
	v_cmp_le_i32_e32 vcc, s5, v10
	v_ashrrev_i32_e32 v11, 31, v10
	s_or_b64 s[14:15], vcc, s[14:15]
	s_andn2_b64 exec, exec, s[14:15]
	s_cbranch_execz .LBB47_21
.LBB47_10:                              ; =>This Loop Header: Depth=1
                                        ;     Child Loop BB47_13 Depth 2
	v_lshl_add_u64 v[8:9], v[8:9], 0, v[6:7]
	v_cmp_lt_i64_e32 vcc, v[8:9], v[2:3]
	v_mov_b32_e32 v29, s5
	v_mov_b64_e32 v[16:17], v[2:3]
	ds_write_b8 v22, v7 offset:1024
	ds_write_b32 v24, v7
	s_waitcnt lgkmcnt(0)
	s_and_saveexec_b64 s[16:17], vcc
	s_cbranch_execz .LBB47_18
; %bb.11:                               ;   in Loop: Header=BB47_10 Depth=1
	v_lshlrev_b64 v[14:15], 2, v[8:9]
	v_lshl_add_u64 v[12:13], s[2:3], 0, v[14:15]
	v_lshl_add_u64 v[14:15], s[10:11], 0, v[14:15]
	s_mov_b64 s[18:19], 0
	v_mov_b32_e32 v29, s5
	v_mov_b64_e32 v[16:17], v[2:3]
	s_branch .LBB47_13
.LBB47_12:                              ;   in Loop: Header=BB47_13 Depth=2
	s_or_b64 exec, exec, s[0:1]
	v_lshl_add_u64 v[8:9], v[8:9], 0, 8
	v_cmp_ge_i64_e64 s[0:1], v[8:9], v[2:3]
	s_xor_b64 s[24:25], vcc, -1
	s_or_b64 s[0:1], s[24:25], s[0:1]
	s_and_b64 s[0:1], exec, s[0:1]
	v_lshl_add_u64 v[12:13], v[12:13], 0, 32
	s_or_b64 s[18:19], s[0:1], s[18:19]
	v_lshl_add_u64 v[14:15], v[14:15], 0, 32
	s_andn2_b64 exec, exec, s[18:19]
	s_cbranch_execz .LBB47_17
.LBB47_13:                              ;   Parent Loop BB47_10 Depth=1
                                        ; =>  This Inner Loop Header: Depth=2
	global_load_dword v18, v[14:15], off
	s_waitcnt vmcnt(0)
	v_subrev_u32_e32 v30, s7, v18
	v_sub_u32_e32 v19, 0, v30
	v_max_i32_e32 v19, v30, v19
	v_mul_hi_u32 v20, v19, v27
	v_mul_lo_u32 v21, v20, s4
	v_sub_u32_e32 v19, v19, v21
	v_add_u32_e32 v31, 1, v20
	v_cmp_le_u32_e32 vcc, s4, v19
	v_subrev_u32_e32 v21, s4, v19
	v_ashrrev_i32_e32 v18, 31, v30
	v_cndmask_b32_e32 v20, v20, v31, vcc
	v_cndmask_b32_e32 v19, v19, v21, vcc
	v_add_u32_e32 v21, 1, v20
	v_cmp_le_u32_e32 vcc, s4, v19
	v_xor_b32_e32 v18, s23, v18
	s_nop 0
	v_cndmask_b32_e32 v19, v20, v21, vcc
	v_xor_b32_e32 v19, v19, v18
	v_sub_u32_e32 v18, v19, v18
	v_ashrrev_i32_e32 v19, 31, v18
	v_cmp_eq_u64_e32 vcc, v[10:11], v[18:19]
	v_cmp_ne_u64_e64 s[0:1], v[10:11], v[18:19]
	v_mov_b64_e32 v[20:21], v[16:17]
	s_and_saveexec_b64 s[24:25], s[0:1]
	s_xor_b64 s[0:1], exec, s[24:25]
; %bb.14:                               ;   in Loop: Header=BB47_13 Depth=2
	v_min_i32_e32 v29, v18, v29
                                        ; implicit-def: $vgpr18
                                        ; implicit-def: $vgpr30
                                        ; implicit-def: $vgpr20_vgpr21
; %bb.15:                               ;   in Loop: Header=BB47_13 Depth=2
	s_or_saveexec_b64 s[0:1], s[0:1]
	v_mov_b64_e32 v[16:17], v[8:9]
	s_xor_b64 exec, exec, s[0:1]
	s_cbranch_execz .LBB47_12
; %bb.16:                               ;   in Loop: Header=BB47_13 Depth=2
	global_load_dword v16, v[12:13], off
	v_mul_lo_u32 v17, v18, s6
	v_sub_u32_e32 v17, v30, v17
	v_add_lshl_u32 v17, v17, v23, 2
	ds_write_b8 v22, v28 offset:1024
	s_waitcnt vmcnt(0)
	ds_write_b32 v17, v16
	v_mov_b64_e32 v[16:17], v[20:21]
	s_branch .LBB47_12
.LBB47_17:                              ;   in Loop: Header=BB47_10 Depth=1
	s_or_b64 exec, exec, s[18:19]
.LBB47_18:                              ;   in Loop: Header=BB47_10 Depth=1
	s_or_b64 exec, exec, s[16:17]
	v_mov_b32_dpp v8, v16 row_shr:1 row_mask:0xf bank_mask:0xf
	v_mov_b32_dpp v9, v17 row_shr:1 row_mask:0xf bank_mask:0xf
	v_cmp_lt_i64_e32 vcc, v[8:9], v[16:17]
	s_waitcnt lgkmcnt(0)
	ds_read_u8 v11, v22 offset:1024
	v_cndmask_b32_e32 v9, v17, v9, vcc
	v_cndmask_b32_e32 v8, v16, v8, vcc
	s_waitcnt lgkmcnt(0)
	v_and_b32_e32 v11, 1, v11
	v_mov_b32_dpp v12, v8 row_shr:2 row_mask:0xf bank_mask:0xf
	v_mov_b32_dpp v13, v9 row_shr:2 row_mask:0xf bank_mask:0xf
	v_cmp_lt_i64_e32 vcc, v[12:13], v[8:9]
	s_nop 1
	v_cndmask_b32_e32 v9, v9, v13, vcc
	v_cndmask_b32_e32 v8, v8, v12, vcc
	s_nop 0
	v_mov_b32_dpp v13, v9 row_shr:4 row_mask:0xf bank_mask:0xe
	v_mov_b32_dpp v12, v8 row_shr:4 row_mask:0xf bank_mask:0xe
	v_cmp_lt_i64_e32 vcc, v[12:13], v[8:9]
	s_nop 1
	v_cndmask_b32_e32 v9, v9, v13, vcc
	v_cndmask_b32_e32 v8, v8, v12, vcc
	ds_bpermute_b32 v8, v25, v8
	ds_bpermute_b32 v9, v25, v9
	v_cmp_eq_u32_e32 vcc, 1, v11
	v_mov_b64_e32 v[12:13], 0
	s_and_saveexec_b64 s[0:1], vcc
	s_cbranch_execz .LBB47_9
; %bb.19:                               ;   in Loop: Header=BB47_10 Depth=1
	v_add_u32_e32 v12, s20, v10
	v_lshl_add_u64 v[10:11], v[4:5], 2, s[8:9]
	global_store_dword v[10:11], v12, off
	s_and_saveexec_b64 s[16:17], s[12:13]
	s_cbranch_execz .LBB47_8
; %bb.20:                               ;   in Loop: Header=BB47_10 Depth=1
	ds_read_b32 v12, v24
	v_mul_lo_u32 v13, s21, v4
	v_mul_lo_u32 v14, s22, v5
	v_mad_u64_u32 v[10:11], s[18:19], s22, v4, 0
	v_add3_u32 v11, v11, v14, v13
	v_lshl_add_u64 v[10:11], v[10:11], 2, v[0:1]
	s_waitcnt lgkmcnt(0)
	global_store_dword v[10:11], v12, off
	s_branch .LBB47_8
.LBB47_21:
	s_endpgm
	.section	.rodata,"a",@progbits
	.p2align	6, 0x0
	.amdhsa_kernel _ZN9rocsparseL42csr2bsr_wavefront_per_row_multipass_kernelILj256ELj64ELj8EfliEEv20rocsparse_direction_T4_S2_S2_S2_S2_21rocsparse_index_base_PKT2_PKT3_PKS2_S3_PS4_PS7_PS2_
		.amdhsa_group_segment_fixed_size 1028
		.amdhsa_private_segment_fixed_size 0
		.amdhsa_kernarg_size 88
		.amdhsa_user_sgpr_count 2
		.amdhsa_user_sgpr_dispatch_ptr 0
		.amdhsa_user_sgpr_queue_ptr 0
		.amdhsa_user_sgpr_kernarg_segment_ptr 1
		.amdhsa_user_sgpr_dispatch_id 0
		.amdhsa_user_sgpr_kernarg_preload_length 0
		.amdhsa_user_sgpr_kernarg_preload_offset 0
		.amdhsa_user_sgpr_private_segment_size 0
		.amdhsa_uses_dynamic_stack 0
		.amdhsa_enable_private_segment 0
		.amdhsa_system_sgpr_workgroup_id_x 1
		.amdhsa_system_sgpr_workgroup_id_y 0
		.amdhsa_system_sgpr_workgroup_id_z 0
		.amdhsa_system_sgpr_workgroup_info 0
		.amdhsa_system_vgpr_workitem_id 0
		.amdhsa_next_free_vgpr 32
		.amdhsa_next_free_sgpr 26
		.amdhsa_accum_offset 32
		.amdhsa_reserve_vcc 1
		.amdhsa_float_round_mode_32 0
		.amdhsa_float_round_mode_16_64 0
		.amdhsa_float_denorm_mode_32 3
		.amdhsa_float_denorm_mode_16_64 3
		.amdhsa_dx10_clamp 1
		.amdhsa_ieee_mode 1
		.amdhsa_fp16_overflow 0
		.amdhsa_tg_split 0
		.amdhsa_exception_fp_ieee_invalid_op 0
		.amdhsa_exception_fp_denorm_src 0
		.amdhsa_exception_fp_ieee_div_zero 0
		.amdhsa_exception_fp_ieee_overflow 0
		.amdhsa_exception_fp_ieee_underflow 0
		.amdhsa_exception_fp_ieee_inexact 0
		.amdhsa_exception_int_div_zero 0
	.end_amdhsa_kernel
	.section	.text._ZN9rocsparseL42csr2bsr_wavefront_per_row_multipass_kernelILj256ELj64ELj8EfliEEv20rocsparse_direction_T4_S2_S2_S2_S2_21rocsparse_index_base_PKT2_PKT3_PKS2_S3_PS4_PS7_PS2_,"axG",@progbits,_ZN9rocsparseL42csr2bsr_wavefront_per_row_multipass_kernelILj256ELj64ELj8EfliEEv20rocsparse_direction_T4_S2_S2_S2_S2_21rocsparse_index_base_PKT2_PKT3_PKS2_S3_PS4_PS7_PS2_,comdat
.Lfunc_end47:
	.size	_ZN9rocsparseL42csr2bsr_wavefront_per_row_multipass_kernelILj256ELj64ELj8EfliEEv20rocsparse_direction_T4_S2_S2_S2_S2_21rocsparse_index_base_PKT2_PKT3_PKS2_S3_PS4_PS7_PS2_, .Lfunc_end47-_ZN9rocsparseL42csr2bsr_wavefront_per_row_multipass_kernelILj256ELj64ELj8EfliEEv20rocsparse_direction_T4_S2_S2_S2_S2_21rocsparse_index_base_PKT2_PKT3_PKS2_S3_PS4_PS7_PS2_
                                        ; -- End function
	.section	.AMDGPU.csdata,"",@progbits
; Kernel info:
; codeLenInByte = 1304
; NumSgprs: 32
; NumVgprs: 32
; NumAgprs: 0
; TotalNumVgprs: 32
; ScratchSize: 0
; MemoryBound: 0
; FloatMode: 240
; IeeeMode: 1
; LDSByteSize: 1028 bytes/workgroup (compile time only)
; SGPRBlocks: 3
; VGPRBlocks: 3
; NumSGPRsForWavesPerEU: 32
; NumVGPRsForWavesPerEU: 32
; AccumOffset: 32
; Occupancy: 8
; WaveLimiterHint : 0
; COMPUTE_PGM_RSRC2:SCRATCH_EN: 0
; COMPUTE_PGM_RSRC2:USER_SGPR: 2
; COMPUTE_PGM_RSRC2:TRAP_HANDLER: 0
; COMPUTE_PGM_RSRC2:TGID_X_EN: 1
; COMPUTE_PGM_RSRC2:TGID_Y_EN: 0
; COMPUTE_PGM_RSRC2:TGID_Z_EN: 0
; COMPUTE_PGM_RSRC2:TIDIG_COMP_CNT: 0
; COMPUTE_PGM_RSRC3_GFX90A:ACCUM_OFFSET: 7
; COMPUTE_PGM_RSRC3_GFX90A:TG_SPLIT: 0
	.section	.text._ZN9rocsparseL42csr2bsr_wavefront_per_row_multipass_kernelILj256ELj32ELj8EfliEEv20rocsparse_direction_T4_S2_S2_S2_S2_21rocsparse_index_base_PKT2_PKT3_PKS2_S3_PS4_PS7_PS2_,"axG",@progbits,_ZN9rocsparseL42csr2bsr_wavefront_per_row_multipass_kernelILj256ELj32ELj8EfliEEv20rocsparse_direction_T4_S2_S2_S2_S2_21rocsparse_index_base_PKT2_PKT3_PKS2_S3_PS4_PS7_PS2_,comdat
	.globl	_ZN9rocsparseL42csr2bsr_wavefront_per_row_multipass_kernelILj256ELj32ELj8EfliEEv20rocsparse_direction_T4_S2_S2_S2_S2_21rocsparse_index_base_PKT2_PKT3_PKS2_S3_PS4_PS7_PS2_ ; -- Begin function _ZN9rocsparseL42csr2bsr_wavefront_per_row_multipass_kernelILj256ELj32ELj8EfliEEv20rocsparse_direction_T4_S2_S2_S2_S2_21rocsparse_index_base_PKT2_PKT3_PKS2_S3_PS4_PS7_PS2_
	.p2align	8
	.type	_ZN9rocsparseL42csr2bsr_wavefront_per_row_multipass_kernelILj256ELj32ELj8EfliEEv20rocsparse_direction_T4_S2_S2_S2_S2_21rocsparse_index_base_PKT2_PKT3_PKS2_S3_PS4_PS7_PS2_,@function
_ZN9rocsparseL42csr2bsr_wavefront_per_row_multipass_kernelILj256ELj32ELj8EfliEEv20rocsparse_direction_T4_S2_S2_S2_S2_21rocsparse_index_base_PKT2_PKT3_PKS2_S3_PS4_PS7_PS2_: ; @_ZN9rocsparseL42csr2bsr_wavefront_per_row_multipass_kernelILj256ELj32ELj8EfliEEv20rocsparse_direction_T4_S2_S2_S2_S2_21rocsparse_index_base_PKT2_PKT3_PKS2_S3_PS4_PS7_PS2_
; %bb.0:
	s_load_dwordx2 s[14:15], s[0:1], 0x0
	s_load_dwordx4 s[4:7], s[0:1], 0xc
	s_load_dwordx2 s[8:9], s[0:1], 0x28
	v_lshrrev_b32_e32 v30, 5, v0
	v_bfe_u32 v10, v0, 2, 3
	v_lshl_or_b32 v6, s2, 3, v30
	s_waitcnt lgkmcnt(0)
	v_mad_u64_u32 v[4:5], s[2:3], v6, s6, v[10:11]
	v_cmp_gt_i32_e64 s[2:3], s15, v4
	v_cmp_gt_i32_e32 vcc, s6, v10
	v_mov_b64_e32 v[2:3], 0
	s_and_b64 s[10:11], vcc, s[2:3]
	v_mov_b64_e32 v[16:17], v[2:3]
	s_and_saveexec_b64 s[12:13], s[10:11]
	s_cbranch_execz .LBB48_2
; %bb.1:
	v_ashrrev_i32_e32 v5, 31, v4
	v_lshl_add_u64 v[8:9], v[4:5], 3, s[8:9]
	global_load_dwordx2 v[8:9], v[8:9], off
	s_waitcnt vmcnt(0)
	v_subrev_co_u32_e64 v16, s[2:3], s7, v8
	s_nop 1
	v_subbrev_co_u32_e64 v17, s[2:3], 0, v9, s[2:3]
.LBB48_2:
	s_or_b64 exec, exec, s[12:13]
	s_and_saveexec_b64 s[12:13], s[10:11]
	s_cbranch_execz .LBB48_4
; %bb.3:
	v_ashrrev_i32_e32 v5, 31, v4
	v_lshl_add_u64 v[2:3], v[4:5], 3, s[8:9]
	global_load_dwordx2 v[2:3], v[2:3], off offset:8
	s_waitcnt vmcnt(0)
	v_subrev_co_u32_e64 v2, s[2:3], s7, v2
	s_nop 1
	v_subbrev_co_u32_e64 v3, s[2:3], 0, v3, s[2:3]
.LBB48_4:
	s_or_b64 exec, exec, s[12:13]
	s_load_dword s26, s[0:1], 0x38
	v_cmp_gt_i32_e64 s[2:3], s4, v6
	v_mov_b64_e32 v[4:5], 0
	s_and_saveexec_b64 s[8:9], s[2:3]
	s_cbranch_execz .LBB48_6
; %bb.5:
	s_load_dwordx2 s[2:3], s[0:1], 0x48
	v_ashrrev_i32_e32 v7, 31, v6
	s_waitcnt lgkmcnt(0)
	v_lshl_add_u64 v[4:5], v[6:7], 3, s[2:3]
	global_load_dwordx2 v[4:5], v[4:5], off
	s_waitcnt vmcnt(0)
	v_subrev_co_u32_e64 v4, s[2:3], s26, v4
	s_nop 1
	v_subbrev_co_u32_e64 v5, s[2:3], 0, v5, s[2:3]
.LBB48_6:
	s_or_b64 exec, exec, s[8:9]
	s_cmp_lt_i32 s5, 1
	s_cbranch_scc1 .LBB48_30
; %bb.7:
	s_load_dwordx2 s[8:9], s[0:1], 0x20
	s_load_dwordx2 s[10:11], s[0:1], 0x50
	;; [unrolled: 1-line block ×4, first 2 shown]
	v_mbcnt_lo_u32_b32 v6, -1, 0
	v_mbcnt_hi_u32_b32 v6, -1, v6
	v_lshlrev_b32_e32 v1, 6, v30
	v_mov_b32_e32 v7, 0
	v_lshlrev_b32_e32 v12, 2, v6
	v_lshlrev_b32_e32 v6, 2, v10
	v_and_b32_e32 v0, 3, v0
	v_lshl_or_b32 v31, v10, 3, v1
	s_cmp_lg_u32 s14, 0
	s_waitcnt lgkmcnt(0)
	v_lshl_add_u64 v[8:9], s[2:3], 0, v[6:7]
	v_mul_lo_u32 v6, v10, s6
	s_cselect_b64 s[14:15], -1, 0
	v_lshl_add_u64 v[10:11], v[6:7], 2, s[2:3]
	v_or_b32_e32 v6, v31, v0
	s_abs_i32 s28, s6
	v_lshlrev_b32_e32 v34, 2, v6
	v_cvt_f32_u32_e32 v6, s28
	v_cmp_gt_u32_e64 s[0:1], s6, v0
	s_and_b64 s[16:17], s[0:1], vcc
	s_sub_i32 s0, 0, s28
	v_rcp_iflag_f32_e32 v6, v6
	v_or_b32_e32 v14, 4, v0
	v_or_b32_e32 v32, 12, v12
	;; [unrolled: 1-line block ×3, first 2 shown]
	v_mul_f32_e32 v6, 0x4f7ffffe, v6
	v_cvt_u32_f32_e32 v6, v6
	v_mul_lo_u32 v12, v0, s6
	v_cmp_gt_u32_e64 s[2:3], s6, v14
	v_mov_b32_e32 v1, v7
	v_mul_lo_u32 v18, s0, v6
	v_mul_hi_u32 v18, v6, v18
	s_mul_hi_u32 s4, s6, s6
	s_mul_i32 s27, s6, s6
	v_mov_b32_e32 v13, v7
	v_lshl_add_u32 v14, s6, 2, v12
	v_mov_b32_e32 v15, v7
	s_and_b64 s[2:3], vcc, s[2:3]
	s_ashr_i32 s29, s6, 31
	v_add_u32_e32 v35, v6, v18
	s_mov_b64 s[18:19], 0
	v_mov_b64_e32 v[18:19], 0
	v_mov_b32_e32 v36, 1
	s_branch .LBB48_11
.LBB48_8:                               ;   in Loop: Header=BB48_11 Depth=1
	v_mov_b64_e32 v[22:23], s[22:23]
.LBB48_9:                               ;   in Loop: Header=BB48_11 Depth=1
	s_or_b64 exec, exec, s[20:21]
.LBB48_10:                              ;   in Loop: Header=BB48_11 Depth=1
	s_or_b64 exec, exec, s[0:1]
	v_mov_b32_dpp v6, v37 row_shr:1 row_mask:0xf bank_mask:0xf
	v_min_i32_e32 v6, v6, v37
	v_lshl_add_u64 v[4:5], v[22:23], 0, v[4:5]
	s_waitcnt lgkmcnt(0)
	v_mov_b32_dpp v18, v6 row_shr:2 row_mask:0xf bank_mask:0xf
	v_min_i32_e32 v6, v18, v6
	s_nop 1
	v_mov_b32_dpp v18, v6 row_shr:4 row_mask:0xf bank_mask:0xe
	v_min_i32_e32 v6, v18, v6
	s_nop 1
	;; [unrolled: 3-line block ×3, first 2 shown]
	v_mov_b32_dpp v18, v6 row_bcast:15 row_mask:0xa bank_mask:0xf
	v_min_i32_e32 v6, v18, v6
	ds_bpermute_b32 v18, v33, v6
	s_waitcnt lgkmcnt(0)
	v_cmp_le_i32_e32 vcc, s5, v18
	v_ashrrev_i32_e32 v19, 31, v18
	s_or_b64 s[18:19], vcc, s[18:19]
	s_andn2_b64 exec, exec, s[18:19]
	s_cbranch_execz .LBB48_30
.LBB48_11:                              ; =>This Loop Header: Depth=1
                                        ;     Child Loop BB48_14 Depth 2
	v_lshl_add_u64 v[16:17], v[16:17], 0, v[0:1]
	v_cmp_lt_i64_e32 vcc, v[16:17], v[2:3]
	v_mov_b32_e32 v37, s5
	v_mov_b64_e32 v[24:25], v[2:3]
	ds_write_b8 v30, v7 offset:2048
	ds_write2_b32 v34, v7, v7 offset1:4
	s_waitcnt lgkmcnt(0)
	s_and_saveexec_b64 s[20:21], vcc
	s_cbranch_execz .LBB48_19
; %bb.12:                               ;   in Loop: Header=BB48_11 Depth=1
	v_lshlrev_b64 v[22:23], 2, v[16:17]
	v_lshl_add_u64 v[20:21], s[8:9], 0, v[22:23]
	v_lshl_add_u64 v[22:23], s[12:13], 0, v[22:23]
	s_mov_b64 s[22:23], 0
	v_mov_b32_e32 v37, s5
	v_mov_b64_e32 v[24:25], v[2:3]
	s_branch .LBB48_14
.LBB48_13:                              ;   in Loop: Header=BB48_14 Depth=2
	s_or_b64 exec, exec, s[0:1]
	v_lshl_add_u64 v[16:17], v[16:17], 0, 4
	v_cmp_ge_i64_e64 s[0:1], v[16:17], v[2:3]
	s_xor_b64 s[24:25], vcc, -1
	s_or_b64 s[0:1], s[24:25], s[0:1]
	s_and_b64 s[0:1], exec, s[0:1]
	v_lshl_add_u64 v[20:21], v[20:21], 0, 16
	s_or_b64 s[22:23], s[0:1], s[22:23]
	v_lshl_add_u64 v[22:23], v[22:23], 0, 16
	s_andn2_b64 exec, exec, s[22:23]
	s_cbranch_execz .LBB48_18
.LBB48_14:                              ;   Parent Loop BB48_11 Depth=1
                                        ; =>  This Inner Loop Header: Depth=2
	global_load_dword v6, v[22:23], off
	s_waitcnt vmcnt(0)
	v_subrev_u32_e32 v6, s7, v6
	v_sub_u32_e32 v27, 0, v6
	v_max_i32_e32 v27, v6, v27
	v_mul_hi_u32 v28, v27, v35
	v_mul_lo_u32 v29, v28, s28
	v_sub_u32_e32 v27, v27, v29
	v_add_u32_e32 v38, 1, v28
	v_cmp_le_u32_e32 vcc, s28, v27
	v_subrev_u32_e32 v29, s28, v27
	v_ashrrev_i32_e32 v26, 31, v6
	v_cndmask_b32_e32 v28, v28, v38, vcc
	v_cndmask_b32_e32 v27, v27, v29, vcc
	v_add_u32_e32 v29, 1, v28
	v_cmp_le_u32_e32 vcc, s28, v27
	v_xor_b32_e32 v26, s29, v26
	s_nop 0
	v_cndmask_b32_e32 v27, v28, v29, vcc
	v_xor_b32_e32 v27, v27, v26
	v_sub_u32_e32 v26, v27, v26
	v_ashrrev_i32_e32 v27, 31, v26
	v_cmp_eq_u64_e32 vcc, v[18:19], v[26:27]
	v_cmp_ne_u64_e64 s[0:1], v[18:19], v[26:27]
	v_mov_b64_e32 v[28:29], v[24:25]
	s_and_saveexec_b64 s[24:25], s[0:1]
	s_xor_b64 s[0:1], exec, s[24:25]
; %bb.15:                               ;   in Loop: Header=BB48_14 Depth=2
	v_min_i32_e32 v37, v26, v37
                                        ; implicit-def: $vgpr26
                                        ; implicit-def: $vgpr6
                                        ; implicit-def: $vgpr28_vgpr29
; %bb.16:                               ;   in Loop: Header=BB48_14 Depth=2
	s_or_saveexec_b64 s[0:1], s[0:1]
	v_mov_b64_e32 v[24:25], v[16:17]
	s_xor_b64 exec, exec, s[0:1]
	s_cbranch_execz .LBB48_13
; %bb.17:                               ;   in Loop: Header=BB48_14 Depth=2
	global_load_dword v24, v[20:21], off
	v_mul_lo_u32 v25, v26, s6
	v_sub_u32_e32 v6, v6, v25
	v_add_lshl_u32 v6, v31, v6, 2
	ds_write_b8 v30, v36 offset:2048
	s_waitcnt vmcnt(0)
	ds_write_b32 v6, v24
	v_mov_b64_e32 v[24:25], v[28:29]
	s_branch .LBB48_13
.LBB48_18:                              ;   in Loop: Header=BB48_11 Depth=1
	s_or_b64 exec, exec, s[22:23]
.LBB48_19:                              ;   in Loop: Header=BB48_11 Depth=1
	s_or_b64 exec, exec, s[20:21]
	v_mov_b32_dpp v16, v24 row_shr:1 row_mask:0xf bank_mask:0xf
	v_mov_b32_dpp v17, v25 row_shr:1 row_mask:0xf bank_mask:0xf
	v_cmp_lt_i64_e32 vcc, v[16:17], v[24:25]
	s_waitcnt lgkmcnt(0)
	ds_read_u8 v19, v30 offset:2048
	v_cndmask_b32_e32 v17, v25, v17, vcc
	v_cndmask_b32_e32 v16, v24, v16, vcc
	v_mov_b64_e32 v[22:23], 0
	v_mov_b32_dpp v21, v17 row_shr:2 row_mask:0xf bank_mask:0xf
	v_mov_b32_dpp v20, v16 row_shr:2 row_mask:0xf bank_mask:0xf
	v_cmp_lt_i64_e32 vcc, v[20:21], v[16:17]
	s_nop 1
	v_cndmask_b32_e32 v6, v17, v21, vcc
	v_cndmask_b32_e32 v16, v16, v20, vcc
	ds_bpermute_b32 v16, v32, v16
	ds_bpermute_b32 v17, v32, v6
	s_waitcnt lgkmcnt(2)
	v_and_b32_e32 v6, 1, v19
	v_cmp_eq_u32_e32 vcc, 1, v6
	s_and_saveexec_b64 s[0:1], vcc
	s_cbranch_execz .LBB48_10
; %bb.20:                               ;   in Loop: Header=BB48_11 Depth=1
	v_add_u32_e32 v6, s26, v18
	v_lshl_add_u64 v[18:19], v[4:5], 2, s[10:11]
	global_store_dword v[18:19], v6, off
	v_mul_lo_u32 v6, s4, v4
	v_mul_lo_u32 v20, s27, v5
	v_mad_u64_u32 v[18:19], s[20:21], s27, v4, 0
	v_add3_u32 v19, v19, v20, v6
	v_lshlrev_b64 v[18:19], 2, v[18:19]
	v_lshl_add_u64 v[20:21], v[8:9], 0, v[18:19]
	v_lshl_add_u64 v[18:19], v[10:11], 0, v[18:19]
	s_and_saveexec_b64 s[20:21], s[16:17]
	s_cbranch_execz .LBB48_24
; %bb.21:                               ;   in Loop: Header=BB48_11 Depth=1
	s_and_b64 vcc, exec, s[14:15]
	s_cbranch_vccz .LBB48_27
; %bb.22:                               ;   in Loop: Header=BB48_11 Depth=1
	ds_read_b32 v6, v34
	v_lshl_add_u64 v[22:23], v[12:13], 2, v[20:21]
	s_waitcnt lgkmcnt(0)
	global_store_dword v[22:23], v6, off
	s_cbranch_execnz .LBB48_24
.LBB48_23:                              ;   in Loop: Header=BB48_11 Depth=1
	ds_read_b32 v24, v34
	v_lshlrev_b32_e32 v6, 2, v0
	v_lshl_add_u64 v[22:23], v[18:19], 0, v[6:7]
	s_waitcnt lgkmcnt(0)
	global_store_dword v[22:23], v24, off
.LBB48_24:                              ;   in Loop: Header=BB48_11 Depth=1
	s_or_b64 exec, exec, s[20:21]
	v_mov_b64_e32 v[22:23], 1
	s_and_saveexec_b64 s[20:21], s[2:3]
	s_cbranch_execz .LBB48_9
; %bb.25:                               ;   in Loop: Header=BB48_11 Depth=1
	s_andn2_b64 vcc, exec, s[14:15]
	s_cbranch_vccnz .LBB48_28
; %bb.26:                               ;   in Loop: Header=BB48_11 Depth=1
	ds_read_b32 v6, v34 offset:16
	v_lshl_add_u64 v[20:21], v[14:15], 2, v[20:21]
	s_mov_b64 s[22:23], 1
	s_waitcnt lgkmcnt(0)
	global_store_dword v[20:21], v6, off
	s_cbranch_execnz .LBB48_8
	s_branch .LBB48_29
.LBB48_27:                              ;   in Loop: Header=BB48_11 Depth=1
	s_branch .LBB48_23
.LBB48_28:                              ;   in Loop: Header=BB48_11 Depth=1
                                        ; implicit-def: $sgpr22_sgpr23
.LBB48_29:                              ;   in Loop: Header=BB48_11 Depth=1
	ds_read_b32 v20, v34 offset:16
	v_lshlrev_b32_e32 v6, 2, v0
	v_lshl_add_u64 v[18:19], v[18:19], 0, v[6:7]
	s_mov_b64 s[22:23], 1
	s_waitcnt lgkmcnt(0)
	global_store_dword v[18:19], v20, off offset:16
	s_branch .LBB48_8
.LBB48_30:
	s_endpgm
	.section	.rodata,"a",@progbits
	.p2align	6, 0x0
	.amdhsa_kernel _ZN9rocsparseL42csr2bsr_wavefront_per_row_multipass_kernelILj256ELj32ELj8EfliEEv20rocsparse_direction_T4_S2_S2_S2_S2_21rocsparse_index_base_PKT2_PKT3_PKS2_S3_PS4_PS7_PS2_
		.amdhsa_group_segment_fixed_size 2056
		.amdhsa_private_segment_fixed_size 0
		.amdhsa_kernarg_size 88
		.amdhsa_user_sgpr_count 2
		.amdhsa_user_sgpr_dispatch_ptr 0
		.amdhsa_user_sgpr_queue_ptr 0
		.amdhsa_user_sgpr_kernarg_segment_ptr 1
		.amdhsa_user_sgpr_dispatch_id 0
		.amdhsa_user_sgpr_kernarg_preload_length 0
		.amdhsa_user_sgpr_kernarg_preload_offset 0
		.amdhsa_user_sgpr_private_segment_size 0
		.amdhsa_uses_dynamic_stack 0
		.amdhsa_enable_private_segment 0
		.amdhsa_system_sgpr_workgroup_id_x 1
		.amdhsa_system_sgpr_workgroup_id_y 0
		.amdhsa_system_sgpr_workgroup_id_z 0
		.amdhsa_system_sgpr_workgroup_info 0
		.amdhsa_system_vgpr_workitem_id 0
		.amdhsa_next_free_vgpr 39
		.amdhsa_next_free_sgpr 30
		.amdhsa_accum_offset 40
		.amdhsa_reserve_vcc 1
		.amdhsa_float_round_mode_32 0
		.amdhsa_float_round_mode_16_64 0
		.amdhsa_float_denorm_mode_32 3
		.amdhsa_float_denorm_mode_16_64 3
		.amdhsa_dx10_clamp 1
		.amdhsa_ieee_mode 1
		.amdhsa_fp16_overflow 0
		.amdhsa_tg_split 0
		.amdhsa_exception_fp_ieee_invalid_op 0
		.amdhsa_exception_fp_denorm_src 0
		.amdhsa_exception_fp_ieee_div_zero 0
		.amdhsa_exception_fp_ieee_overflow 0
		.amdhsa_exception_fp_ieee_underflow 0
		.amdhsa_exception_fp_ieee_inexact 0
		.amdhsa_exception_int_div_zero 0
	.end_amdhsa_kernel
	.section	.text._ZN9rocsparseL42csr2bsr_wavefront_per_row_multipass_kernelILj256ELj32ELj8EfliEEv20rocsparse_direction_T4_S2_S2_S2_S2_21rocsparse_index_base_PKT2_PKT3_PKS2_S3_PS4_PS7_PS2_,"axG",@progbits,_ZN9rocsparseL42csr2bsr_wavefront_per_row_multipass_kernelILj256ELj32ELj8EfliEEv20rocsparse_direction_T4_S2_S2_S2_S2_21rocsparse_index_base_PKT2_PKT3_PKS2_S3_PS4_PS7_PS2_,comdat
.Lfunc_end48:
	.size	_ZN9rocsparseL42csr2bsr_wavefront_per_row_multipass_kernelILj256ELj32ELj8EfliEEv20rocsparse_direction_T4_S2_S2_S2_S2_21rocsparse_index_base_PKT2_PKT3_PKS2_S3_PS4_PS7_PS2_, .Lfunc_end48-_ZN9rocsparseL42csr2bsr_wavefront_per_row_multipass_kernelILj256ELj32ELj8EfliEEv20rocsparse_direction_T4_S2_S2_S2_S2_21rocsparse_index_base_PKT2_PKT3_PKS2_S3_PS4_PS7_PS2_
                                        ; -- End function
	.section	.AMDGPU.csdata,"",@progbits
; Kernel info:
; codeLenInByte = 1416
; NumSgprs: 36
; NumVgprs: 39
; NumAgprs: 0
; TotalNumVgprs: 39
; ScratchSize: 0
; MemoryBound: 0
; FloatMode: 240
; IeeeMode: 1
; LDSByteSize: 2056 bytes/workgroup (compile time only)
; SGPRBlocks: 4
; VGPRBlocks: 4
; NumSGPRsForWavesPerEU: 36
; NumVGPRsForWavesPerEU: 39
; AccumOffset: 40
; Occupancy: 8
; WaveLimiterHint : 0
; COMPUTE_PGM_RSRC2:SCRATCH_EN: 0
; COMPUTE_PGM_RSRC2:USER_SGPR: 2
; COMPUTE_PGM_RSRC2:TRAP_HANDLER: 0
; COMPUTE_PGM_RSRC2:TGID_X_EN: 1
; COMPUTE_PGM_RSRC2:TGID_Y_EN: 0
; COMPUTE_PGM_RSRC2:TGID_Z_EN: 0
; COMPUTE_PGM_RSRC2:TIDIG_COMP_CNT: 0
; COMPUTE_PGM_RSRC3_GFX90A:ACCUM_OFFSET: 9
; COMPUTE_PGM_RSRC3_GFX90A:TG_SPLIT: 0
	.section	.text._ZN9rocsparseL42csr2bsr_wavefront_per_row_multipass_kernelILj256ELj64ELj16EfliEEv20rocsparse_direction_T4_S2_S2_S2_S2_21rocsparse_index_base_PKT2_PKT3_PKS2_S3_PS4_PS7_PS2_,"axG",@progbits,_ZN9rocsparseL42csr2bsr_wavefront_per_row_multipass_kernelILj256ELj64ELj16EfliEEv20rocsparse_direction_T4_S2_S2_S2_S2_21rocsparse_index_base_PKT2_PKT3_PKS2_S3_PS4_PS7_PS2_,comdat
	.globl	_ZN9rocsparseL42csr2bsr_wavefront_per_row_multipass_kernelILj256ELj64ELj16EfliEEv20rocsparse_direction_T4_S2_S2_S2_S2_21rocsparse_index_base_PKT2_PKT3_PKS2_S3_PS4_PS7_PS2_ ; -- Begin function _ZN9rocsparseL42csr2bsr_wavefront_per_row_multipass_kernelILj256ELj64ELj16EfliEEv20rocsparse_direction_T4_S2_S2_S2_S2_21rocsparse_index_base_PKT2_PKT3_PKS2_S3_PS4_PS7_PS2_
	.p2align	8
	.type	_ZN9rocsparseL42csr2bsr_wavefront_per_row_multipass_kernelILj256ELj64ELj16EfliEEv20rocsparse_direction_T4_S2_S2_S2_S2_21rocsparse_index_base_PKT2_PKT3_PKS2_S3_PS4_PS7_PS2_,@function
_ZN9rocsparseL42csr2bsr_wavefront_per_row_multipass_kernelILj256ELj64ELj16EfliEEv20rocsparse_direction_T4_S2_S2_S2_S2_21rocsparse_index_base_PKT2_PKT3_PKS2_S3_PS4_PS7_PS2_: ; @_ZN9rocsparseL42csr2bsr_wavefront_per_row_multipass_kernelILj256ELj64ELj16EfliEEv20rocsparse_direction_T4_S2_S2_S2_S2_21rocsparse_index_base_PKT2_PKT3_PKS2_S3_PS4_PS7_PS2_
; %bb.0:
	s_load_dwordx2 s[4:5], s[0:1], 0x0
	s_load_dwordx4 s[8:11], s[0:1], 0xc
	s_load_dwordx2 s[6:7], s[0:1], 0x28
	v_lshrrev_b32_e32 v34, 6, v0
	v_bfe_u32 v10, v0, 2, 4
	v_lshl_or_b32 v6, s2, 2, v34
	s_waitcnt lgkmcnt(0)
	v_mad_u64_u32 v[4:5], s[2:3], v6, s10, v[10:11]
	v_cmp_gt_i32_e64 s[2:3], s5, v4
	v_cmp_gt_i32_e32 vcc, s10, v10
	v_mov_b64_e32 v[2:3], 0
	s_and_b64 s[12:13], vcc, s[2:3]
	v_mov_b64_e32 v[20:21], v[2:3]
	s_and_saveexec_b64 s[14:15], s[12:13]
	s_cbranch_execz .LBB49_2
; %bb.1:
	v_ashrrev_i32_e32 v5, 31, v4
	v_lshl_add_u64 v[8:9], v[4:5], 3, s[6:7]
	global_load_dwordx2 v[8:9], v[8:9], off
	s_waitcnt vmcnt(0)
	v_subrev_co_u32_e64 v20, s[2:3], s11, v8
	s_nop 1
	v_subbrev_co_u32_e64 v21, s[2:3], 0, v9, s[2:3]
.LBB49_2:
	s_or_b64 exec, exec, s[14:15]
	s_and_saveexec_b64 s[14:15], s[12:13]
	s_cbranch_execz .LBB49_4
; %bb.3:
	v_ashrrev_i32_e32 v5, 31, v4
	v_lshl_add_u64 v[2:3], v[4:5], 3, s[6:7]
	global_load_dwordx2 v[2:3], v[2:3], off offset:8
	s_waitcnt vmcnt(0)
	v_subrev_co_u32_e64 v2, s[2:3], s11, v2
	s_nop 1
	v_subbrev_co_u32_e64 v3, s[2:3], 0, v3, s[2:3]
.LBB49_4:
	s_or_b64 exec, exec, s[14:15]
	s_load_dword s30, s[0:1], 0x38
	v_cmp_gt_i32_e64 s[2:3], s8, v6
	v_mov_b64_e32 v[4:5], 0
	s_and_saveexec_b64 s[6:7], s[2:3]
	s_cbranch_execz .LBB49_6
; %bb.5:
	s_load_dwordx2 s[2:3], s[0:1], 0x48
	v_ashrrev_i32_e32 v7, 31, v6
	s_waitcnt lgkmcnt(0)
	v_lshl_add_u64 v[4:5], v[6:7], 3, s[2:3]
	global_load_dwordx2 v[4:5], v[4:5], off
	s_waitcnt vmcnt(0)
	v_subrev_co_u32_e64 v4, s[2:3], s30, v4
	s_nop 1
	v_subbrev_co_u32_e64 v5, s[2:3], 0, v5, s[2:3]
.LBB49_6:
	s_or_b64 exec, exec, s[6:7]
	s_cmp_lt_i32 s9, 1
	s_cbranch_scc1 .LBB49_40
; %bb.7:
	s_load_dwordx2 s[12:13], s[0:1], 0x20
	s_load_dwordx2 s[14:15], s[0:1], 0x50
	;; [unrolled: 1-line block ×4, first 2 shown]
	v_mbcnt_lo_u32_b32 v6, -1, 0
	v_mbcnt_hi_u32_b32 v6, -1, v6
	v_lshlrev_b32_e32 v1, 8, v34
	v_mov_b32_e32 v7, 0
	v_lshlrev_b32_e32 v12, 2, v6
	s_cmp_lg_u32 s4, 0
	v_lshlrev_b32_e32 v6, 2, v10
	v_and_b32_e32 v0, 3, v0
	v_lshl_or_b32 v35, v10, 4, v1
	s_cselect_b64 s[18:19], -1, 0
	s_waitcnt lgkmcnt(0)
	v_lshl_add_u64 v[8:9], s[2:3], 0, v[6:7]
	v_mul_lo_u32 v6, v10, s10
	s_abs_i32 s33, s10
	v_lshl_add_u64 v[10:11], v[6:7], 2, s[2:3]
	v_or_b32_e32 v6, v35, v0
	v_cvt_f32_u32_e32 v22, s33
	v_lshlrev_b32_e32 v38, 2, v6
	v_or_b32_e32 v6, 4, v0
	v_cmp_gt_u32_e64 s[2:3], s10, v6
	v_or_b32_e32 v6, 8, v0
	v_cmp_gt_u32_e64 s[4:5], s10, v6
	;; [unrolled: 2-line block ×3, first 2 shown]
	v_rcp_iflag_f32_e32 v6, v22
	v_or_b32_e32 v36, 12, v12
	v_or_b32_e32 v37, 0xfc, v12
	v_mul_lo_u32 v12, v0, s10
	v_mul_f32_e32 v6, 0x4f7ffffe, v6
	s_lshl_b32 s20, s10, 2
	v_cvt_u32_f32_e32 v6, v6
	v_add_u32_e32 v14, s20, v12
	v_cmp_gt_u32_e64 s[0:1], s10, v0
	v_add_u32_e32 v16, s20, v14
	v_add_u32_e32 v18, s20, v16
	s_and_b64 s[20:21], s[0:1], vcc
	s_sub_i32 s0, 0, s33
	v_mul_lo_u32 v22, s0, v6
	v_mul_hi_u32 v22, v6, v22
	v_mov_b32_e32 v1, v7
	s_mul_hi_u32 s8, s10, s10
	s_mul_i32 s31, s10, s10
	v_mov_b32_e32 v13, v7
	v_mov_b32_e32 v15, v7
	;; [unrolled: 1-line block ×4, first 2 shown]
	s_and_b64 s[2:3], vcc, s[2:3]
	s_and_b64 s[4:5], vcc, s[4:5]
	;; [unrolled: 1-line block ×3, first 2 shown]
	s_ashr_i32 s34, s10, 31
	v_add_u32_e32 v39, v6, v22
	s_mov_b64 s[22:23], 0
	v_mov_b64_e32 v[22:23], 0
	v_mov_b32_e32 v40, 1
	s_branch .LBB49_11
.LBB49_8:                               ;   in Loop: Header=BB49_11 Depth=1
	v_mov_b64_e32 v[26:27], s[0:1]
.LBB49_9:                               ;   in Loop: Header=BB49_11 Depth=1
	s_or_b64 exec, exec, s[26:27]
.LBB49_10:                              ;   in Loop: Header=BB49_11 Depth=1
	s_or_b64 exec, exec, s[24:25]
	v_mov_b32_dpp v6, v41 row_shr:1 row_mask:0xf bank_mask:0xf
	v_min_i32_e32 v6, v6, v41
	v_lshl_add_u64 v[4:5], v[26:27], 0, v[4:5]
	s_waitcnt lgkmcnt(0)
	v_mov_b32_dpp v22, v6 row_shr:2 row_mask:0xf bank_mask:0xf
	v_min_i32_e32 v6, v22, v6
	s_nop 1
	v_mov_b32_dpp v22, v6 row_shr:4 row_mask:0xf bank_mask:0xe
	v_min_i32_e32 v6, v22, v6
	s_nop 1
	;; [unrolled: 3-line block ×3, first 2 shown]
	v_mov_b32_dpp v22, v6 row_bcast:15 row_mask:0xa bank_mask:0xf
	v_min_i32_e32 v6, v22, v6
	s_nop 1
	v_mov_b32_dpp v22, v6 row_bcast:31 row_mask:0xc bank_mask:0xf
	v_min_i32_e32 v6, v22, v6
	ds_bpermute_b32 v22, v37, v6
	s_waitcnt lgkmcnt(0)
	v_cmp_le_i32_e32 vcc, s9, v22
	v_ashrrev_i32_e32 v23, 31, v22
	s_or_b64 s[22:23], vcc, s[22:23]
	s_andn2_b64 exec, exec, s[22:23]
	s_cbranch_execz .LBB49_40
.LBB49_11:                              ; =>This Loop Header: Depth=1
                                        ;     Child Loop BB49_14 Depth 2
	v_lshl_add_u64 v[20:21], v[20:21], 0, v[0:1]
	v_cmp_lt_i64_e32 vcc, v[20:21], v[2:3]
	v_mov_b32_e32 v41, s9
	v_mov_b64_e32 v[28:29], v[2:3]
	ds_write_b8 v34, v7 offset:4096
	ds_write2_b32 v38, v7, v7 offset1:4
	ds_write2_b32 v38, v7, v7 offset0:8 offset1:12
	s_waitcnt lgkmcnt(0)
	s_and_saveexec_b64 s[24:25], vcc
	s_cbranch_execz .LBB49_19
; %bb.12:                               ;   in Loop: Header=BB49_11 Depth=1
	v_lshlrev_b64 v[26:27], 2, v[20:21]
	v_lshl_add_u64 v[24:25], s[12:13], 0, v[26:27]
	v_lshl_add_u64 v[26:27], s[16:17], 0, v[26:27]
	s_mov_b64 s[26:27], 0
	v_mov_b32_e32 v41, s9
	v_mov_b64_e32 v[28:29], v[2:3]
	s_branch .LBB49_14
.LBB49_13:                              ;   in Loop: Header=BB49_14 Depth=2
	s_or_b64 exec, exec, s[0:1]
	v_lshl_add_u64 v[20:21], v[20:21], 0, 4
	v_cmp_ge_i64_e64 s[0:1], v[20:21], v[2:3]
	s_xor_b64 s[28:29], vcc, -1
	s_or_b64 s[0:1], s[28:29], s[0:1]
	s_and_b64 s[0:1], exec, s[0:1]
	v_lshl_add_u64 v[24:25], v[24:25], 0, 16
	s_or_b64 s[26:27], s[0:1], s[26:27]
	v_lshl_add_u64 v[26:27], v[26:27], 0, 16
	s_andn2_b64 exec, exec, s[26:27]
	s_cbranch_execz .LBB49_18
.LBB49_14:                              ;   Parent Loop BB49_11 Depth=1
                                        ; =>  This Inner Loop Header: Depth=2
	global_load_dword v6, v[26:27], off
	s_waitcnt vmcnt(0)
	v_subrev_u32_e32 v6, s11, v6
	v_sub_u32_e32 v31, 0, v6
	v_max_i32_e32 v31, v6, v31
	v_mul_hi_u32 v32, v31, v39
	v_mul_lo_u32 v33, v32, s33
	v_sub_u32_e32 v31, v31, v33
	v_add_u32_e32 v42, 1, v32
	v_cmp_le_u32_e32 vcc, s33, v31
	v_subrev_u32_e32 v33, s33, v31
	v_ashrrev_i32_e32 v30, 31, v6
	v_cndmask_b32_e32 v32, v32, v42, vcc
	v_cndmask_b32_e32 v31, v31, v33, vcc
	v_add_u32_e32 v33, 1, v32
	v_cmp_le_u32_e32 vcc, s33, v31
	v_xor_b32_e32 v30, s34, v30
	s_nop 0
	v_cndmask_b32_e32 v31, v32, v33, vcc
	v_xor_b32_e32 v31, v31, v30
	v_sub_u32_e32 v30, v31, v30
	v_ashrrev_i32_e32 v31, 31, v30
	v_cmp_eq_u64_e32 vcc, v[22:23], v[30:31]
	v_cmp_ne_u64_e64 s[0:1], v[22:23], v[30:31]
	v_mov_b64_e32 v[32:33], v[28:29]
	s_and_saveexec_b64 s[28:29], s[0:1]
	s_xor_b64 s[0:1], exec, s[28:29]
; %bb.15:                               ;   in Loop: Header=BB49_14 Depth=2
	v_min_i32_e32 v41, v30, v41
                                        ; implicit-def: $vgpr30
                                        ; implicit-def: $vgpr6
                                        ; implicit-def: $vgpr32_vgpr33
; %bb.16:                               ;   in Loop: Header=BB49_14 Depth=2
	s_or_saveexec_b64 s[0:1], s[0:1]
	v_mov_b64_e32 v[28:29], v[20:21]
	s_xor_b64 exec, exec, s[0:1]
	s_cbranch_execz .LBB49_13
; %bb.17:                               ;   in Loop: Header=BB49_14 Depth=2
	global_load_dword v28, v[24:25], off
	v_mul_lo_u32 v29, v30, s10
	v_sub_u32_e32 v6, v6, v29
	v_add_lshl_u32 v6, v35, v6, 2
	ds_write_b8 v34, v40 offset:4096
	s_waitcnt vmcnt(0)
	ds_write_b32 v6, v28
	v_mov_b64_e32 v[28:29], v[32:33]
	s_branch .LBB49_13
.LBB49_18:                              ;   in Loop: Header=BB49_11 Depth=1
	s_or_b64 exec, exec, s[26:27]
.LBB49_19:                              ;   in Loop: Header=BB49_11 Depth=1
	s_or_b64 exec, exec, s[24:25]
	v_mov_b32_dpp v20, v28 row_shr:1 row_mask:0xf bank_mask:0xf
	v_mov_b32_dpp v21, v29 row_shr:1 row_mask:0xf bank_mask:0xf
	v_cmp_lt_i64_e32 vcc, v[20:21], v[28:29]
	s_waitcnt lgkmcnt(0)
	ds_read_u8 v23, v34 offset:4096
	v_cndmask_b32_e32 v21, v29, v21, vcc
	v_cndmask_b32_e32 v20, v28, v20, vcc
	v_mov_b64_e32 v[26:27], 0
	v_mov_b32_dpp v25, v21 row_shr:2 row_mask:0xf bank_mask:0xf
	v_mov_b32_dpp v24, v20 row_shr:2 row_mask:0xf bank_mask:0xf
	v_cmp_lt_i64_e32 vcc, v[24:25], v[20:21]
	s_nop 1
	v_cndmask_b32_e32 v6, v21, v25, vcc
	v_cndmask_b32_e32 v20, v20, v24, vcc
	ds_bpermute_b32 v20, v36, v20
	ds_bpermute_b32 v21, v36, v6
	s_waitcnt lgkmcnt(2)
	v_and_b32_e32 v6, 1, v23
	v_cmp_eq_u32_e32 vcc, 1, v6
	s_and_saveexec_b64 s[24:25], vcc
	s_cbranch_execz .LBB49_10
; %bb.20:                               ;   in Loop: Header=BB49_11 Depth=1
	v_add_u32_e32 v6, s30, v22
	v_lshl_add_u64 v[22:23], v[4:5], 2, s[14:15]
	global_store_dword v[22:23], v6, off
	v_mul_lo_u32 v6, s8, v4
	v_mul_lo_u32 v24, s31, v5
	v_mad_u64_u32 v[22:23], s[0:1], s31, v4, 0
	v_add3_u32 v23, v23, v24, v6
	v_lshlrev_b64 v[22:23], 2, v[22:23]
	v_lshl_add_u64 v[24:25], v[8:9], 0, v[22:23]
	v_lshl_add_u64 v[22:23], v[10:11], 0, v[22:23]
	s_and_saveexec_b64 s[0:1], s[20:21]
	s_cbranch_execz .LBB49_24
; %bb.21:                               ;   in Loop: Header=BB49_11 Depth=1
	s_and_b64 vcc, exec, s[18:19]
	s_cbranch_vccz .LBB49_35
; %bb.22:                               ;   in Loop: Header=BB49_11 Depth=1
	ds_read_b32 v6, v38
	v_lshl_add_u64 v[26:27], v[12:13], 2, v[24:25]
	s_waitcnt lgkmcnt(0)
	global_store_dword v[26:27], v6, off
	s_cbranch_execnz .LBB49_24
.LBB49_23:                              ;   in Loop: Header=BB49_11 Depth=1
	ds_read_b32 v28, v38
	v_lshlrev_b32_e32 v6, 2, v0
	v_lshl_add_u64 v[26:27], v[22:23], 0, v[6:7]
	s_waitcnt lgkmcnt(0)
	global_store_dword v[26:27], v28, off
.LBB49_24:                              ;   in Loop: Header=BB49_11 Depth=1
	s_or_b64 exec, exec, s[0:1]
	v_cndmask_b32_e64 v6, 0, 1, s[18:19]
	v_cmp_ne_u32_e64 s[0:1], 1, v6
	s_and_saveexec_b64 s[26:27], s[2:3]
	s_cbranch_execz .LBB49_28
; %bb.25:                               ;   in Loop: Header=BB49_11 Depth=1
	s_and_b64 vcc, exec, s[0:1]
	s_cbranch_vccnz .LBB49_36
; %bb.26:                               ;   in Loop: Header=BB49_11 Depth=1
	ds_read_b32 v6, v38 offset:16
	v_lshl_add_u64 v[26:27], v[14:15], 2, v[24:25]
	s_waitcnt lgkmcnt(0)
	global_store_dword v[26:27], v6, off
	s_cbranch_execnz .LBB49_28
.LBB49_27:                              ;   in Loop: Header=BB49_11 Depth=1
	ds_read_b32 v28, v38 offset:16
	v_lshlrev_b32_e32 v6, 2, v0
	v_lshl_add_u64 v[26:27], v[22:23], 0, v[6:7]
	s_waitcnt lgkmcnt(0)
	global_store_dword v[26:27], v28, off offset:16
.LBB49_28:                              ;   in Loop: Header=BB49_11 Depth=1
	s_or_b64 exec, exec, s[26:27]
	s_and_saveexec_b64 s[26:27], s[4:5]
	s_cbranch_execz .LBB49_32
; %bb.29:                               ;   in Loop: Header=BB49_11 Depth=1
	s_and_b64 vcc, exec, s[0:1]
	s_cbranch_vccnz .LBB49_37
; %bb.30:                               ;   in Loop: Header=BB49_11 Depth=1
	ds_read_b32 v6, v38 offset:32
	v_lshl_add_u64 v[26:27], v[16:17], 2, v[24:25]
	s_waitcnt lgkmcnt(0)
	global_store_dword v[26:27], v6, off
	s_cbranch_execnz .LBB49_32
.LBB49_31:                              ;   in Loop: Header=BB49_11 Depth=1
	ds_read_b32 v28, v38 offset:32
	v_lshlrev_b32_e32 v6, 2, v0
	v_lshl_add_u64 v[26:27], v[22:23], 0, v[6:7]
	s_waitcnt lgkmcnt(0)
	global_store_dword v[26:27], v28, off offset:32
.LBB49_32:                              ;   in Loop: Header=BB49_11 Depth=1
	s_or_b64 exec, exec, s[26:27]
	v_mov_b64_e32 v[26:27], 1
	s_and_saveexec_b64 s[26:27], s[6:7]
	s_cbranch_execz .LBB49_9
; %bb.33:                               ;   in Loop: Header=BB49_11 Depth=1
	s_and_b64 vcc, exec, s[0:1]
	s_cbranch_vccnz .LBB49_38
; %bb.34:                               ;   in Loop: Header=BB49_11 Depth=1
	ds_read_b32 v6, v38 offset:48
	v_lshl_add_u64 v[24:25], v[18:19], 2, v[24:25]
	s_mov_b64 s[0:1], 1
	s_waitcnt lgkmcnt(0)
	global_store_dword v[24:25], v6, off
	s_cbranch_execnz .LBB49_8
	s_branch .LBB49_39
.LBB49_35:                              ;   in Loop: Header=BB49_11 Depth=1
	s_branch .LBB49_23
.LBB49_36:                              ;   in Loop: Header=BB49_11 Depth=1
	s_branch .LBB49_27
.LBB49_37:                              ;   in Loop: Header=BB49_11 Depth=1
	s_branch .LBB49_31
.LBB49_38:                              ;   in Loop: Header=BB49_11 Depth=1
                                        ; implicit-def: $sgpr0_sgpr1
.LBB49_39:                              ;   in Loop: Header=BB49_11 Depth=1
	ds_read_b32 v24, v38 offset:48
	v_lshlrev_b32_e32 v6, 2, v0
	v_lshl_add_u64 v[22:23], v[22:23], 0, v[6:7]
	s_mov_b64 s[0:1], 1
	s_waitcnt lgkmcnt(0)
	global_store_dword v[22:23], v24, off offset:48
	s_branch .LBB49_8
.LBB49_40:
	s_endpgm
	.section	.rodata,"a",@progbits
	.p2align	6, 0x0
	.amdhsa_kernel _ZN9rocsparseL42csr2bsr_wavefront_per_row_multipass_kernelILj256ELj64ELj16EfliEEv20rocsparse_direction_T4_S2_S2_S2_S2_21rocsparse_index_base_PKT2_PKT3_PKS2_S3_PS4_PS7_PS2_
		.amdhsa_group_segment_fixed_size 4100
		.amdhsa_private_segment_fixed_size 0
		.amdhsa_kernarg_size 88
		.amdhsa_user_sgpr_count 2
		.amdhsa_user_sgpr_dispatch_ptr 0
		.amdhsa_user_sgpr_queue_ptr 0
		.amdhsa_user_sgpr_kernarg_segment_ptr 1
		.amdhsa_user_sgpr_dispatch_id 0
		.amdhsa_user_sgpr_kernarg_preload_length 0
		.amdhsa_user_sgpr_kernarg_preload_offset 0
		.amdhsa_user_sgpr_private_segment_size 0
		.amdhsa_uses_dynamic_stack 0
		.amdhsa_enable_private_segment 0
		.amdhsa_system_sgpr_workgroup_id_x 1
		.amdhsa_system_sgpr_workgroup_id_y 0
		.amdhsa_system_sgpr_workgroup_id_z 0
		.amdhsa_system_sgpr_workgroup_info 0
		.amdhsa_system_vgpr_workitem_id 0
		.amdhsa_next_free_vgpr 43
		.amdhsa_next_free_sgpr 35
		.amdhsa_accum_offset 44
		.amdhsa_reserve_vcc 1
		.amdhsa_float_round_mode_32 0
		.amdhsa_float_round_mode_16_64 0
		.amdhsa_float_denorm_mode_32 3
		.amdhsa_float_denorm_mode_16_64 3
		.amdhsa_dx10_clamp 1
		.amdhsa_ieee_mode 1
		.amdhsa_fp16_overflow 0
		.amdhsa_tg_split 0
		.amdhsa_exception_fp_ieee_invalid_op 0
		.amdhsa_exception_fp_denorm_src 0
		.amdhsa_exception_fp_ieee_div_zero 0
		.amdhsa_exception_fp_ieee_overflow 0
		.amdhsa_exception_fp_ieee_underflow 0
		.amdhsa_exception_fp_ieee_inexact 0
		.amdhsa_exception_int_div_zero 0
	.end_amdhsa_kernel
	.section	.text._ZN9rocsparseL42csr2bsr_wavefront_per_row_multipass_kernelILj256ELj64ELj16EfliEEv20rocsparse_direction_T4_S2_S2_S2_S2_21rocsparse_index_base_PKT2_PKT3_PKS2_S3_PS4_PS7_PS2_,"axG",@progbits,_ZN9rocsparseL42csr2bsr_wavefront_per_row_multipass_kernelILj256ELj64ELj16EfliEEv20rocsparse_direction_T4_S2_S2_S2_S2_21rocsparse_index_base_PKT2_PKT3_PKS2_S3_PS4_PS7_PS2_,comdat
.Lfunc_end49:
	.size	_ZN9rocsparseL42csr2bsr_wavefront_per_row_multipass_kernelILj256ELj64ELj16EfliEEv20rocsparse_direction_T4_S2_S2_S2_S2_21rocsparse_index_base_PKT2_PKT3_PKS2_S3_PS4_PS7_PS2_, .Lfunc_end49-_ZN9rocsparseL42csr2bsr_wavefront_per_row_multipass_kernelILj256ELj64ELj16EfliEEv20rocsparse_direction_T4_S2_S2_S2_S2_21rocsparse_index_base_PKT2_PKT3_PKS2_S3_PS4_PS7_PS2_
                                        ; -- End function
	.section	.AMDGPU.csdata,"",@progbits
; Kernel info:
; codeLenInByte = 1680
; NumSgprs: 41
; NumVgprs: 43
; NumAgprs: 0
; TotalNumVgprs: 43
; ScratchSize: 0
; MemoryBound: 0
; FloatMode: 240
; IeeeMode: 1
; LDSByteSize: 4100 bytes/workgroup (compile time only)
; SGPRBlocks: 5
; VGPRBlocks: 5
; NumSGPRsForWavesPerEU: 41
; NumVGPRsForWavesPerEU: 43
; AccumOffset: 44
; Occupancy: 8
; WaveLimiterHint : 0
; COMPUTE_PGM_RSRC2:SCRATCH_EN: 0
; COMPUTE_PGM_RSRC2:USER_SGPR: 2
; COMPUTE_PGM_RSRC2:TRAP_HANDLER: 0
; COMPUTE_PGM_RSRC2:TGID_X_EN: 1
; COMPUTE_PGM_RSRC2:TGID_Y_EN: 0
; COMPUTE_PGM_RSRC2:TGID_Z_EN: 0
; COMPUTE_PGM_RSRC2:TIDIG_COMP_CNT: 0
; COMPUTE_PGM_RSRC3_GFX90A:ACCUM_OFFSET: 10
; COMPUTE_PGM_RSRC3_GFX90A:TG_SPLIT: 0
	.section	.text._ZN9rocsparseL42csr2bsr_wavefront_per_row_multipass_kernelILj256ELj32ELj16EfliEEv20rocsparse_direction_T4_S2_S2_S2_S2_21rocsparse_index_base_PKT2_PKT3_PKS2_S3_PS4_PS7_PS2_,"axG",@progbits,_ZN9rocsparseL42csr2bsr_wavefront_per_row_multipass_kernelILj256ELj32ELj16EfliEEv20rocsparse_direction_T4_S2_S2_S2_S2_21rocsparse_index_base_PKT2_PKT3_PKS2_S3_PS4_PS7_PS2_,comdat
	.globl	_ZN9rocsparseL42csr2bsr_wavefront_per_row_multipass_kernelILj256ELj32ELj16EfliEEv20rocsparse_direction_T4_S2_S2_S2_S2_21rocsparse_index_base_PKT2_PKT3_PKS2_S3_PS4_PS7_PS2_ ; -- Begin function _ZN9rocsparseL42csr2bsr_wavefront_per_row_multipass_kernelILj256ELj32ELj16EfliEEv20rocsparse_direction_T4_S2_S2_S2_S2_21rocsparse_index_base_PKT2_PKT3_PKS2_S3_PS4_PS7_PS2_
	.p2align	8
	.type	_ZN9rocsparseL42csr2bsr_wavefront_per_row_multipass_kernelILj256ELj32ELj16EfliEEv20rocsparse_direction_T4_S2_S2_S2_S2_21rocsparse_index_base_PKT2_PKT3_PKS2_S3_PS4_PS7_PS2_,@function
_ZN9rocsparseL42csr2bsr_wavefront_per_row_multipass_kernelILj256ELj32ELj16EfliEEv20rocsparse_direction_T4_S2_S2_S2_S2_21rocsparse_index_base_PKT2_PKT3_PKS2_S3_PS4_PS7_PS2_: ; @_ZN9rocsparseL42csr2bsr_wavefront_per_row_multipass_kernelILj256ELj32ELj16EfliEEv20rocsparse_direction_T4_S2_S2_S2_S2_21rocsparse_index_base_PKT2_PKT3_PKS2_S3_PS4_PS7_PS2_
; %bb.0:
	s_load_dwordx2 s[4:5], s[0:1], 0x0
	s_load_dwordx4 s[16:19], s[0:1], 0xc
	s_load_dwordx2 s[6:7], s[0:1], 0x28
	v_lshrrev_b32_e32 v42, 5, v0
	v_bfe_u32 v10, v0, 1, 4
	v_lshl_or_b32 v6, s2, 3, v42
	s_waitcnt lgkmcnt(0)
	v_mad_u64_u32 v[4:5], s[2:3], v6, s18, v[10:11]
	v_cmp_gt_i32_e64 s[2:3], s5, v4
	v_cmp_gt_i32_e32 vcc, s18, v10
	v_mov_b64_e32 v[2:3], 0
	s_and_b64 s[8:9], vcc, s[2:3]
	v_mov_b64_e32 v[28:29], v[2:3]
	s_and_saveexec_b64 s[10:11], s[8:9]
	s_cbranch_execz .LBB50_2
; %bb.1:
	v_ashrrev_i32_e32 v5, 31, v4
	v_lshl_add_u64 v[8:9], v[4:5], 3, s[6:7]
	global_load_dwordx2 v[8:9], v[8:9], off
	s_waitcnt vmcnt(0)
	v_subrev_co_u32_e64 v28, s[2:3], s19, v8
	s_nop 1
	v_subbrev_co_u32_e64 v29, s[2:3], 0, v9, s[2:3]
.LBB50_2:
	s_or_b64 exec, exec, s[10:11]
	s_and_saveexec_b64 s[10:11], s[8:9]
	s_cbranch_execz .LBB50_4
; %bb.3:
	v_ashrrev_i32_e32 v5, 31, v4
	v_lshl_add_u64 v[2:3], v[4:5], 3, s[6:7]
	global_load_dwordx2 v[2:3], v[2:3], off offset:8
	s_waitcnt vmcnt(0)
	v_subrev_co_u32_e64 v2, s[2:3], s19, v2
	s_nop 1
	v_subbrev_co_u32_e64 v3, s[2:3], 0, v3, s[2:3]
.LBB50_4:
	s_or_b64 exec, exec, s[10:11]
	s_load_dword s33, s[0:1], 0x38
	v_cmp_gt_i32_e64 s[2:3], s16, v6
	v_mov_b64_e32 v[4:5], 0
	s_and_saveexec_b64 s[6:7], s[2:3]
	s_cbranch_execz .LBB50_6
; %bb.5:
	s_load_dwordx2 s[2:3], s[0:1], 0x48
	v_ashrrev_i32_e32 v7, 31, v6
	s_waitcnt lgkmcnt(0)
	v_lshl_add_u64 v[4:5], v[6:7], 3, s[2:3]
	global_load_dwordx2 v[4:5], v[4:5], off
	s_waitcnt vmcnt(0)
	v_subrev_co_u32_e64 v4, s[2:3], s33, v4
	s_nop 1
	v_subbrev_co_u32_e64 v5, s[2:3], 0, v5, s[2:3]
.LBB50_6:
	s_or_b64 exec, exec, s[6:7]
	s_cmp_lt_i32 s17, 1
	s_cbranch_scc1 .LBB50_60
; %bb.7:
	s_load_dwordx2 s[20:21], s[0:1], 0x20
	s_load_dwordx2 s[22:23], s[0:1], 0x50
	;; [unrolled: 1-line block ×4, first 2 shown]
	v_mbcnt_lo_u32_b32 v6, -1, 0
	v_mbcnt_hi_u32_b32 v6, -1, v6
	v_lshlrev_b32_e32 v1, 8, v42
	v_mov_b32_e32 v7, 0
	v_lshlrev_b32_e32 v12, 2, v6
	v_lshlrev_b32_e32 v6, 2, v10
	v_and_b32_e32 v0, 1, v0
	v_lshl_or_b32 v43, v10, 4, v1
	s_waitcnt lgkmcnt(0)
	v_lshl_add_u64 v[8:9], s[2:3], 0, v[6:7]
	v_mul_lo_u32 v6, v10, s18
	v_lshl_add_u64 v[10:11], v[6:7], 2, s[2:3]
	v_or_b32_e32 v6, v43, v0
	v_lshlrev_b32_e32 v46, 2, v6
	v_or_b32_e32 v6, 2, v0
	v_cmp_gt_u32_e64 s[2:3], s18, v6
	v_or_b32_e32 v6, 4, v0
	s_cmp_lg_u32 s4, 0
	v_cmp_gt_u32_e64 s[4:5], s18, v6
	v_or_b32_e32 v6, 6, v0
	v_cmp_gt_u32_e64 s[6:7], s18, v6
	v_or_b32_e32 v6, 8, v0
	;; [unrolled: 2-line block ×4, first 2 shown]
	s_cselect_b64 s[26:27], -1, 0
	v_cmp_gt_u32_e64 s[12:13], s18, v6
	v_or_b32_e32 v6, 14, v0
	s_abs_i32 s41, s18
	v_cmp_gt_u32_e64 s[14:15], s18, v6
	v_cvt_f32_u32_e32 v6, s41
	v_or_b32_e32 v44, 4, v12
	v_or_b32_e32 v45, 0x7c, v12
	v_mul_lo_u32 v12, v0, s18
	v_rcp_iflag_f32_e32 v6, v6
	s_lshl_b32 s28, s18, 1
	v_add_u32_e32 v14, s28, v12
	v_add_u32_e32 v16, s28, v14
	;; [unrolled: 1-line block ×3, first 2 shown]
	v_mul_f32_e32 v6, 0x4f7ffffe, v6
	v_add_u32_e32 v20, s28, v18
	v_cvt_u32_f32_e32 v6, v6
	v_add_u32_e32 v22, s28, v20
	v_cmp_gt_u32_e64 s[0:1], s18, v0
	v_add_u32_e32 v24, s28, v22
	v_add_u32_e32 v26, s28, v24
	s_and_b64 s[28:29], s[0:1], vcc
	s_sub_i32 s0, 0, s41
	v_mul_lo_u32 v30, s0, v6
	v_mul_hi_u32 v30, v6, v30
	v_mov_b32_e32 v1, v7
	s_mul_hi_u32 s16, s18, s18
	s_mul_i32 s40, s18, s18
	v_mov_b32_e32 v13, v7
	v_mov_b32_e32 v15, v7
	v_mov_b32_e32 v17, v7
	v_mov_b32_e32 v19, v7
	v_mov_b32_e32 v21, v7
	v_mov_b32_e32 v23, v7
	v_mov_b32_e32 v25, v7
	v_mov_b32_e32 v27, v7
	s_and_b64 s[2:3], vcc, s[2:3]
	s_and_b64 s[4:5], vcc, s[4:5]
	;; [unrolled: 1-line block ×7, first 2 shown]
	s_ashr_i32 s42, s18, 31
	v_add_u32_e32 v47, v6, v30
	s_mov_b64 s[30:31], 0
	v_mov_b64_e32 v[30:31], 0
	v_mov_b32_e32 v48, 1
	s_branch .LBB50_11
.LBB50_8:                               ;   in Loop: Header=BB50_11 Depth=1
	v_mov_b64_e32 v[34:35], s[0:1]
.LBB50_9:                               ;   in Loop: Header=BB50_11 Depth=1
	s_or_b64 exec, exec, s[36:37]
.LBB50_10:                              ;   in Loop: Header=BB50_11 Depth=1
	s_or_b64 exec, exec, s[34:35]
	v_mov_b32_dpp v6, v49 row_shr:1 row_mask:0xf bank_mask:0xf
	v_min_i32_e32 v6, v6, v49
	v_lshl_add_u64 v[4:5], v[34:35], 0, v[4:5]
	s_waitcnt lgkmcnt(0)
	v_mov_b32_dpp v30, v6 row_shr:2 row_mask:0xf bank_mask:0xf
	v_min_i32_e32 v6, v30, v6
	s_nop 1
	v_mov_b32_dpp v30, v6 row_shr:4 row_mask:0xf bank_mask:0xe
	v_min_i32_e32 v6, v30, v6
	s_nop 1
	;; [unrolled: 3-line block ×3, first 2 shown]
	v_mov_b32_dpp v30, v6 row_bcast:15 row_mask:0xa bank_mask:0xf
	v_min_i32_e32 v6, v30, v6
	ds_bpermute_b32 v30, v45, v6
	s_waitcnt lgkmcnt(0)
	v_cmp_le_i32_e32 vcc, s17, v30
	v_ashrrev_i32_e32 v31, 31, v30
	s_or_b64 s[30:31], vcc, s[30:31]
	s_andn2_b64 exec, exec, s[30:31]
	s_cbranch_execz .LBB50_60
.LBB50_11:                              ; =>This Loop Header: Depth=1
                                        ;     Child Loop BB50_14 Depth 2
	v_lshl_add_u64 v[28:29], v[28:29], 0, v[0:1]
	v_cmp_lt_i64_e32 vcc, v[28:29], v[2:3]
	v_mov_b32_e32 v49, s17
	v_mov_b64_e32 v[36:37], v[2:3]
	ds_write_b8 v42, v7 offset:8192
	ds_write2_b32 v46, v7, v7 offset1:2
	ds_write2_b32 v46, v7, v7 offset0:4 offset1:6
	ds_write2_b32 v46, v7, v7 offset0:8 offset1:10
	;; [unrolled: 1-line block ×3, first 2 shown]
	s_waitcnt lgkmcnt(0)
	s_and_saveexec_b64 s[34:35], vcc
	s_cbranch_execz .LBB50_19
; %bb.12:                               ;   in Loop: Header=BB50_11 Depth=1
	v_lshlrev_b64 v[34:35], 2, v[28:29]
	v_lshl_add_u64 v[32:33], s[20:21], 0, v[34:35]
	v_lshl_add_u64 v[34:35], s[24:25], 0, v[34:35]
	s_mov_b64 s[36:37], 0
	v_mov_b32_e32 v49, s17
	v_mov_b64_e32 v[36:37], v[2:3]
	s_branch .LBB50_14
.LBB50_13:                              ;   in Loop: Header=BB50_14 Depth=2
	s_or_b64 exec, exec, s[0:1]
	v_lshl_add_u64 v[28:29], v[28:29], 0, 2
	v_cmp_ge_i64_e64 s[0:1], v[28:29], v[2:3]
	s_xor_b64 s[38:39], vcc, -1
	s_or_b64 s[0:1], s[38:39], s[0:1]
	s_and_b64 s[0:1], exec, s[0:1]
	v_lshl_add_u64 v[32:33], v[32:33], 0, 8
	s_or_b64 s[36:37], s[0:1], s[36:37]
	v_lshl_add_u64 v[34:35], v[34:35], 0, 8
	s_andn2_b64 exec, exec, s[36:37]
	s_cbranch_execz .LBB50_18
.LBB50_14:                              ;   Parent Loop BB50_11 Depth=1
                                        ; =>  This Inner Loop Header: Depth=2
	global_load_dword v6, v[34:35], off
	s_waitcnt vmcnt(0)
	v_subrev_u32_e32 v6, s19, v6
	v_sub_u32_e32 v39, 0, v6
	v_max_i32_e32 v39, v6, v39
	v_mul_hi_u32 v40, v39, v47
	v_mul_lo_u32 v41, v40, s41
	v_sub_u32_e32 v39, v39, v41
	v_add_u32_e32 v50, 1, v40
	v_cmp_le_u32_e32 vcc, s41, v39
	v_subrev_u32_e32 v41, s41, v39
	v_ashrrev_i32_e32 v38, 31, v6
	v_cndmask_b32_e32 v40, v40, v50, vcc
	v_cndmask_b32_e32 v39, v39, v41, vcc
	v_add_u32_e32 v41, 1, v40
	v_cmp_le_u32_e32 vcc, s41, v39
	v_xor_b32_e32 v38, s42, v38
	s_nop 0
	v_cndmask_b32_e32 v39, v40, v41, vcc
	v_xor_b32_e32 v39, v39, v38
	v_sub_u32_e32 v38, v39, v38
	v_ashrrev_i32_e32 v39, 31, v38
	v_cmp_eq_u64_e32 vcc, v[30:31], v[38:39]
	v_cmp_ne_u64_e64 s[0:1], v[30:31], v[38:39]
	v_mov_b64_e32 v[40:41], v[36:37]
	s_and_saveexec_b64 s[38:39], s[0:1]
	s_xor_b64 s[0:1], exec, s[38:39]
; %bb.15:                               ;   in Loop: Header=BB50_14 Depth=2
	v_min_i32_e32 v49, v38, v49
                                        ; implicit-def: $vgpr38
                                        ; implicit-def: $vgpr6
                                        ; implicit-def: $vgpr40_vgpr41
; %bb.16:                               ;   in Loop: Header=BB50_14 Depth=2
	s_or_saveexec_b64 s[0:1], s[0:1]
	v_mov_b64_e32 v[36:37], v[28:29]
	s_xor_b64 exec, exec, s[0:1]
	s_cbranch_execz .LBB50_13
; %bb.17:                               ;   in Loop: Header=BB50_14 Depth=2
	global_load_dword v36, v[32:33], off
	v_mul_lo_u32 v37, v38, s18
	v_sub_u32_e32 v6, v6, v37
	v_add_lshl_u32 v6, v43, v6, 2
	ds_write_b8 v42, v48 offset:8192
	s_waitcnt vmcnt(0)
	ds_write_b32 v6, v36
	v_mov_b64_e32 v[36:37], v[40:41]
	s_branch .LBB50_13
.LBB50_18:                              ;   in Loop: Header=BB50_11 Depth=1
	s_or_b64 exec, exec, s[36:37]
.LBB50_19:                              ;   in Loop: Header=BB50_11 Depth=1
	s_or_b64 exec, exec, s[34:35]
	v_mov_b32_dpp v28, v36 row_shr:1 row_mask:0xf bank_mask:0xf
	v_mov_b32_dpp v29, v37 row_shr:1 row_mask:0xf bank_mask:0xf
	s_waitcnt lgkmcnt(0)
	v_cmp_lt_i64_e32 vcc, v[28:29], v[36:37]
	ds_read_u8 v31, v42 offset:8192
	v_mov_b64_e32 v[34:35], 0
	v_cndmask_b32_e32 v6, v37, v29, vcc
	v_cndmask_b32_e32 v28, v36, v28, vcc
	ds_bpermute_b32 v28, v44, v28
	ds_bpermute_b32 v29, v44, v6
	s_waitcnt lgkmcnt(2)
	v_and_b32_e32 v6, 1, v31
	v_cmp_eq_u32_e32 vcc, 1, v6
	s_and_saveexec_b64 s[34:35], vcc
	s_cbranch_execz .LBB50_10
; %bb.20:                               ;   in Loop: Header=BB50_11 Depth=1
	v_add_u32_e32 v6, s33, v30
	v_lshl_add_u64 v[30:31], v[4:5], 2, s[22:23]
	global_store_dword v[30:31], v6, off
	v_mul_lo_u32 v6, s16, v4
	v_mul_lo_u32 v32, s40, v5
	v_mad_u64_u32 v[30:31], s[0:1], s40, v4, 0
	v_add3_u32 v31, v31, v32, v6
	v_lshlrev_b64 v[30:31], 2, v[30:31]
	v_lshl_add_u64 v[32:33], v[8:9], 0, v[30:31]
	v_lshl_add_u64 v[30:31], v[10:11], 0, v[30:31]
	s_and_saveexec_b64 s[0:1], s[28:29]
	s_cbranch_execz .LBB50_24
; %bb.21:                               ;   in Loop: Header=BB50_11 Depth=1
	s_and_b64 vcc, exec, s[26:27]
	s_cbranch_vccz .LBB50_51
; %bb.22:                               ;   in Loop: Header=BB50_11 Depth=1
	ds_read_b32 v6, v46
	v_lshl_add_u64 v[34:35], v[12:13], 2, v[32:33]
	s_waitcnt lgkmcnt(0)
	global_store_dword v[34:35], v6, off
	s_cbranch_execnz .LBB50_24
.LBB50_23:                              ;   in Loop: Header=BB50_11 Depth=1
	ds_read_b32 v36, v46
	v_lshlrev_b32_e32 v6, 2, v0
	v_lshl_add_u64 v[34:35], v[30:31], 0, v[6:7]
	s_waitcnt lgkmcnt(0)
	global_store_dword v[34:35], v36, off
.LBB50_24:                              ;   in Loop: Header=BB50_11 Depth=1
	s_or_b64 exec, exec, s[0:1]
	v_cndmask_b32_e64 v6, 0, 1, s[26:27]
	v_cmp_ne_u32_e64 s[0:1], 1, v6
	s_and_saveexec_b64 s[36:37], s[2:3]
	s_cbranch_execz .LBB50_28
; %bb.25:                               ;   in Loop: Header=BB50_11 Depth=1
	s_and_b64 vcc, exec, s[0:1]
	s_cbranch_vccnz .LBB50_52
; %bb.26:                               ;   in Loop: Header=BB50_11 Depth=1
	ds_read_b32 v6, v46 offset:8
	v_lshl_add_u64 v[34:35], v[14:15], 2, v[32:33]
	s_waitcnt lgkmcnt(0)
	global_store_dword v[34:35], v6, off
	s_cbranch_execnz .LBB50_28
.LBB50_27:                              ;   in Loop: Header=BB50_11 Depth=1
	ds_read_b32 v36, v46 offset:8
	v_lshlrev_b32_e32 v6, 2, v0
	v_lshl_add_u64 v[34:35], v[30:31], 0, v[6:7]
	s_waitcnt lgkmcnt(0)
	global_store_dword v[34:35], v36, off offset:8
.LBB50_28:                              ;   in Loop: Header=BB50_11 Depth=1
	s_or_b64 exec, exec, s[36:37]
	s_and_saveexec_b64 s[36:37], s[4:5]
	s_cbranch_execz .LBB50_32
; %bb.29:                               ;   in Loop: Header=BB50_11 Depth=1
	s_and_b64 vcc, exec, s[0:1]
	s_cbranch_vccnz .LBB50_53
; %bb.30:                               ;   in Loop: Header=BB50_11 Depth=1
	ds_read_b32 v6, v46 offset:16
	v_lshl_add_u64 v[34:35], v[16:17], 2, v[32:33]
	s_waitcnt lgkmcnt(0)
	global_store_dword v[34:35], v6, off
	s_cbranch_execnz .LBB50_32
.LBB50_31:                              ;   in Loop: Header=BB50_11 Depth=1
	ds_read_b32 v36, v46 offset:16
	v_lshlrev_b32_e32 v6, 2, v0
	v_lshl_add_u64 v[34:35], v[30:31], 0, v[6:7]
	s_waitcnt lgkmcnt(0)
	global_store_dword v[34:35], v36, off offset:16
.LBB50_32:                              ;   in Loop: Header=BB50_11 Depth=1
	s_or_b64 exec, exec, s[36:37]
	s_and_saveexec_b64 s[36:37], s[6:7]
	s_cbranch_execz .LBB50_36
; %bb.33:                               ;   in Loop: Header=BB50_11 Depth=1
	s_and_b64 vcc, exec, s[0:1]
	s_cbranch_vccnz .LBB50_54
; %bb.34:                               ;   in Loop: Header=BB50_11 Depth=1
	ds_read_b32 v6, v46 offset:24
	v_lshl_add_u64 v[34:35], v[18:19], 2, v[32:33]
	s_waitcnt lgkmcnt(0)
	global_store_dword v[34:35], v6, off
	s_cbranch_execnz .LBB50_36
.LBB50_35:                              ;   in Loop: Header=BB50_11 Depth=1
	ds_read_b32 v36, v46 offset:24
	v_lshlrev_b32_e32 v6, 2, v0
	v_lshl_add_u64 v[34:35], v[30:31], 0, v[6:7]
	s_waitcnt lgkmcnt(0)
	global_store_dword v[34:35], v36, off offset:24
.LBB50_36:                              ;   in Loop: Header=BB50_11 Depth=1
	s_or_b64 exec, exec, s[36:37]
	s_and_saveexec_b64 s[36:37], s[8:9]
	s_cbranch_execz .LBB50_40
; %bb.37:                               ;   in Loop: Header=BB50_11 Depth=1
	s_and_b64 vcc, exec, s[0:1]
	s_cbranch_vccnz .LBB50_55
; %bb.38:                               ;   in Loop: Header=BB50_11 Depth=1
	ds_read_b32 v6, v46 offset:32
	v_lshl_add_u64 v[34:35], v[20:21], 2, v[32:33]
	s_waitcnt lgkmcnt(0)
	global_store_dword v[34:35], v6, off
	s_cbranch_execnz .LBB50_40
.LBB50_39:                              ;   in Loop: Header=BB50_11 Depth=1
	ds_read_b32 v36, v46 offset:32
	v_lshlrev_b32_e32 v6, 2, v0
	v_lshl_add_u64 v[34:35], v[30:31], 0, v[6:7]
	s_waitcnt lgkmcnt(0)
	global_store_dword v[34:35], v36, off offset:32
.LBB50_40:                              ;   in Loop: Header=BB50_11 Depth=1
	s_or_b64 exec, exec, s[36:37]
	s_and_saveexec_b64 s[36:37], s[10:11]
	s_cbranch_execz .LBB50_44
; %bb.41:                               ;   in Loop: Header=BB50_11 Depth=1
	s_and_b64 vcc, exec, s[0:1]
	s_cbranch_vccnz .LBB50_56
; %bb.42:                               ;   in Loop: Header=BB50_11 Depth=1
	ds_read_b32 v6, v46 offset:40
	v_lshl_add_u64 v[34:35], v[22:23], 2, v[32:33]
	s_waitcnt lgkmcnt(0)
	global_store_dword v[34:35], v6, off
	s_cbranch_execnz .LBB50_44
.LBB50_43:                              ;   in Loop: Header=BB50_11 Depth=1
	ds_read_b32 v36, v46 offset:40
	v_lshlrev_b32_e32 v6, 2, v0
	v_lshl_add_u64 v[34:35], v[30:31], 0, v[6:7]
	s_waitcnt lgkmcnt(0)
	global_store_dword v[34:35], v36, off offset:40
.LBB50_44:                              ;   in Loop: Header=BB50_11 Depth=1
	s_or_b64 exec, exec, s[36:37]
	s_and_saveexec_b64 s[36:37], s[12:13]
	s_cbranch_execz .LBB50_48
; %bb.45:                               ;   in Loop: Header=BB50_11 Depth=1
	s_and_b64 vcc, exec, s[0:1]
	s_cbranch_vccnz .LBB50_57
; %bb.46:                               ;   in Loop: Header=BB50_11 Depth=1
	ds_read_b32 v6, v46 offset:48
	v_lshl_add_u64 v[34:35], v[24:25], 2, v[32:33]
	s_waitcnt lgkmcnt(0)
	global_store_dword v[34:35], v6, off
	s_cbranch_execnz .LBB50_48
.LBB50_47:                              ;   in Loop: Header=BB50_11 Depth=1
	ds_read_b32 v36, v46 offset:48
	v_lshlrev_b32_e32 v6, 2, v0
	v_lshl_add_u64 v[34:35], v[30:31], 0, v[6:7]
	s_waitcnt lgkmcnt(0)
	global_store_dword v[34:35], v36, off offset:48
.LBB50_48:                              ;   in Loop: Header=BB50_11 Depth=1
	s_or_b64 exec, exec, s[36:37]
	v_mov_b64_e32 v[34:35], 1
	s_and_saveexec_b64 s[36:37], s[14:15]
	s_cbranch_execz .LBB50_9
; %bb.49:                               ;   in Loop: Header=BB50_11 Depth=1
	s_and_b64 vcc, exec, s[0:1]
	s_cbranch_vccnz .LBB50_58
; %bb.50:                               ;   in Loop: Header=BB50_11 Depth=1
	ds_read_b32 v6, v46 offset:56
	v_lshl_add_u64 v[32:33], v[26:27], 2, v[32:33]
	s_mov_b64 s[0:1], 1
	s_waitcnt lgkmcnt(0)
	global_store_dword v[32:33], v6, off
	s_cbranch_execnz .LBB50_8
	s_branch .LBB50_59
.LBB50_51:                              ;   in Loop: Header=BB50_11 Depth=1
	s_branch .LBB50_23
.LBB50_52:                              ;   in Loop: Header=BB50_11 Depth=1
	s_branch .LBB50_27
.LBB50_53:                              ;   in Loop: Header=BB50_11 Depth=1
	s_branch .LBB50_31
.LBB50_54:                              ;   in Loop: Header=BB50_11 Depth=1
	s_branch .LBB50_35
.LBB50_55:                              ;   in Loop: Header=BB50_11 Depth=1
	s_branch .LBB50_39
.LBB50_56:                              ;   in Loop: Header=BB50_11 Depth=1
	s_branch .LBB50_43
.LBB50_57:                              ;   in Loop: Header=BB50_11 Depth=1
	s_branch .LBB50_47
.LBB50_58:                              ;   in Loop: Header=BB50_11 Depth=1
                                        ; implicit-def: $sgpr0_sgpr1
.LBB50_59:                              ;   in Loop: Header=BB50_11 Depth=1
	ds_read_b32 v32, v46 offset:56
	v_lshlrev_b32_e32 v6, 2, v0
	v_lshl_add_u64 v[30:31], v[30:31], 0, v[6:7]
	s_mov_b64 s[0:1], 1
	s_waitcnt lgkmcnt(0)
	global_store_dword v[30:31], v32, off offset:56
	s_branch .LBB50_8
.LBB50_60:
	s_endpgm
	.section	.rodata,"a",@progbits
	.p2align	6, 0x0
	.amdhsa_kernel _ZN9rocsparseL42csr2bsr_wavefront_per_row_multipass_kernelILj256ELj32ELj16EfliEEv20rocsparse_direction_T4_S2_S2_S2_S2_21rocsparse_index_base_PKT2_PKT3_PKS2_S3_PS4_PS7_PS2_
		.amdhsa_group_segment_fixed_size 8200
		.amdhsa_private_segment_fixed_size 0
		.amdhsa_kernarg_size 88
		.amdhsa_user_sgpr_count 2
		.amdhsa_user_sgpr_dispatch_ptr 0
		.amdhsa_user_sgpr_queue_ptr 0
		.amdhsa_user_sgpr_kernarg_segment_ptr 1
		.amdhsa_user_sgpr_dispatch_id 0
		.amdhsa_user_sgpr_kernarg_preload_length 0
		.amdhsa_user_sgpr_kernarg_preload_offset 0
		.amdhsa_user_sgpr_private_segment_size 0
		.amdhsa_uses_dynamic_stack 0
		.amdhsa_enable_private_segment 0
		.amdhsa_system_sgpr_workgroup_id_x 1
		.amdhsa_system_sgpr_workgroup_id_y 0
		.amdhsa_system_sgpr_workgroup_id_z 0
		.amdhsa_system_sgpr_workgroup_info 0
		.amdhsa_system_vgpr_workitem_id 0
		.amdhsa_next_free_vgpr 51
		.amdhsa_next_free_sgpr 43
		.amdhsa_accum_offset 52
		.amdhsa_reserve_vcc 1
		.amdhsa_float_round_mode_32 0
		.amdhsa_float_round_mode_16_64 0
		.amdhsa_float_denorm_mode_32 3
		.amdhsa_float_denorm_mode_16_64 3
		.amdhsa_dx10_clamp 1
		.amdhsa_ieee_mode 1
		.amdhsa_fp16_overflow 0
		.amdhsa_tg_split 0
		.amdhsa_exception_fp_ieee_invalid_op 0
		.amdhsa_exception_fp_denorm_src 0
		.amdhsa_exception_fp_ieee_div_zero 0
		.amdhsa_exception_fp_ieee_overflow 0
		.amdhsa_exception_fp_ieee_underflow 0
		.amdhsa_exception_fp_ieee_inexact 0
		.amdhsa_exception_int_div_zero 0
	.end_amdhsa_kernel
	.section	.text._ZN9rocsparseL42csr2bsr_wavefront_per_row_multipass_kernelILj256ELj32ELj16EfliEEv20rocsparse_direction_T4_S2_S2_S2_S2_21rocsparse_index_base_PKT2_PKT3_PKS2_S3_PS4_PS7_PS2_,"axG",@progbits,_ZN9rocsparseL42csr2bsr_wavefront_per_row_multipass_kernelILj256ELj32ELj16EfliEEv20rocsparse_direction_T4_S2_S2_S2_S2_21rocsparse_index_base_PKT2_PKT3_PKS2_S3_PS4_PS7_PS2_,comdat
.Lfunc_end50:
	.size	_ZN9rocsparseL42csr2bsr_wavefront_per_row_multipass_kernelILj256ELj32ELj16EfliEEv20rocsparse_direction_T4_S2_S2_S2_S2_21rocsparse_index_base_PKT2_PKT3_PKS2_S3_PS4_PS7_PS2_, .Lfunc_end50-_ZN9rocsparseL42csr2bsr_wavefront_per_row_multipass_kernelILj256ELj32ELj16EfliEEv20rocsparse_direction_T4_S2_S2_S2_S2_21rocsparse_index_base_PKT2_PKT3_PKS2_S3_PS4_PS7_PS2_
                                        ; -- End function
	.section	.AMDGPU.csdata,"",@progbits
; Kernel info:
; codeLenInByte = 2096
; NumSgprs: 49
; NumVgprs: 51
; NumAgprs: 0
; TotalNumVgprs: 51
; ScratchSize: 0
; MemoryBound: 0
; FloatMode: 240
; IeeeMode: 1
; LDSByteSize: 8200 bytes/workgroup (compile time only)
; SGPRBlocks: 6
; VGPRBlocks: 6
; NumSGPRsForWavesPerEU: 49
; NumVGPRsForWavesPerEU: 51
; AccumOffset: 52
; Occupancy: 7
; WaveLimiterHint : 0
; COMPUTE_PGM_RSRC2:SCRATCH_EN: 0
; COMPUTE_PGM_RSRC2:USER_SGPR: 2
; COMPUTE_PGM_RSRC2:TRAP_HANDLER: 0
; COMPUTE_PGM_RSRC2:TGID_X_EN: 1
; COMPUTE_PGM_RSRC2:TGID_Y_EN: 0
; COMPUTE_PGM_RSRC2:TGID_Z_EN: 0
; COMPUTE_PGM_RSRC2:TIDIG_COMP_CNT: 0
; COMPUTE_PGM_RSRC3_GFX90A:ACCUM_OFFSET: 12
; COMPUTE_PGM_RSRC3_GFX90A:TG_SPLIT: 0
	.section	.text._ZN9rocsparseL38csr2bsr_block_per_row_multipass_kernelILj256ELj32EfliEEv20rocsparse_direction_T3_S2_S2_S2_S2_21rocsparse_index_base_PKT1_PKT2_PKS2_S3_PS4_PS7_PS2_,"axG",@progbits,_ZN9rocsparseL38csr2bsr_block_per_row_multipass_kernelILj256ELj32EfliEEv20rocsparse_direction_T3_S2_S2_S2_S2_21rocsparse_index_base_PKT1_PKT2_PKS2_S3_PS4_PS7_PS2_,comdat
	.globl	_ZN9rocsparseL38csr2bsr_block_per_row_multipass_kernelILj256ELj32EfliEEv20rocsparse_direction_T3_S2_S2_S2_S2_21rocsparse_index_base_PKT1_PKT2_PKS2_S3_PS4_PS7_PS2_ ; -- Begin function _ZN9rocsparseL38csr2bsr_block_per_row_multipass_kernelILj256ELj32EfliEEv20rocsparse_direction_T3_S2_S2_S2_S2_21rocsparse_index_base_PKT1_PKT2_PKS2_S3_PS4_PS7_PS2_
	.p2align	8
	.type	_ZN9rocsparseL38csr2bsr_block_per_row_multipass_kernelILj256ELj32EfliEEv20rocsparse_direction_T3_S2_S2_S2_S2_21rocsparse_index_base_PKT1_PKT2_PKS2_S3_PS4_PS7_PS2_,@function
_ZN9rocsparseL38csr2bsr_block_per_row_multipass_kernelILj256ELj32EfliEEv20rocsparse_direction_T3_S2_S2_S2_S2_21rocsparse_index_base_PKT1_PKT2_PKS2_S3_PS4_PS7_PS2_: ; @_ZN9rocsparseL38csr2bsr_block_per_row_multipass_kernelILj256ELj32EfliEEv20rocsparse_direction_T3_S2_S2_S2_S2_21rocsparse_index_base_PKT1_PKT2_PKS2_S3_PS4_PS7_PS2_
; %bb.0:
	s_load_dwordx4 s[20:23], s[0:1], 0x10
	s_load_dwordx2 s[6:7], s[0:1], 0x0
	s_load_dwordx2 s[8:9], s[0:1], 0x28
	v_lshrrev_b32_e32 v1, 3, v0
	v_mov_b64_e32 v[2:3], 0
	s_waitcnt lgkmcnt(0)
	s_mul_i32 s3, s2, s21
	v_add_u32_e32 v4, s3, v1
	v_cmp_gt_i32_e64 s[4:5], s7, v4
	v_cmp_gt_i32_e32 vcc, s21, v1
	s_and_b64 s[10:11], vcc, s[4:5]
	v_mov_b64_e32 v[16:17], v[2:3]
	s_and_saveexec_b64 s[12:13], s[10:11]
	s_cbranch_execnz .LBB51_3
; %bb.1:
	s_or_b64 exec, exec, s[12:13]
	s_and_saveexec_b64 s[12:13], s[10:11]
	s_cbranch_execnz .LBB51_4
.LBB51_2:
	s_or_b64 exec, exec, s[12:13]
	s_cmp_lt_i32 s20, 1
	s_cbranch_scc0 .LBB51_5
	s_branch .LBB51_41
.LBB51_3:
	v_ashrrev_i32_e32 v5, 31, v4
	v_lshl_add_u64 v[6:7], v[4:5], 3, s[8:9]
	global_load_dwordx2 v[6:7], v[6:7], off
	s_waitcnt vmcnt(0)
	v_subrev_co_u32_e64 v16, s[4:5], s22, v6
	s_nop 1
	v_subbrev_co_u32_e64 v17, s[4:5], 0, v7, s[4:5]
	s_or_b64 exec, exec, s[12:13]
	s_and_saveexec_b64 s[12:13], s[10:11]
	s_cbranch_execz .LBB51_2
.LBB51_4:
	v_ashrrev_i32_e32 v5, 31, v4
	v_lshl_add_u64 v[2:3], v[4:5], 3, s[8:9]
	global_load_dwordx2 v[2:3], v[2:3], off offset:8
	s_waitcnt vmcnt(0)
	v_subrev_co_u32_e64 v2, s[4:5], s22, v2
	s_nop 1
	v_subbrev_co_u32_e64 v3, s[4:5], 0, v3, s[4:5]
	s_or_b64 exec, exec, s[12:13]
	s_cmp_lt_i32 s20, 1
	s_cbranch_scc1 .LBB51_41
.LBB51_5:
	s_load_dwordx4 s[8:11], s[0:1], 0x40
	s_load_dwordx2 s[24:25], s[0:1], 0x50
	s_load_dword s23, s[0:1], 0x38
	s_ashr_i32 s3, s2, 31
	s_lshl_b64 s[2:3], s[2:3], 3
	s_waitcnt lgkmcnt(0)
	s_add_u32 s2, s10, s2
	s_addc_u32 s3, s11, s3
	s_load_dwordx2 s[4:5], s[2:3], 0x0
	s_load_dwordx2 s[26:27], s[0:1], 0x20
	;; [unrolled: 1-line block ×3, first 2 shown]
	v_mov_b32_e32 v5, 0
	v_and_b32_e32 v4, 7, v0
	s_waitcnt lgkmcnt(0)
	s_sub_u32 s30, s4, s23
	s_subb_u32 s31, s5, 0
	s_cmp_eq_u32 s6, 0
	s_cselect_b64 s[0:1], -1, 0
	s_abs_i32 s49, s21
	v_cvt_f32_u32_e32 v14, s49
	v_mul_lo_u32 v8, v1, s21
	v_mov_b32_e32 v9, v5
	v_lshl_add_u64 v[8:9], v[8:9], 2, s[8:9]
	v_lshlrev_b32_e32 v10, 2, v4
	v_mov_b32_e32 v11, v5
	v_rcp_iflag_f32_e32 v18, v14
	v_lshl_add_u64 v[8:9], v[8:9], 0, v[10:11]
	v_cmp_gt_u32_e64 s[18:19], s21, v4
	v_or_b32_e32 v10, 8, v4
	s_and_b64 s[34:35], vcc, s[18:19]
	v_cmp_gt_u32_e64 s[18:19], s21, v10
	v_or_b32_e32 v12, 16, v4
	s_and_b64 s[36:37], vcc, s[18:19]
	v_cmp_gt_u32_e64 s[18:19], s21, v12
	v_or_b32_e32 v15, 24, v4
	v_mbcnt_lo_u32_b32 v6, -1, 0
	s_and_b64 s[38:39], vcc, s[18:19]
	v_cmp_gt_u32_e64 s[18:19], s21, v15
	v_mul_f32_e32 v15, 0x4f7ffffe, v18
	v_mbcnt_hi_u32_b32 v6, -1, v6
	v_cvt_u32_f32_e32 v18, v15
	v_lshlrev_b32_e32 v30, 5, v1
	v_lshl_or_b32 v31, v6, 2, 28
	v_lshlrev_b32_e32 v6, 2, v1
	v_mov_b32_e32 v7, v5
	s_movk_i32 s2, 0x80
	v_lshl_add_u64 v[6:7], s[8:9], 0, v[6:7]
	v_lshlrev_b32_e32 v32, 2, v0
	v_cmp_gt_u32_e64 s[2:3], s2, v0
	v_cmp_gt_u32_e64 s[4:5], 64, v0
	;; [unrolled: 1-line block ×7, first 2 shown]
	v_cmp_eq_u32_e64 s[16:17], 0, v0
	v_or_b32_e32 v0, v30, v4
	v_lshlrev_b32_e32 v33, 2, v0
	v_mul_lo_u32 v0, v4, s21
	s_lshl_b32 s42, s21, 3
	s_and_b64 s[40:41], vcc, s[18:19]
	s_sub_i32 s18, 0, s49
	v_add_u32_e32 v10, s42, v0
	v_mul_lo_u32 v19, s18, v18
	v_add_u32_e32 v12, s42, v10
	v_mul_hi_u32 v19, v18, v19
	s_mul_hi_u32 s33, s21, s21
	s_mul_i32 s48, s21, s21
	v_mov_b32_e32 v1, v5
	v_mov_b32_e32 v13, v5
	v_add_u32_e32 v14, s42, v12
	v_mov_b32_e32 v15, v5
	s_ashr_i32 s50, s21, 31
	v_add_u32_e32 v34, v18, v19
	v_mov_b64_e32 v[18:19], 0
	s_mov_b64 s[42:43], 0x60
	v_mov_b32_e32 v35, 1
	s_branch .LBB51_7
.LBB51_6:                               ;   in Loop: Header=BB51_7 Depth=1
	s_or_b64 exec, exec, s[44:45]
	s_waitcnt lgkmcnt(0)
	s_barrier
	ds_read_b32 v18, v5
	s_add_u32 s30, s18, s30
	s_addc_u32 s31, s19, s31
	s_waitcnt lgkmcnt(0)
	s_barrier
	v_cmp_gt_i32_e32 vcc, s20, v18
	v_ashrrev_i32_e32 v19, 31, v18
	s_cbranch_vccz .LBB51_41
.LBB51_7:                               ; =>This Loop Header: Depth=1
                                        ;     Child Loop BB51_10 Depth 2
	v_lshl_add_u64 v[16:17], v[16:17], 0, v[4:5]
	v_cmp_lt_i64_e32 vcc, v[16:17], v[2:3]
	v_mov_b32_e32 v36, s20
	v_mov_b64_e32 v[24:25], v[2:3]
	ds_write_b8 v5, v5 offset:4096
	ds_write2_b32 v33, v5, v5 offset1:8
	ds_write2_b32 v33, v5, v5 offset0:16 offset1:24
	s_waitcnt lgkmcnt(0)
	s_barrier
	s_and_saveexec_b64 s[44:45], vcc
	s_cbranch_execz .LBB51_15
; %bb.8:                                ;   in Loop: Header=BB51_7 Depth=1
	v_lshlrev_b64 v[22:23], 2, v[16:17]
	v_lshl_add_u64 v[20:21], s[26:27], 0, v[22:23]
	v_lshl_add_u64 v[22:23], s[28:29], 0, v[22:23]
	s_mov_b64 s[46:47], 0
	v_mov_b32_e32 v36, s20
	v_mov_b64_e32 v[24:25], v[2:3]
	s_branch .LBB51_10
.LBB51_9:                               ;   in Loop: Header=BB51_10 Depth=2
	s_or_b64 exec, exec, s[18:19]
	v_lshl_add_u64 v[16:17], v[16:17], 0, 8
	v_cmp_ge_i64_e64 s[18:19], v[16:17], v[2:3]
	s_xor_b64 s[52:53], vcc, -1
	s_or_b64 s[18:19], s[52:53], s[18:19]
	s_and_b64 s[18:19], exec, s[18:19]
	v_lshl_add_u64 v[20:21], v[20:21], 0, 32
	s_or_b64 s[46:47], s[18:19], s[46:47]
	v_lshl_add_u64 v[22:23], v[22:23], 0, 32
	s_andn2_b64 exec, exec, s[46:47]
	s_cbranch_execz .LBB51_14
.LBB51_10:                              ;   Parent Loop BB51_7 Depth=1
                                        ; =>  This Inner Loop Header: Depth=2
	global_load_dword v26, v[22:23], off
	s_waitcnt vmcnt(0)
	v_subrev_u32_e32 v37, s22, v26
	v_sub_u32_e32 v27, 0, v37
	v_max_i32_e32 v27, v37, v27
	v_mul_hi_u32 v28, v27, v34
	v_mul_lo_u32 v29, v28, s49
	v_sub_u32_e32 v27, v27, v29
	v_add_u32_e32 v38, 1, v28
	v_cmp_le_u32_e32 vcc, s49, v27
	v_subrev_u32_e32 v29, s49, v27
	v_ashrrev_i32_e32 v26, 31, v37
	v_cndmask_b32_e32 v28, v28, v38, vcc
	v_cndmask_b32_e32 v27, v27, v29, vcc
	v_add_u32_e32 v29, 1, v28
	v_cmp_le_u32_e32 vcc, s49, v27
	v_xor_b32_e32 v26, s50, v26
	s_nop 0
	v_cndmask_b32_e32 v27, v28, v29, vcc
	v_xor_b32_e32 v27, v27, v26
	v_sub_u32_e32 v26, v27, v26
	v_ashrrev_i32_e32 v27, 31, v26
	v_cmp_eq_u64_e32 vcc, v[18:19], v[26:27]
	v_cmp_ne_u64_e64 s[18:19], v[18:19], v[26:27]
	v_mov_b64_e32 v[28:29], v[24:25]
	s_and_saveexec_b64 s[52:53], s[18:19]
	s_xor_b64 s[18:19], exec, s[52:53]
; %bb.11:                               ;   in Loop: Header=BB51_10 Depth=2
	v_min_i32_e32 v36, v26, v36
                                        ; implicit-def: $vgpr26
                                        ; implicit-def: $vgpr37
                                        ; implicit-def: $vgpr28_vgpr29
; %bb.12:                               ;   in Loop: Header=BB51_10 Depth=2
	s_or_saveexec_b64 s[18:19], s[18:19]
	v_mov_b64_e32 v[24:25], v[16:17]
	s_xor_b64 exec, exec, s[18:19]
	s_cbranch_execz .LBB51_9
; %bb.13:                               ;   in Loop: Header=BB51_10 Depth=2
	global_load_dword v24, v[20:21], off
	v_mul_lo_u32 v25, v26, s21
	v_sub_u32_e32 v25, v37, v25
	v_add_lshl_u32 v25, v25, v30, 2
	ds_write_b8 v5, v35 offset:4096
	s_waitcnt vmcnt(0)
	ds_write_b32 v25, v24
	v_mov_b64_e32 v[24:25], v[28:29]
	s_branch .LBB51_9
.LBB51_14:                              ;   in Loop: Header=BB51_7 Depth=1
	s_or_b64 exec, exec, s[46:47]
.LBB51_15:                              ;   in Loop: Header=BB51_7 Depth=1
	s_or_b64 exec, exec, s[44:45]
	v_mov_b32_dpp v16, v24 row_shr:1 row_mask:0xf bank_mask:0xf
	v_mov_b32_dpp v17, v25 row_shr:1 row_mask:0xf bank_mask:0xf
	v_cmp_lt_i64_e32 vcc, v[16:17], v[24:25]
	s_waitcnt lgkmcnt(0)
	s_barrier
	v_cndmask_b32_e32 v17, v25, v17, vcc
	v_cndmask_b32_e32 v16, v24, v16, vcc
	s_nop 0
	v_mov_b32_dpp v21, v17 row_shr:2 row_mask:0xf bank_mask:0xf
	v_mov_b32_dpp v20, v16 row_shr:2 row_mask:0xf bank_mask:0xf
	v_cmp_lt_i64_e32 vcc, v[20:21], v[16:17]
	ds_read_u8 v19, v5 offset:4096
	s_mov_b64 s[18:19], 0
	v_cndmask_b32_e32 v17, v17, v21, vcc
	v_cndmask_b32_e32 v16, v16, v20, vcc
	s_nop 0
	v_mov_b32_dpp v21, v17 row_shr:4 row_mask:0xf bank_mask:0xe
	v_mov_b32_dpp v20, v16 row_shr:4 row_mask:0xf bank_mask:0xe
	v_cmp_lt_i64_e32 vcc, v[20:21], v[16:17]
	s_nop 1
	v_cndmask_b32_e32 v17, v17, v21, vcc
	v_cndmask_b32_e32 v16, v16, v20, vcc
	ds_bpermute_b32 v16, v31, v16
	ds_bpermute_b32 v17, v31, v17
	s_waitcnt lgkmcnt(2)
	v_cmp_eq_u32_e32 vcc, 0, v19
	s_cbranch_vccnz .LBB51_22
; %bb.16:                               ;   in Loop: Header=BB51_7 Depth=1
	s_lshl_b64 s[18:19], s[30:31], 2
	s_add_u32 s18, s24, s18
	v_add_u32_e32 v18, s23, v18
	s_addc_u32 s19, s25, s19
	global_store_dword v5, v18, s[18:19]
	s_mul_i32 s18, s48, s31
	s_mul_hi_u32 s19, s48, s30
	s_add_i32 s18, s19, s18
	s_mul_i32 s19, s33, s30
	s_add_i32 s19, s18, s19
	s_mul_i32 s18, s48, s30
	s_lshl_b64 s[18:19], s[18:19], 2
	v_lshl_add_u64 v[18:19], v[6:7], 0, s[18:19]
	v_lshl_add_u64 v[20:21], v[8:9], 0, s[18:19]
	s_and_saveexec_b64 s[18:19], s[34:35]
	s_cbranch_execnz .LBB51_38
; %bb.17:                               ;   in Loop: Header=BB51_7 Depth=1
	s_or_b64 exec, exec, s[18:19]
	s_and_saveexec_b64 s[18:19], s[36:37]
	s_cbranch_execnz .LBB51_39
.LBB51_18:                              ;   in Loop: Header=BB51_7 Depth=1
	s_or_b64 exec, exec, s[18:19]
	s_and_saveexec_b64 s[18:19], s[38:39]
	s_cbranch_execnz .LBB51_40
.LBB51_19:                              ;   in Loop: Header=BB51_7 Depth=1
	s_or_b64 exec, exec, s[18:19]
	s_and_saveexec_b64 s[18:19], s[40:41]
	s_cbranch_execz .LBB51_21
.LBB51_20:                              ;   in Loop: Header=BB51_7 Depth=1
	ds_read_b32 v22, v33 offset:96
	v_lshl_add_u64 v[20:21], v[20:21], 0, s[42:43]
	v_lshl_add_u64 v[18:19], v[14:15], 2, v[18:19]
	v_cndmask_b32_e64 v19, v19, v21, s[0:1]
	v_cndmask_b32_e64 v18, v18, v20, s[0:1]
	s_waitcnt lgkmcnt(0)
	global_store_dword v[18:19], v22, off
.LBB51_21:                              ;   in Loop: Header=BB51_7 Depth=1
	s_or_b64 exec, exec, s[18:19]
	s_mov_b64 s[18:19], 1
.LBB51_22:                              ;   in Loop: Header=BB51_7 Depth=1
	s_waitcnt lgkmcnt(0)
	s_barrier
	ds_write_b32 v32, v36
	s_waitcnt lgkmcnt(0)
	s_barrier
	s_and_saveexec_b64 s[44:45], s[2:3]
	s_cbranch_execz .LBB51_24
; %bb.23:                               ;   in Loop: Header=BB51_7 Depth=1
	ds_read2st64_b32 v[18:19], v32 offset1:2
	s_waitcnt lgkmcnt(0)
	v_min_i32_e32 v18, v19, v18
	ds_write_b32 v32, v18
.LBB51_24:                              ;   in Loop: Header=BB51_7 Depth=1
	s_or_b64 exec, exec, s[44:45]
	s_waitcnt lgkmcnt(0)
	s_barrier
	s_and_saveexec_b64 s[44:45], s[4:5]
	s_cbranch_execz .LBB51_26
; %bb.25:                               ;   in Loop: Header=BB51_7 Depth=1
	ds_read2st64_b32 v[18:19], v32 offset1:1
	s_waitcnt lgkmcnt(0)
	v_min_i32_e32 v18, v19, v18
	ds_write_b32 v32, v18
.LBB51_26:                              ;   in Loop: Header=BB51_7 Depth=1
	s_or_b64 exec, exec, s[44:45]
	s_waitcnt lgkmcnt(0)
	s_barrier
	s_and_saveexec_b64 s[44:45], s[6:7]
	s_cbranch_execz .LBB51_28
; %bb.27:                               ;   in Loop: Header=BB51_7 Depth=1
	ds_read2_b32 v[18:19], v32 offset1:32
	s_waitcnt lgkmcnt(0)
	v_min_i32_e32 v18, v19, v18
	ds_write_b32 v32, v18
.LBB51_28:                              ;   in Loop: Header=BB51_7 Depth=1
	s_or_b64 exec, exec, s[44:45]
	s_waitcnt lgkmcnt(0)
	s_barrier
	s_and_saveexec_b64 s[44:45], s[8:9]
	s_cbranch_execz .LBB51_30
; %bb.29:                               ;   in Loop: Header=BB51_7 Depth=1
	ds_read2_b32 v[18:19], v32 offset1:16
	s_waitcnt lgkmcnt(0)
	v_min_i32_e32 v18, v19, v18
	ds_write_b32 v32, v18
.LBB51_30:                              ;   in Loop: Header=BB51_7 Depth=1
	;; [unrolled: 11-line block ×5, first 2 shown]
	s_or_b64 exec, exec, s[44:45]
	s_waitcnt lgkmcnt(0)
	s_barrier
	s_and_saveexec_b64 s[44:45], s[16:17]
	s_cbranch_execz .LBB51_6
; %bb.37:                               ;   in Loop: Header=BB51_7 Depth=1
	ds_read_b64 v[18:19], v5
	s_waitcnt lgkmcnt(0)
	v_min_i32_e32 v18, v19, v18
	ds_write_b32 v5, v18
	s_branch .LBB51_6
.LBB51_38:                              ;   in Loop: Header=BB51_7 Depth=1
	ds_read_b32 v24, v33
	v_lshl_add_u64 v[22:23], v[0:1], 2, v[18:19]
	v_cndmask_b32_e64 v23, v23, v21, s[0:1]
	v_cndmask_b32_e64 v22, v22, v20, s[0:1]
	s_waitcnt lgkmcnt(0)
	global_store_dword v[22:23], v24, off
	s_or_b64 exec, exec, s[18:19]
	s_and_saveexec_b64 s[18:19], s[36:37]
	s_cbranch_execz .LBB51_18
.LBB51_39:                              ;   in Loop: Header=BB51_7 Depth=1
	ds_read_b32 v26, v33 offset:32
	v_lshl_add_u64 v[22:23], v[20:21], 0, 32
	v_lshl_add_u64 v[24:25], v[10:11], 2, v[18:19]
	v_cndmask_b32_e64 v23, v25, v23, s[0:1]
	v_cndmask_b32_e64 v22, v24, v22, s[0:1]
	s_waitcnt lgkmcnt(0)
	global_store_dword v[22:23], v26, off
	s_or_b64 exec, exec, s[18:19]
	s_and_saveexec_b64 s[18:19], s[38:39]
	s_cbranch_execz .LBB51_19
.LBB51_40:                              ;   in Loop: Header=BB51_7 Depth=1
	ds_read_b32 v26, v33 offset:64
	v_lshl_add_u64 v[22:23], v[20:21], 0, 64
	v_lshl_add_u64 v[24:25], v[12:13], 2, v[18:19]
	v_cndmask_b32_e64 v23, v25, v23, s[0:1]
	v_cndmask_b32_e64 v22, v24, v22, s[0:1]
	s_waitcnt lgkmcnt(0)
	global_store_dword v[22:23], v26, off
	s_or_b64 exec, exec, s[18:19]
	s_and_saveexec_b64 s[18:19], s[40:41]
	s_cbranch_execnz .LBB51_20
	s_branch .LBB51_21
.LBB51_41:
	s_endpgm
	.section	.rodata,"a",@progbits
	.p2align	6, 0x0
	.amdhsa_kernel _ZN9rocsparseL38csr2bsr_block_per_row_multipass_kernelILj256ELj32EfliEEv20rocsparse_direction_T3_S2_S2_S2_S2_21rocsparse_index_base_PKT1_PKT2_PKS2_S3_PS4_PS7_PS2_
		.amdhsa_group_segment_fixed_size 4100
		.amdhsa_private_segment_fixed_size 0
		.amdhsa_kernarg_size 88
		.amdhsa_user_sgpr_count 2
		.amdhsa_user_sgpr_dispatch_ptr 0
		.amdhsa_user_sgpr_queue_ptr 0
		.amdhsa_user_sgpr_kernarg_segment_ptr 1
		.amdhsa_user_sgpr_dispatch_id 0
		.amdhsa_user_sgpr_kernarg_preload_length 0
		.amdhsa_user_sgpr_kernarg_preload_offset 0
		.amdhsa_user_sgpr_private_segment_size 0
		.amdhsa_uses_dynamic_stack 0
		.amdhsa_enable_private_segment 0
		.amdhsa_system_sgpr_workgroup_id_x 1
		.amdhsa_system_sgpr_workgroup_id_y 0
		.amdhsa_system_sgpr_workgroup_id_z 0
		.amdhsa_system_sgpr_workgroup_info 0
		.amdhsa_system_vgpr_workitem_id 0
		.amdhsa_next_free_vgpr 39
		.amdhsa_next_free_sgpr 54
		.amdhsa_accum_offset 40
		.amdhsa_reserve_vcc 1
		.amdhsa_float_round_mode_32 0
		.amdhsa_float_round_mode_16_64 0
		.amdhsa_float_denorm_mode_32 3
		.amdhsa_float_denorm_mode_16_64 3
		.amdhsa_dx10_clamp 1
		.amdhsa_ieee_mode 1
		.amdhsa_fp16_overflow 0
		.amdhsa_tg_split 0
		.amdhsa_exception_fp_ieee_invalid_op 0
		.amdhsa_exception_fp_denorm_src 0
		.amdhsa_exception_fp_ieee_div_zero 0
		.amdhsa_exception_fp_ieee_overflow 0
		.amdhsa_exception_fp_ieee_underflow 0
		.amdhsa_exception_fp_ieee_inexact 0
		.amdhsa_exception_int_div_zero 0
	.end_amdhsa_kernel
	.section	.text._ZN9rocsparseL38csr2bsr_block_per_row_multipass_kernelILj256ELj32EfliEEv20rocsparse_direction_T3_S2_S2_S2_S2_21rocsparse_index_base_PKT1_PKT2_PKS2_S3_PS4_PS7_PS2_,"axG",@progbits,_ZN9rocsparseL38csr2bsr_block_per_row_multipass_kernelILj256ELj32EfliEEv20rocsparse_direction_T3_S2_S2_S2_S2_21rocsparse_index_base_PKT1_PKT2_PKS2_S3_PS4_PS7_PS2_,comdat
.Lfunc_end51:
	.size	_ZN9rocsparseL38csr2bsr_block_per_row_multipass_kernelILj256ELj32EfliEEv20rocsparse_direction_T3_S2_S2_S2_S2_21rocsparse_index_base_PKT1_PKT2_PKS2_S3_PS4_PS7_PS2_, .Lfunc_end51-_ZN9rocsparseL38csr2bsr_block_per_row_multipass_kernelILj256ELj32EfliEEv20rocsparse_direction_T3_S2_S2_S2_S2_21rocsparse_index_base_PKT1_PKT2_PKS2_S3_PS4_PS7_PS2_
                                        ; -- End function
	.section	.AMDGPU.csdata,"",@progbits
; Kernel info:
; codeLenInByte = 1936
; NumSgprs: 60
; NumVgprs: 39
; NumAgprs: 0
; TotalNumVgprs: 39
; ScratchSize: 0
; MemoryBound: 0
; FloatMode: 240
; IeeeMode: 1
; LDSByteSize: 4100 bytes/workgroup (compile time only)
; SGPRBlocks: 7
; VGPRBlocks: 4
; NumSGPRsForWavesPerEU: 60
; NumVGPRsForWavesPerEU: 39
; AccumOffset: 40
; Occupancy: 8
; WaveLimiterHint : 0
; COMPUTE_PGM_RSRC2:SCRATCH_EN: 0
; COMPUTE_PGM_RSRC2:USER_SGPR: 2
; COMPUTE_PGM_RSRC2:TRAP_HANDLER: 0
; COMPUTE_PGM_RSRC2:TGID_X_EN: 1
; COMPUTE_PGM_RSRC2:TGID_Y_EN: 0
; COMPUTE_PGM_RSRC2:TGID_Z_EN: 0
; COMPUTE_PGM_RSRC2:TIDIG_COMP_CNT: 0
; COMPUTE_PGM_RSRC3_GFX90A:ACCUM_OFFSET: 9
; COMPUTE_PGM_RSRC3_GFX90A:TG_SPLIT: 0
	.section	.text._ZN9rocsparseL38csr2bsr_block_per_row_multipass_kernelILj256ELj64EfliEEv20rocsparse_direction_T3_S2_S2_S2_S2_21rocsparse_index_base_PKT1_PKT2_PKS2_S3_PS4_PS7_PS2_,"axG",@progbits,_ZN9rocsparseL38csr2bsr_block_per_row_multipass_kernelILj256ELj64EfliEEv20rocsparse_direction_T3_S2_S2_S2_S2_21rocsparse_index_base_PKT1_PKT2_PKS2_S3_PS4_PS7_PS2_,comdat
	.globl	_ZN9rocsparseL38csr2bsr_block_per_row_multipass_kernelILj256ELj64EfliEEv20rocsparse_direction_T3_S2_S2_S2_S2_21rocsparse_index_base_PKT1_PKT2_PKS2_S3_PS4_PS7_PS2_ ; -- Begin function _ZN9rocsparseL38csr2bsr_block_per_row_multipass_kernelILj256ELj64EfliEEv20rocsparse_direction_T3_S2_S2_S2_S2_21rocsparse_index_base_PKT1_PKT2_PKS2_S3_PS4_PS7_PS2_
	.p2align	8
	.type	_ZN9rocsparseL38csr2bsr_block_per_row_multipass_kernelILj256ELj64EfliEEv20rocsparse_direction_T3_S2_S2_S2_S2_21rocsparse_index_base_PKT1_PKT2_PKS2_S3_PS4_PS7_PS2_,@function
_ZN9rocsparseL38csr2bsr_block_per_row_multipass_kernelILj256ELj64EfliEEv20rocsparse_direction_T3_S2_S2_S2_S2_21rocsparse_index_base_PKT1_PKT2_PKS2_S3_PS4_PS7_PS2_: ; @_ZN9rocsparseL38csr2bsr_block_per_row_multipass_kernelILj256ELj64EfliEEv20rocsparse_direction_T3_S2_S2_S2_S2_21rocsparse_index_base_PKT1_PKT2_PKS2_S3_PS4_PS7_PS2_
; %bb.0:
	s_load_dwordx4 s[20:23], s[0:1], 0x10
	s_load_dwordx2 s[6:7], s[0:1], 0x0
	s_load_dwordx2 s[8:9], s[0:1], 0x28
	v_lshrrev_b32_e32 v1, 2, v0
	v_mov_b64_e32 v[2:3], 0
	s_waitcnt lgkmcnt(0)
	s_mul_i32 s3, s2, s21
	v_add_u32_e32 v4, s3, v1
	v_cmp_gt_i32_e64 s[4:5], s7, v4
	v_cmp_gt_i32_e32 vcc, s21, v1
	s_and_b64 s[10:11], vcc, s[4:5]
	v_mov_b64_e32 v[28:29], v[2:3]
	s_and_saveexec_b64 s[12:13], s[10:11]
	s_cbranch_execnz .LBB52_3
; %bb.1:
	s_or_b64 exec, exec, s[12:13]
	s_and_saveexec_b64 s[12:13], s[10:11]
	s_cbranch_execnz .LBB52_4
.LBB52_2:
	s_or_b64 exec, exec, s[12:13]
	s_cmp_lt_i32 s20, 1
	s_cbranch_scc0 .LBB52_5
	s_branch .LBB52_65
.LBB52_3:
	v_ashrrev_i32_e32 v5, 31, v4
	v_lshl_add_u64 v[6:7], v[4:5], 3, s[8:9]
	global_load_dwordx2 v[6:7], v[6:7], off
	s_waitcnt vmcnt(0)
	v_subrev_co_u32_e64 v28, s[4:5], s22, v6
	s_nop 1
	v_subbrev_co_u32_e64 v29, s[4:5], 0, v7, s[4:5]
	s_or_b64 exec, exec, s[12:13]
	s_and_saveexec_b64 s[12:13], s[10:11]
	s_cbranch_execz .LBB52_2
.LBB52_4:
	v_ashrrev_i32_e32 v5, 31, v4
	v_lshl_add_u64 v[2:3], v[4:5], 3, s[8:9]
	global_load_dwordx2 v[2:3], v[2:3], off offset:8
	s_waitcnt vmcnt(0)
	v_subrev_co_u32_e64 v2, s[4:5], s22, v2
	s_nop 1
	v_subbrev_co_u32_e64 v3, s[4:5], 0, v3, s[4:5]
	s_or_b64 exec, exec, s[12:13]
	s_cmp_lt_i32 s20, 1
	s_cbranch_scc1 .LBB52_65
.LBB52_5:
	s_load_dwordx4 s[8:11], s[0:1], 0x40
	s_load_dwordx2 s[24:25], s[0:1], 0x50
	s_load_dword s23, s[0:1], 0x38
	s_ashr_i32 s3, s2, 31
	s_lshl_b64 s[2:3], s[2:3], 3
	s_waitcnt lgkmcnt(0)
	s_add_u32 s2, s10, s2
	s_addc_u32 s3, s11, s3
	s_load_dwordx2 s[4:5], s[2:3], 0x0
	s_load_dwordx2 s[26:27], s[0:1], 0x20
	;; [unrolled: 1-line block ×3, first 2 shown]
	v_mov_b32_e32 v5, 0
	v_and_b32_e32 v4, 3, v0
	s_waitcnt lgkmcnt(0)
	s_sub_u32 s30, s4, s23
	v_mul_lo_u32 v8, v1, s21
	v_mov_b32_e32 v9, v5
	s_subb_u32 s31, s5, 0
	v_lshl_add_u64 v[8:9], v[8:9], 2, s[8:9]
	v_lshlrev_b32_e32 v10, 2, v4
	v_mov_b32_e32 v11, v5
	s_cmp_eq_u32 s6, 0
	v_lshl_add_u64 v[8:9], v[8:9], 0, v[10:11]
	v_cmp_gt_u32_e64 s[18:19], s21, v4
	v_or_b32_e32 v10, 4, v4
	s_cselect_b64 s[0:1], -1, 0
	s_and_b64 s[34:35], vcc, s[18:19]
	v_cmp_gt_u32_e64 s[18:19], s21, v10
	v_or_b32_e32 v12, 8, v4
	s_and_b64 s[36:37], vcc, s[18:19]
	v_cmp_gt_u32_e64 s[18:19], s21, v12
	v_or_b32_e32 v14, 12, v4
	v_mbcnt_lo_u32_b32 v6, -1, 0
	s_and_b64 s[38:39], vcc, s[18:19]
	v_cmp_gt_u32_e64 s[18:19], s21, v14
	v_or_b32_e32 v16, 16, v4
	v_mbcnt_hi_u32_b32 v6, -1, v6
	s_and_b64 s[40:41], vcc, s[18:19]
	v_cmp_gt_u32_e64 s[18:19], s21, v16
	v_or_b32_e32 v18, 20, v4
	v_lshlrev_b32_e32 v54, 6, v1
	v_lshl_or_b32 v55, v6, 2, 12
	v_lshlrev_b32_e32 v6, 2, v1
	v_mov_b32_e32 v7, v5
	s_movk_i32 s2, 0x80
	s_and_b64 s[42:43], vcc, s[18:19]
	v_cmp_gt_u32_e64 s[18:19], s21, v18
	v_or_b32_e32 v20, 24, v4
	v_lshl_add_u64 v[6:7], s[8:9], 0, v[6:7]
	v_lshlrev_b32_e32 v56, 2, v0
	v_cmp_gt_u32_e64 s[2:3], s2, v0
	v_cmp_gt_u32_e64 s[4:5], 64, v0
	v_cmp_gt_u32_e64 s[6:7], 32, v0
	v_cmp_gt_u32_e64 s[8:9], 16, v0
	v_cmp_gt_u32_e64 s[10:11], 8, v0
	v_cmp_gt_u32_e64 s[12:13], 4, v0
	v_cmp_gt_u32_e64 s[14:15], 2, v0
	v_cmp_eq_u32_e64 s[16:17], 0, v0
	v_or_b32_e32 v0, v54, v4
	s_and_b64 s[44:45], vcc, s[18:19]
	v_cmp_gt_u32_e64 s[18:19], s21, v20
	v_or_b32_e32 v22, 28, v4
	s_abs_i32 s93, s21
	v_lshlrev_b32_e32 v57, 2, v0
	v_mul_lo_u32 v0, v4, s21
	s_lshl_b32 s66, s21, 2
	s_and_b64 s[46:47], vcc, s[18:19]
	v_cmp_gt_u32_e64 s[18:19], s21, v22
	v_or_b32_e32 v24, 32, v4
	v_cvt_f32_u32_e32 v40, s93
	v_add_u32_e32 v10, s66, v0
	s_and_b64 s[48:49], vcc, s[18:19]
	v_cmp_gt_u32_e64 s[18:19], s21, v24
	v_or_b32_e32 v26, 36, v4
	v_add_u32_e32 v12, s66, v10
	s_and_b64 s[50:51], vcc, s[18:19]
	v_cmp_gt_u32_e64 s[18:19], s21, v26
	v_or_b32_e32 v30, 40, v4
	;; [unrolled: 4-line block ×4, first 2 shown]
	v_rcp_iflag_f32_e32 v42, v40
	v_add_u32_e32 v18, s66, v16
	s_and_b64 s[56:57], vcc, s[18:19]
	v_cmp_gt_u32_e64 s[18:19], s21, v34
	v_or_b32_e32 v36, 52, v4
	v_add_u32_e32 v20, s66, v18
	s_and_b64 s[58:59], vcc, s[18:19]
	v_cmp_gt_u32_e64 s[18:19], s21, v36
	v_or_b32_e32 v38, 56, v4
	;; [unrolled: 4-line block ×3, first 2 shown]
	v_add_u32_e32 v24, s66, v22
	s_and_b64 s[62:63], vcc, s[18:19]
	v_cmp_gt_u32_e64 s[18:19], s21, v41
	v_mul_f32_e32 v41, 0x4f7ffffe, v42
	v_add_u32_e32 v26, s66, v24
	v_cvt_u32_f32_e32 v42, v41
	v_add_u32_e32 v30, s66, v26
	v_add_u32_e32 v32, s66, v30
	;; [unrolled: 1-line block ×3, first 2 shown]
	s_and_b64 s[64:65], vcc, s[18:19]
	s_sub_i32 s18, 0, s93
	v_add_u32_e32 v36, s66, v34
	v_mul_lo_u32 v43, s18, v42
	v_add_u32_e32 v38, s66, v36
	v_mul_hi_u32 v43, v42, v43
	s_mul_hi_u32 s33, s21, s21
	s_mul_i32 s92, s21, s21
	v_mov_b32_e32 v1, v5
	v_mov_b32_e32 v13, v5
	;; [unrolled: 1-line block ×14, first 2 shown]
	v_add_u32_e32 v40, s66, v38
	v_mov_b32_e32 v41, v5
	s_ashr_i32 s94, s21, 31
	v_add_u32_e32 v58, v42, v43
	v_mov_b64_e32 v[42:43], 0
	s_mov_b64 s[66:67], 0x50
	s_mov_b64 s[68:69], 0x60
	;; [unrolled: 1-line block ×11, first 2 shown]
	v_mov_b32_e32 v59, 1
	s_branch .LBB52_7
.LBB52_6:                               ;   in Loop: Header=BB52_7 Depth=1
	s_or_b64 exec, exec, s[88:89]
	s_waitcnt lgkmcnt(0)
	s_barrier
	ds_read_b32 v42, v5
	s_add_u32 s30, s18, s30
	s_addc_u32 s31, s19, s31
	s_waitcnt lgkmcnt(0)
	s_barrier
	v_cmp_gt_i32_e32 vcc, s20, v42
	v_ashrrev_i32_e32 v43, 31, v42
	s_cbranch_vccz .LBB52_65
.LBB52_7:                               ; =>This Loop Header: Depth=1
                                        ;     Child Loop BB52_10 Depth 2
	v_lshl_add_u64 v[28:29], v[28:29], 0, v[4:5]
	v_cmp_lt_i64_e32 vcc, v[28:29], v[2:3]
	v_mov_b32_e32 v60, s20
	v_mov_b64_e32 v[48:49], v[2:3]
	ds_write_b8 v5, v5 offset:16384
	ds_write2_b32 v57, v5, v5 offset1:4
	ds_write2_b32 v57, v5, v5 offset0:8 offset1:12
	ds_write2_b32 v57, v5, v5 offset0:16 offset1:20
	;; [unrolled: 1-line block ×7, first 2 shown]
	s_waitcnt lgkmcnt(0)
	s_barrier
	s_and_saveexec_b64 s[88:89], vcc
	s_cbranch_execz .LBB52_15
; %bb.8:                                ;   in Loop: Header=BB52_7 Depth=1
	v_lshlrev_b64 v[46:47], 2, v[28:29]
	v_lshl_add_u64 v[44:45], s[26:27], 0, v[46:47]
	v_lshl_add_u64 v[46:47], s[28:29], 0, v[46:47]
	s_mov_b64 s[90:91], 0
	v_mov_b32_e32 v60, s20
	v_mov_b64_e32 v[48:49], v[2:3]
	s_branch .LBB52_10
.LBB52_9:                               ;   in Loop: Header=BB52_10 Depth=2
	s_or_b64 exec, exec, s[18:19]
	v_lshl_add_u64 v[28:29], v[28:29], 0, 4
	v_cmp_ge_i64_e64 s[18:19], v[28:29], v[2:3]
	s_xor_b64 s[96:97], vcc, -1
	s_or_b64 s[18:19], s[96:97], s[18:19]
	s_and_b64 s[18:19], exec, s[18:19]
	v_lshl_add_u64 v[44:45], v[44:45], 0, 16
	s_or_b64 s[90:91], s[18:19], s[90:91]
	v_lshl_add_u64 v[46:47], v[46:47], 0, 16
	s_andn2_b64 exec, exec, s[90:91]
	s_cbranch_execz .LBB52_14
.LBB52_10:                              ;   Parent Loop BB52_7 Depth=1
                                        ; =>  This Inner Loop Header: Depth=2
	global_load_dword v50, v[46:47], off
	s_waitcnt vmcnt(0)
	v_subrev_u32_e32 v61, s22, v50
	v_sub_u32_e32 v51, 0, v61
	v_max_i32_e32 v51, v61, v51
	v_mul_hi_u32 v52, v51, v58
	v_mul_lo_u32 v53, v52, s93
	v_sub_u32_e32 v51, v51, v53
	v_add_u32_e32 v62, 1, v52
	v_cmp_le_u32_e32 vcc, s93, v51
	v_subrev_u32_e32 v53, s93, v51
	v_ashrrev_i32_e32 v50, 31, v61
	v_cndmask_b32_e32 v52, v52, v62, vcc
	v_cndmask_b32_e32 v51, v51, v53, vcc
	v_add_u32_e32 v53, 1, v52
	v_cmp_le_u32_e32 vcc, s93, v51
	v_xor_b32_e32 v50, s94, v50
	s_nop 0
	v_cndmask_b32_e32 v51, v52, v53, vcc
	v_xor_b32_e32 v51, v51, v50
	v_sub_u32_e32 v50, v51, v50
	v_ashrrev_i32_e32 v51, 31, v50
	v_cmp_eq_u64_e32 vcc, v[42:43], v[50:51]
	v_cmp_ne_u64_e64 s[18:19], v[42:43], v[50:51]
	v_mov_b64_e32 v[52:53], v[48:49]
	s_and_saveexec_b64 s[96:97], s[18:19]
	s_xor_b64 s[18:19], exec, s[96:97]
; %bb.11:                               ;   in Loop: Header=BB52_10 Depth=2
	v_min_i32_e32 v60, v50, v60
                                        ; implicit-def: $vgpr50
                                        ; implicit-def: $vgpr61
                                        ; implicit-def: $vgpr52_vgpr53
; %bb.12:                               ;   in Loop: Header=BB52_10 Depth=2
	s_or_saveexec_b64 s[18:19], s[18:19]
	v_mov_b64_e32 v[48:49], v[28:29]
	s_xor_b64 exec, exec, s[18:19]
	s_cbranch_execz .LBB52_9
; %bb.13:                               ;   in Loop: Header=BB52_10 Depth=2
	global_load_dword v48, v[44:45], off
	v_mul_lo_u32 v49, v50, s21
	v_sub_u32_e32 v49, v61, v49
	v_add_lshl_u32 v49, v49, v54, 2
	ds_write_b8 v5, v59 offset:16384
	s_waitcnt vmcnt(0)
	ds_write_b32 v49, v48
	v_mov_b64_e32 v[48:49], v[52:53]
	s_branch .LBB52_9
.LBB52_14:                              ;   in Loop: Header=BB52_7 Depth=1
	s_or_b64 exec, exec, s[90:91]
.LBB52_15:                              ;   in Loop: Header=BB52_7 Depth=1
	s_or_b64 exec, exec, s[88:89]
	v_mov_b32_dpp v28, v48 row_shr:1 row_mask:0xf bank_mask:0xf
	v_mov_b32_dpp v29, v49 row_shr:1 row_mask:0xf bank_mask:0xf
	v_cmp_lt_i64_e32 vcc, v[28:29], v[48:49]
	s_waitcnt lgkmcnt(0)
	s_barrier
	v_cndmask_b32_e32 v29, v49, v29, vcc
	v_cndmask_b32_e32 v28, v48, v28, vcc
	s_nop 0
	v_mov_b32_dpp v45, v29 row_shr:2 row_mask:0xf bank_mask:0xf
	v_mov_b32_dpp v44, v28 row_shr:2 row_mask:0xf bank_mask:0xf
	v_cmp_lt_i64_e32 vcc, v[44:45], v[28:29]
	ds_read_u8 v43, v5 offset:16384
	s_mov_b64 s[18:19], 0
	v_cndmask_b32_e32 v29, v29, v45, vcc
	v_cndmask_b32_e32 v28, v28, v44, vcc
	ds_bpermute_b32 v28, v55, v28
	ds_bpermute_b32 v29, v55, v29
	s_waitcnt lgkmcnt(2)
	v_cmp_eq_u32_e32 vcc, 0, v43
	s_cbranch_vccnz .LBB52_34
; %bb.16:                               ;   in Loop: Header=BB52_7 Depth=1
	s_lshl_b64 s[18:19], s[30:31], 2
	s_add_u32 s18, s24, s18
	v_add_u32_e32 v42, s23, v42
	s_addc_u32 s19, s25, s19
	global_store_dword v5, v42, s[18:19]
	s_mul_i32 s18, s92, s31
	s_mul_hi_u32 s19, s92, s30
	s_add_i32 s18, s19, s18
	s_mul_i32 s19, s33, s30
	s_add_i32 s19, s18, s19
	s_mul_i32 s18, s92, s30
	s_lshl_b64 s[18:19], s[18:19], 2
	v_lshl_add_u64 v[42:43], v[6:7], 0, s[18:19]
	v_lshl_add_u64 v[44:45], v[8:9], 0, s[18:19]
	s_and_saveexec_b64 s[18:19], s[34:35]
	s_cbranch_execnz .LBB52_50
; %bb.17:                               ;   in Loop: Header=BB52_7 Depth=1
	s_or_b64 exec, exec, s[18:19]
	s_and_saveexec_b64 s[18:19], s[36:37]
	s_cbranch_execnz .LBB52_51
.LBB52_18:                              ;   in Loop: Header=BB52_7 Depth=1
	s_or_b64 exec, exec, s[18:19]
	s_and_saveexec_b64 s[18:19], s[38:39]
	s_cbranch_execnz .LBB52_52
.LBB52_19:                              ;   in Loop: Header=BB52_7 Depth=1
	s_or_b64 exec, exec, s[18:19]
	s_and_saveexec_b64 s[18:19], s[40:41]
	s_cbranch_execnz .LBB52_53
.LBB52_20:                              ;   in Loop: Header=BB52_7 Depth=1
	s_or_b64 exec, exec, s[18:19]
	s_and_saveexec_b64 s[18:19], s[42:43]
	s_cbranch_execnz .LBB52_54
.LBB52_21:                              ;   in Loop: Header=BB52_7 Depth=1
	s_or_b64 exec, exec, s[18:19]
	s_and_saveexec_b64 s[18:19], s[44:45]
	s_cbranch_execnz .LBB52_55
.LBB52_22:                              ;   in Loop: Header=BB52_7 Depth=1
	s_or_b64 exec, exec, s[18:19]
	s_and_saveexec_b64 s[18:19], s[46:47]
	s_cbranch_execnz .LBB52_56
.LBB52_23:                              ;   in Loop: Header=BB52_7 Depth=1
	s_or_b64 exec, exec, s[18:19]
	s_and_saveexec_b64 s[18:19], s[48:49]
	s_cbranch_execnz .LBB52_57
.LBB52_24:                              ;   in Loop: Header=BB52_7 Depth=1
	s_or_b64 exec, exec, s[18:19]
	s_and_saveexec_b64 s[18:19], s[50:51]
	s_cbranch_execnz .LBB52_58
.LBB52_25:                              ;   in Loop: Header=BB52_7 Depth=1
	s_or_b64 exec, exec, s[18:19]
	s_and_saveexec_b64 s[18:19], s[52:53]
	s_cbranch_execnz .LBB52_59
.LBB52_26:                              ;   in Loop: Header=BB52_7 Depth=1
	s_or_b64 exec, exec, s[18:19]
	s_and_saveexec_b64 s[18:19], s[54:55]
	s_cbranch_execnz .LBB52_60
.LBB52_27:                              ;   in Loop: Header=BB52_7 Depth=1
	s_or_b64 exec, exec, s[18:19]
	s_and_saveexec_b64 s[18:19], s[56:57]
	s_cbranch_execnz .LBB52_61
.LBB52_28:                              ;   in Loop: Header=BB52_7 Depth=1
	s_or_b64 exec, exec, s[18:19]
	s_and_saveexec_b64 s[18:19], s[58:59]
	s_cbranch_execnz .LBB52_62
.LBB52_29:                              ;   in Loop: Header=BB52_7 Depth=1
	s_or_b64 exec, exec, s[18:19]
	s_and_saveexec_b64 s[18:19], s[60:61]
	s_cbranch_execnz .LBB52_63
.LBB52_30:                              ;   in Loop: Header=BB52_7 Depth=1
	s_or_b64 exec, exec, s[18:19]
	s_and_saveexec_b64 s[18:19], s[62:63]
	s_cbranch_execnz .LBB52_64
.LBB52_31:                              ;   in Loop: Header=BB52_7 Depth=1
	s_or_b64 exec, exec, s[18:19]
	s_and_saveexec_b64 s[18:19], s[64:65]
	s_cbranch_execz .LBB52_33
.LBB52_32:                              ;   in Loop: Header=BB52_7 Depth=1
	ds_read_b32 v46, v57 offset:240
	v_lshl_add_u64 v[44:45], v[44:45], 0, s[86:87]
	v_lshl_add_u64 v[42:43], v[40:41], 2, v[42:43]
	v_cndmask_b32_e64 v43, v43, v45, s[0:1]
	v_cndmask_b32_e64 v42, v42, v44, s[0:1]
	s_waitcnt lgkmcnt(0)
	global_store_dword v[42:43], v46, off
.LBB52_33:                              ;   in Loop: Header=BB52_7 Depth=1
	s_or_b64 exec, exec, s[18:19]
	s_mov_b64 s[18:19], 1
.LBB52_34:                              ;   in Loop: Header=BB52_7 Depth=1
	s_waitcnt lgkmcnt(0)
	s_barrier
	ds_write_b32 v56, v60
	s_waitcnt lgkmcnt(0)
	s_barrier
	s_and_saveexec_b64 s[88:89], s[2:3]
	s_cbranch_execz .LBB52_36
; %bb.35:                               ;   in Loop: Header=BB52_7 Depth=1
	ds_read2st64_b32 v[42:43], v56 offset1:2
	s_waitcnt lgkmcnt(0)
	v_min_i32_e32 v42, v43, v42
	ds_write_b32 v56, v42
.LBB52_36:                              ;   in Loop: Header=BB52_7 Depth=1
	s_or_b64 exec, exec, s[88:89]
	s_waitcnt lgkmcnt(0)
	s_barrier
	s_and_saveexec_b64 s[88:89], s[4:5]
	s_cbranch_execz .LBB52_38
; %bb.37:                               ;   in Loop: Header=BB52_7 Depth=1
	ds_read2st64_b32 v[42:43], v56 offset1:1
	s_waitcnt lgkmcnt(0)
	v_min_i32_e32 v42, v43, v42
	ds_write_b32 v56, v42
.LBB52_38:                              ;   in Loop: Header=BB52_7 Depth=1
	s_or_b64 exec, exec, s[88:89]
	s_waitcnt lgkmcnt(0)
	s_barrier
	s_and_saveexec_b64 s[88:89], s[6:7]
	s_cbranch_execz .LBB52_40
; %bb.39:                               ;   in Loop: Header=BB52_7 Depth=1
	ds_read2_b32 v[42:43], v56 offset1:32
	s_waitcnt lgkmcnt(0)
	v_min_i32_e32 v42, v43, v42
	ds_write_b32 v56, v42
.LBB52_40:                              ;   in Loop: Header=BB52_7 Depth=1
	s_or_b64 exec, exec, s[88:89]
	s_waitcnt lgkmcnt(0)
	s_barrier
	s_and_saveexec_b64 s[88:89], s[8:9]
	s_cbranch_execz .LBB52_42
; %bb.41:                               ;   in Loop: Header=BB52_7 Depth=1
	ds_read2_b32 v[42:43], v56 offset1:16
	s_waitcnt lgkmcnt(0)
	v_min_i32_e32 v42, v43, v42
	ds_write_b32 v56, v42
.LBB52_42:                              ;   in Loop: Header=BB52_7 Depth=1
	;; [unrolled: 11-line block ×5, first 2 shown]
	s_or_b64 exec, exec, s[88:89]
	s_waitcnt lgkmcnt(0)
	s_barrier
	s_and_saveexec_b64 s[88:89], s[16:17]
	s_cbranch_execz .LBB52_6
; %bb.49:                               ;   in Loop: Header=BB52_7 Depth=1
	ds_read_b64 v[42:43], v5
	s_waitcnt lgkmcnt(0)
	v_min_i32_e32 v42, v43, v42
	ds_write_b32 v5, v42
	s_branch .LBB52_6
.LBB52_50:                              ;   in Loop: Header=BB52_7 Depth=1
	ds_read_b32 v48, v57
	v_lshl_add_u64 v[46:47], v[0:1], 2, v[42:43]
	v_cndmask_b32_e64 v47, v47, v45, s[0:1]
	v_cndmask_b32_e64 v46, v46, v44, s[0:1]
	s_waitcnt lgkmcnt(0)
	global_store_dword v[46:47], v48, off
	s_or_b64 exec, exec, s[18:19]
	s_and_saveexec_b64 s[18:19], s[36:37]
	s_cbranch_execz .LBB52_18
.LBB52_51:                              ;   in Loop: Header=BB52_7 Depth=1
	ds_read_b32 v50, v57 offset:16
	v_lshl_add_u64 v[46:47], v[44:45], 0, 16
	v_lshl_add_u64 v[48:49], v[10:11], 2, v[42:43]
	v_cndmask_b32_e64 v47, v49, v47, s[0:1]
	v_cndmask_b32_e64 v46, v48, v46, s[0:1]
	s_waitcnt lgkmcnt(0)
	global_store_dword v[46:47], v50, off
	s_or_b64 exec, exec, s[18:19]
	s_and_saveexec_b64 s[18:19], s[38:39]
	s_cbranch_execz .LBB52_19
.LBB52_52:                              ;   in Loop: Header=BB52_7 Depth=1
	ds_read_b32 v50, v57 offset:32
	v_lshl_add_u64 v[46:47], v[44:45], 0, 32
	v_lshl_add_u64 v[48:49], v[12:13], 2, v[42:43]
	v_cndmask_b32_e64 v47, v49, v47, s[0:1]
	v_cndmask_b32_e64 v46, v48, v46, s[0:1]
	s_waitcnt lgkmcnt(0)
	global_store_dword v[46:47], v50, off
	s_or_b64 exec, exec, s[18:19]
	s_and_saveexec_b64 s[18:19], s[40:41]
	s_cbranch_execz .LBB52_20
.LBB52_53:                              ;   in Loop: Header=BB52_7 Depth=1
	ds_read_b32 v50, v57 offset:48
	v_lshl_add_u64 v[46:47], v[44:45], 0, 48
	v_lshl_add_u64 v[48:49], v[14:15], 2, v[42:43]
	v_cndmask_b32_e64 v47, v49, v47, s[0:1]
	v_cndmask_b32_e64 v46, v48, v46, s[0:1]
	s_waitcnt lgkmcnt(0)
	global_store_dword v[46:47], v50, off
	s_or_b64 exec, exec, s[18:19]
	s_and_saveexec_b64 s[18:19], s[42:43]
	s_cbranch_execz .LBB52_21
.LBB52_54:                              ;   in Loop: Header=BB52_7 Depth=1
	ds_read_b32 v50, v57 offset:64
	v_lshl_add_u64 v[46:47], v[44:45], 0, 64
	v_lshl_add_u64 v[48:49], v[16:17], 2, v[42:43]
	v_cndmask_b32_e64 v47, v49, v47, s[0:1]
	v_cndmask_b32_e64 v46, v48, v46, s[0:1]
	s_waitcnt lgkmcnt(0)
	global_store_dword v[46:47], v50, off
	s_or_b64 exec, exec, s[18:19]
	s_and_saveexec_b64 s[18:19], s[44:45]
	s_cbranch_execz .LBB52_22
.LBB52_55:                              ;   in Loop: Header=BB52_7 Depth=1
	ds_read_b32 v50, v57 offset:80
	v_lshl_add_u64 v[46:47], v[44:45], 0, s[66:67]
	v_lshl_add_u64 v[48:49], v[18:19], 2, v[42:43]
	v_cndmask_b32_e64 v47, v49, v47, s[0:1]
	v_cndmask_b32_e64 v46, v48, v46, s[0:1]
	s_waitcnt lgkmcnt(0)
	global_store_dword v[46:47], v50, off
	s_or_b64 exec, exec, s[18:19]
	s_and_saveexec_b64 s[18:19], s[46:47]
	s_cbranch_execz .LBB52_23
.LBB52_56:                              ;   in Loop: Header=BB52_7 Depth=1
	ds_read_b32 v50, v57 offset:96
	v_lshl_add_u64 v[46:47], v[44:45], 0, s[68:69]
	v_lshl_add_u64 v[48:49], v[20:21], 2, v[42:43]
	v_cndmask_b32_e64 v47, v49, v47, s[0:1]
	v_cndmask_b32_e64 v46, v48, v46, s[0:1]
	s_waitcnt lgkmcnt(0)
	global_store_dword v[46:47], v50, off
	s_or_b64 exec, exec, s[18:19]
	s_and_saveexec_b64 s[18:19], s[48:49]
	s_cbranch_execz .LBB52_24
.LBB52_57:                              ;   in Loop: Header=BB52_7 Depth=1
	ds_read_b32 v50, v57 offset:112
	v_lshl_add_u64 v[46:47], v[44:45], 0, s[70:71]
	v_lshl_add_u64 v[48:49], v[22:23], 2, v[42:43]
	v_cndmask_b32_e64 v47, v49, v47, s[0:1]
	v_cndmask_b32_e64 v46, v48, v46, s[0:1]
	s_waitcnt lgkmcnt(0)
	global_store_dword v[46:47], v50, off
	s_or_b64 exec, exec, s[18:19]
	s_and_saveexec_b64 s[18:19], s[50:51]
	s_cbranch_execz .LBB52_25
.LBB52_58:                              ;   in Loop: Header=BB52_7 Depth=1
	ds_read_b32 v50, v57 offset:128
	v_lshl_add_u64 v[46:47], v[44:45], 0, s[72:73]
	v_lshl_add_u64 v[48:49], v[24:25], 2, v[42:43]
	v_cndmask_b32_e64 v47, v49, v47, s[0:1]
	v_cndmask_b32_e64 v46, v48, v46, s[0:1]
	s_waitcnt lgkmcnt(0)
	global_store_dword v[46:47], v50, off
	s_or_b64 exec, exec, s[18:19]
	s_and_saveexec_b64 s[18:19], s[52:53]
	s_cbranch_execz .LBB52_26
.LBB52_59:                              ;   in Loop: Header=BB52_7 Depth=1
	ds_read_b32 v50, v57 offset:144
	v_lshl_add_u64 v[46:47], v[44:45], 0, s[74:75]
	v_lshl_add_u64 v[48:49], v[26:27], 2, v[42:43]
	v_cndmask_b32_e64 v47, v49, v47, s[0:1]
	v_cndmask_b32_e64 v46, v48, v46, s[0:1]
	s_waitcnt lgkmcnt(0)
	global_store_dword v[46:47], v50, off
	s_or_b64 exec, exec, s[18:19]
	s_and_saveexec_b64 s[18:19], s[54:55]
	s_cbranch_execz .LBB52_27
.LBB52_60:                              ;   in Loop: Header=BB52_7 Depth=1
	ds_read_b32 v50, v57 offset:160
	v_lshl_add_u64 v[46:47], v[44:45], 0, s[76:77]
	v_lshl_add_u64 v[48:49], v[30:31], 2, v[42:43]
	v_cndmask_b32_e64 v47, v49, v47, s[0:1]
	v_cndmask_b32_e64 v46, v48, v46, s[0:1]
	s_waitcnt lgkmcnt(0)
	global_store_dword v[46:47], v50, off
	s_or_b64 exec, exec, s[18:19]
	s_and_saveexec_b64 s[18:19], s[56:57]
	s_cbranch_execz .LBB52_28
.LBB52_61:                              ;   in Loop: Header=BB52_7 Depth=1
	ds_read_b32 v50, v57 offset:176
	v_lshl_add_u64 v[46:47], v[44:45], 0, s[78:79]
	v_lshl_add_u64 v[48:49], v[32:33], 2, v[42:43]
	v_cndmask_b32_e64 v47, v49, v47, s[0:1]
	v_cndmask_b32_e64 v46, v48, v46, s[0:1]
	s_waitcnt lgkmcnt(0)
	global_store_dword v[46:47], v50, off
	s_or_b64 exec, exec, s[18:19]
	s_and_saveexec_b64 s[18:19], s[58:59]
	s_cbranch_execz .LBB52_29
.LBB52_62:                              ;   in Loop: Header=BB52_7 Depth=1
	ds_read_b32 v50, v57 offset:192
	v_lshl_add_u64 v[46:47], v[44:45], 0, s[80:81]
	v_lshl_add_u64 v[48:49], v[34:35], 2, v[42:43]
	v_cndmask_b32_e64 v47, v49, v47, s[0:1]
	v_cndmask_b32_e64 v46, v48, v46, s[0:1]
	s_waitcnt lgkmcnt(0)
	global_store_dword v[46:47], v50, off
	s_or_b64 exec, exec, s[18:19]
	s_and_saveexec_b64 s[18:19], s[60:61]
	s_cbranch_execz .LBB52_30
.LBB52_63:                              ;   in Loop: Header=BB52_7 Depth=1
	ds_read_b32 v50, v57 offset:208
	v_lshl_add_u64 v[46:47], v[44:45], 0, s[82:83]
	v_lshl_add_u64 v[48:49], v[36:37], 2, v[42:43]
	v_cndmask_b32_e64 v47, v49, v47, s[0:1]
	v_cndmask_b32_e64 v46, v48, v46, s[0:1]
	s_waitcnt lgkmcnt(0)
	global_store_dword v[46:47], v50, off
	s_or_b64 exec, exec, s[18:19]
	s_and_saveexec_b64 s[18:19], s[62:63]
	s_cbranch_execz .LBB52_31
.LBB52_64:                              ;   in Loop: Header=BB52_7 Depth=1
	ds_read_b32 v50, v57 offset:224
	v_lshl_add_u64 v[46:47], v[44:45], 0, s[84:85]
	v_lshl_add_u64 v[48:49], v[38:39], 2, v[42:43]
	v_cndmask_b32_e64 v47, v49, v47, s[0:1]
	v_cndmask_b32_e64 v46, v48, v46, s[0:1]
	s_waitcnt lgkmcnt(0)
	global_store_dword v[46:47], v50, off
	s_or_b64 exec, exec, s[18:19]
	s_and_saveexec_b64 s[18:19], s[64:65]
	s_cbranch_execnz .LBB52_32
	s_branch .LBB52_33
.LBB52_65:
	s_endpgm
	.section	.rodata,"a",@progbits
	.p2align	6, 0x0
	.amdhsa_kernel _ZN9rocsparseL38csr2bsr_block_per_row_multipass_kernelILj256ELj64EfliEEv20rocsparse_direction_T3_S2_S2_S2_S2_21rocsparse_index_base_PKT1_PKT2_PKS2_S3_PS4_PS7_PS2_
		.amdhsa_group_segment_fixed_size 16388
		.amdhsa_private_segment_fixed_size 0
		.amdhsa_kernarg_size 88
		.amdhsa_user_sgpr_count 2
		.amdhsa_user_sgpr_dispatch_ptr 0
		.amdhsa_user_sgpr_queue_ptr 0
		.amdhsa_user_sgpr_kernarg_segment_ptr 1
		.amdhsa_user_sgpr_dispatch_id 0
		.amdhsa_user_sgpr_kernarg_preload_length 0
		.amdhsa_user_sgpr_kernarg_preload_offset 0
		.amdhsa_user_sgpr_private_segment_size 0
		.amdhsa_uses_dynamic_stack 0
		.amdhsa_enable_private_segment 0
		.amdhsa_system_sgpr_workgroup_id_x 1
		.amdhsa_system_sgpr_workgroup_id_y 0
		.amdhsa_system_sgpr_workgroup_id_z 0
		.amdhsa_system_sgpr_workgroup_info 0
		.amdhsa_system_vgpr_workitem_id 0
		.amdhsa_next_free_vgpr 63
		.amdhsa_next_free_sgpr 98
		.amdhsa_accum_offset 64
		.amdhsa_reserve_vcc 1
		.amdhsa_float_round_mode_32 0
		.amdhsa_float_round_mode_16_64 0
		.amdhsa_float_denorm_mode_32 3
		.amdhsa_float_denorm_mode_16_64 3
		.amdhsa_dx10_clamp 1
		.amdhsa_ieee_mode 1
		.amdhsa_fp16_overflow 0
		.amdhsa_tg_split 0
		.amdhsa_exception_fp_ieee_invalid_op 0
		.amdhsa_exception_fp_denorm_src 0
		.amdhsa_exception_fp_ieee_div_zero 0
		.amdhsa_exception_fp_ieee_overflow 0
		.amdhsa_exception_fp_ieee_underflow 0
		.amdhsa_exception_fp_ieee_inexact 0
		.amdhsa_exception_int_div_zero 0
	.end_amdhsa_kernel
	.section	.text._ZN9rocsparseL38csr2bsr_block_per_row_multipass_kernelILj256ELj64EfliEEv20rocsparse_direction_T3_S2_S2_S2_S2_21rocsparse_index_base_PKT1_PKT2_PKS2_S3_PS4_PS7_PS2_,"axG",@progbits,_ZN9rocsparseL38csr2bsr_block_per_row_multipass_kernelILj256ELj64EfliEEv20rocsparse_direction_T3_S2_S2_S2_S2_21rocsparse_index_base_PKT1_PKT2_PKS2_S3_PS4_PS7_PS2_,comdat
.Lfunc_end52:
	.size	_ZN9rocsparseL38csr2bsr_block_per_row_multipass_kernelILj256ELj64EfliEEv20rocsparse_direction_T3_S2_S2_S2_S2_21rocsparse_index_base_PKT1_PKT2_PKS2_S3_PS4_PS7_PS2_, .Lfunc_end52-_ZN9rocsparseL38csr2bsr_block_per_row_multipass_kernelILj256ELj64EfliEEv20rocsparse_direction_T3_S2_S2_S2_S2_21rocsparse_index_base_PKT1_PKT2_PKS2_S3_PS4_PS7_PS2_
                                        ; -- End function
	.section	.AMDGPU.csdata,"",@progbits
; Kernel info:
; codeLenInByte = 3228
; NumSgprs: 104
; NumVgprs: 63
; NumAgprs: 0
; TotalNumVgprs: 63
; ScratchSize: 0
; MemoryBound: 0
; FloatMode: 240
; IeeeMode: 1
; LDSByteSize: 16388 bytes/workgroup (compile time only)
; SGPRBlocks: 12
; VGPRBlocks: 7
; NumSGPRsForWavesPerEU: 104
; NumVGPRsForWavesPerEU: 63
; AccumOffset: 64
; Occupancy: 3
; WaveLimiterHint : 0
; COMPUTE_PGM_RSRC2:SCRATCH_EN: 0
; COMPUTE_PGM_RSRC2:USER_SGPR: 2
; COMPUTE_PGM_RSRC2:TRAP_HANDLER: 0
; COMPUTE_PGM_RSRC2:TGID_X_EN: 1
; COMPUTE_PGM_RSRC2:TGID_Y_EN: 0
; COMPUTE_PGM_RSRC2:TGID_Z_EN: 0
; COMPUTE_PGM_RSRC2:TIDIG_COMP_CNT: 0
; COMPUTE_PGM_RSRC3_GFX90A:ACCUM_OFFSET: 15
; COMPUTE_PGM_RSRC3_GFX90A:TG_SPLIT: 0
	.section	.text._ZN9rocsparseL21csr2bsr_65_inf_kernelILj32EfliEEv20rocsparse_direction_T2_S2_S2_S2_S2_S2_21rocsparse_index_base_PKT0_PKT1_PKS2_S3_PS4_PS7_PS2_SD_SE_SC_,"axG",@progbits,_ZN9rocsparseL21csr2bsr_65_inf_kernelILj32EfliEEv20rocsparse_direction_T2_S2_S2_S2_S2_S2_21rocsparse_index_base_PKT0_PKT1_PKS2_S3_PS4_PS7_PS2_SD_SE_SC_,comdat
	.globl	_ZN9rocsparseL21csr2bsr_65_inf_kernelILj32EfliEEv20rocsparse_direction_T2_S2_S2_S2_S2_S2_21rocsparse_index_base_PKT0_PKT1_PKS2_S3_PS4_PS7_PS2_SD_SE_SC_ ; -- Begin function _ZN9rocsparseL21csr2bsr_65_inf_kernelILj32EfliEEv20rocsparse_direction_T2_S2_S2_S2_S2_S2_21rocsparse_index_base_PKT0_PKT1_PKS2_S3_PS4_PS7_PS2_SD_SE_SC_
	.p2align	8
	.type	_ZN9rocsparseL21csr2bsr_65_inf_kernelILj32EfliEEv20rocsparse_direction_T2_S2_S2_S2_S2_S2_21rocsparse_index_base_PKT0_PKT1_PKS2_S3_PS4_PS7_PS2_SD_SE_SC_,@function
_ZN9rocsparseL21csr2bsr_65_inf_kernelILj32EfliEEv20rocsparse_direction_T2_S2_S2_S2_S2_S2_21rocsparse_index_base_PKT0_PKT1_PKS2_S3_PS4_PS7_PS2_SD_SE_SC_: ; @_ZN9rocsparseL21csr2bsr_65_inf_kernelILj32EfliEEv20rocsparse_direction_T2_S2_S2_S2_S2_S2_21rocsparse_index_base_PKT0_PKT1_PKS2_S3_PS4_PS7_PS2_SD_SE_SC_
; %bb.0:
	s_load_dwordx4 s[8:11], s[0:1], 0x0
	s_load_dwordx2 s[4:5], s[0:1], 0x58
	s_load_dword s33, s[0:1], 0x38
	s_mov_b32 s21, 0
	s_waitcnt lgkmcnt(0)
	s_cmp_ge_i32 s2, s11
	s_mov_b32 s11, 0
	s_cbranch_scc1 .LBB53_2
; %bb.1:
	s_load_dwordx2 s[6:7], s[0:1], 0x48
	s_ashr_i32 s3, s2, 31
	s_lshl_b64 s[12:13], s[2:3], 3
	s_waitcnt lgkmcnt(0)
	s_add_u32 s6, s6, s12
	s_addc_u32 s7, s7, s13
	s_load_dword s3, s[6:7], 0x0
	s_waitcnt lgkmcnt(0)
	s_sub_i32 s11, s3, s33
.LBB53_2:
	s_load_dwordx4 s[12:15], s[0:1], 0x14
	s_waitcnt lgkmcnt(0)
	s_mul_i32 s3, s2, s13
	s_lshl_b32 s20, s3, 6
	s_lshl_b64 s[6:7], s[20:21], 3
	s_add_u32 s22, s4, s6
	v_mul_lo_u32 v6, v0, s13
	s_addc_u32 s23, s5, s7
	s_lshl_b32 s20, s13, 5
	v_ashrrev_i32_e32 v7, 31, v6
	s_cmp_gt_i32 s13, 0
	s_cselect_b64 s[24:25], -1, 0
	s_cmp_lt_i32 s13, 1
	v_lshl_add_u64 v[2:3], v[6:7], 3, s[22:23]
	s_cbranch_scc1 .LBB53_7
; %bb.3:
	s_load_dwordx2 s[6:7], s[0:1], 0x28
	s_mov_b32 s15, 0
	s_mov_b32 s4, s15
	;; [unrolled: 1-line block ×3, first 2 shown]
	s_mul_i32 s3, s2, s12
	s_lshl_b64 s[16:17], s[20:21], 3
	v_mov_b64_e32 v[4:5], s[4:5]
	v_mov_b32_e32 v1, v0
	v_mov_b64_e32 v[8:9], v[2:3]
	s_mov_b32 s18, s13
	s_branch .LBB53_5
.LBB53_4:                               ;   in Loop: Header=BB53_5 Depth=1
	s_or_b64 exec, exec, s[4:5]
	s_add_i32 s18, s18, -1
	v_lshl_add_u64 v[8:9], v[8:9], 0, 8
	s_cmp_eq_u32 s18, 0
	v_add_u32_e32 v1, 32, v1
	s_cbranch_scc1 .LBB53_7
.LBB53_5:                               ; =>This Inner Loop Header: Depth=1
	v_add_u32_e32 v12, s3, v1
	v_cmp_gt_i32_e32 vcc, s9, v12
	v_cmp_gt_u32_e64 s[4:5], s12, v1
	v_lshl_add_u64 v[10:11], v[8:9], 0, s[16:17]
	s_and_b64 s[26:27], s[4:5], vcc
	global_store_dwordx2 v[8:9], v[4:5], off
	global_store_dwordx2 v[10:11], v[4:5], off
	s_and_saveexec_b64 s[4:5], s[26:27]
	s_cbranch_execz .LBB53_4
; %bb.6:                                ;   in Loop: Header=BB53_5 Depth=1
	v_ashrrev_i32_e32 v13, 31, v12
	s_waitcnt lgkmcnt(0)
	v_lshl_add_u64 v[12:13], v[12:13], 3, s[6:7]
	global_load_dwordx4 v[12:15], v[12:13], off
	v_mov_b32_e32 v16, s15
	s_waitcnt vmcnt(0)
	v_subrev_co_u32_e32 v12, vcc, s14, v12
	s_nop 1
	v_subb_co_u32_e32 v13, vcc, v13, v16, vcc
	v_subrev_co_u32_e32 v14, vcc, s14, v14
	s_nop 1
	v_subb_co_u32_e32 v15, vcc, v15, v16, vcc
	global_store_dwordx2 v[8:9], v[12:13], off
	global_store_dwordx2 v[10:11], v[14:15], off
	s_branch .LBB53_4
.LBB53_7:
	s_cmp_lt_i32 s10, 1
	s_cbranch_scc1 .LBB53_37
; %bb.8:
	s_load_dwordx4 s[28:31], s[0:1], 0x60
	s_load_dwordx2 s[4:5], s[0:1], 0x20
	s_waitcnt lgkmcnt(0)
	s_load_dwordx2 s[6:7], s[0:1], 0x50
	s_load_dwordx2 s[16:17], s[0:1], 0x40
	;; [unrolled: 1-line block ×3, first 2 shown]
	s_lshl_b64 s[0:1], s[20:21], 3
	s_add_u32 s0, s22, s0
	s_addc_u32 s1, s23, s1
	s_mul_i32 s20, s20, s2
	s_mov_b32 s21, 0
	v_lshl_add_u64 v[4:5], v[6:7], 3, s[0:1]
	s_lshl_b64 s[0:1], s[20:21], 2
	s_add_u32 s2, s28, s0
	s_addc_u32 s3, s29, s1
	s_add_u32 s0, s30, s0
	s_addc_u32 s1, s31, s1
	s_cmp_lg_u32 s8, 0
	s_cselect_b64 s[8:9], -1, 0
	s_abs_i32 s15, s12
	v_cvt_f32_u32_e32 v1, s15
	v_mbcnt_lo_u32_b32 v11, -1, 0
	v_mbcnt_hi_u32_b32 v11, -1, v11
	v_mov_b32_e32 v12, 0x7c
	v_rcp_iflag_f32_e32 v13, v1
	v_lshl_or_b32 v1, v11, 2, v12
	v_lshlrev_b64 v[8:9], 2, v[6:7]
	v_lshl_add_u64 v[6:7], s[2:3], 0, v[8:9]
	v_mul_f32_e32 v11, 0x4f7ffffe, v13
	v_cvt_u32_f32_e32 v11, v11
	s_sub_i32 s2, 0, s15
	v_lshl_add_u64 v[8:9], s[0:1], 0, v[8:9]
	v_cmp_eq_u32_e64 s[0:1], 31, v0
	v_mul_lo_u32 v12, s2, v11
	v_mul_hi_u32 v12, v11, v12
	v_add_u32_e32 v26, v11, v12
	v_cndmask_b32_e64 v11, 0, 1, s[24:25]
	v_mov_b32_e32 v10, 0
	s_add_i32 s38, s11, -1
	s_mul_hi_i32 s39, s12, s12
	s_mul_i32 s40, s12, s12
	s_ashr_i32 s41, s12, 31
	v_mul_lo_u32 v27, v0, s12
	s_lshl_b32 s42, s12, 5
	s_mov_b64 s[22:23], 0
	v_cmp_ne_u32_e64 s[2:3], 1, v11
	v_mov_b32_e32 v11, 0
	v_mov_b32_e32 v28, 0
	;; [unrolled: 1-line block ×3, first 2 shown]
	s_branch .LBB53_10
.LBB53_9:                               ;   in Loop: Header=BB53_10 Depth=1
	s_waitcnt lgkmcnt(0)
	v_add_u32_e32 v10, 1, v24
	v_cmp_le_i32_e32 vcc, s10, v10
	s_or_b64 s[22:23], vcc, s[22:23]
	s_andn2_b64 exec, exec, s[22:23]
	s_cbranch_execz .LBB53_37
.LBB53_10:                              ; =>This Loop Header: Depth=1
                                        ;     Child Loop BB53_14 Depth 2
                                        ;       Child Loop BB53_17 Depth 3
                                        ;     Child Loop BB53_31 Depth 2
	s_and_b64 vcc, exec, s[2:3]
	v_mov_b32_e32 v30, s10
	s_cbranch_vccnz .LBB53_23
; %bb.11:                               ;   in Loop: Header=BB53_10 Depth=1
	s_mov_b32 s20, 0
	v_mov_b32_e32 v30, s10
	s_branch .LBB53_14
.LBB53_12:                              ;   in Loop: Header=BB53_14 Depth=2
	s_or_b64 exec, exec, s[26:27]
.LBB53_13:                              ;   in Loop: Header=BB53_14 Depth=2
	s_or_b64 exec, exec, s[24:25]
	s_add_i32 s20, s20, 1
	s_cmp_eq_u32 s20, s13
	s_cbranch_scc1 .LBB53_23
.LBB53_14:                              ;   Parent Loop BB53_10 Depth=1
                                        ; =>  This Loop Header: Depth=2
                                        ;       Child Loop BB53_17 Depth 3
	s_lshl_b64 s[24:25], s[20:21], 3
	v_lshl_add_u64 v[12:13], v[2:3], 0, s[24:25]
	v_lshl_add_u64 v[14:15], v[4:5], 0, s[24:25]
	global_load_dwordx2 v[22:23], v[12:13], off
	global_load_dwordx2 v[20:21], v[14:15], off
	s_lshl_b64 s[24:25], s[20:21], 2
	v_lshl_add_u64 v[14:15], v[8:9], 0, s[24:25]
	v_lshl_add_u64 v[16:17], v[6:7], 0, s[24:25]
	v_mov_b32_e32 v18, s10
	global_store_dword v[14:15], v11, off
	global_store_dword v[16:17], v18, off
	s_waitcnt vmcnt(2)
	v_cmp_lt_i64_e32 vcc, v[22:23], v[20:21]
	s_and_saveexec_b64 s[24:25], vcc
	s_cbranch_execz .LBB53_13
; %bb.15:                               ;   in Loop: Header=BB53_14 Depth=2
	s_waitcnt lgkmcnt(0)
	v_lshl_add_u64 v[24:25], v[22:23], 2, s[18:19]
	s_mov_b64 s[26:27], 0
                                        ; implicit-def: $sgpr28_sgpr29
                                        ; implicit-def: $sgpr34_sgpr35
                                        ; implicit-def: $sgpr30_sgpr31
	s_branch .LBB53_17
.LBB53_16:                              ;   in Loop: Header=BB53_17 Depth=3
	s_or_b64 exec, exec, s[36:37]
	s_and_b64 s[36:37], exec, s[34:35]
	s_or_b64 s[26:27], s[36:37], s[26:27]
	s_andn2_b64 s[28:29], s[28:29], exec
	s_and_b64 s[36:37], s[30:31], exec
	s_or_b64 s[28:29], s[28:29], s[36:37]
	s_andn2_b64 exec, exec, s[26:27]
	s_cbranch_execz .LBB53_19
.LBB53_17:                              ;   Parent Loop BB53_10 Depth=1
                                        ;     Parent Loop BB53_14 Depth=2
                                        ; =>    This Inner Loop Header: Depth=3
	global_load_dword v31, v[24:25], off
	v_mov_b64_e32 v[18:19], v[22:23]
	s_or_b64 s[30:31], s[30:31], exec
	s_or_b64 s[34:35], s[34:35], exec
                                        ; implicit-def: $vgpr22_vgpr23
	s_waitcnt vmcnt(0)
	v_subrev_u32_e32 v31, s14, v31
	v_cmp_lt_i32_e32 vcc, v31, v10
	s_and_saveexec_b64 s[36:37], vcc
	s_cbranch_execz .LBB53_16
; %bb.18:                               ;   in Loop: Header=BB53_17 Depth=3
	v_lshl_add_u64 v[22:23], v[18:19], 0, 1
	v_cmp_ge_i64_e32 vcc, v[22:23], v[20:21]
	s_andn2_b64 s[34:35], s[34:35], exec
	s_and_b64 s[44:45], vcc, exec
	v_lshl_add_u64 v[24:25], v[24:25], 0, 4
	s_andn2_b64 s[30:31], s[30:31], exec
	s_or_b64 s[34:35], s[34:35], s[44:45]
	s_branch .LBB53_16
.LBB53_19:                              ;   in Loop: Header=BB53_14 Depth=2
	s_or_b64 exec, exec, s[26:27]
	s_xor_b64 s[26:27], s[28:29], -1
	v_lshl_add_u64 v[20:21], v[18:19], 2, s[4:5]
	s_and_saveexec_b64 s[28:29], s[26:27]
	s_xor_b64 s[26:27], exec, s[28:29]
	s_cbranch_execz .LBB53_21
; %bb.20:                               ;   in Loop: Header=BB53_14 Depth=2
	global_load_dword v12, v[20:21], off
                                        ; implicit-def: $vgpr20_vgpr21
	s_waitcnt vmcnt(0)
	global_store_dword v[14:15], v12, off
	global_store_dword v[16:17], v31, off
                                        ; implicit-def: $vgpr14_vgpr15
                                        ; implicit-def: $vgpr16_vgpr17
                                        ; implicit-def: $vgpr12_vgpr13
.LBB53_21:                              ;   in Loop: Header=BB53_14 Depth=2
	s_andn2_saveexec_b64 s[26:27], s[26:27]
	s_cbranch_execz .LBB53_12
; %bb.22:                               ;   in Loop: Header=BB53_14 Depth=2
	global_load_dword v20, v[20:21], off
	v_min_i32_e32 v30, v31, v30
	global_store_dword v[16:17], v31, off
	s_waitcnt vmcnt(1)
	global_store_dword v[14:15], v20, off
	global_store_dwordx2 v[12:13], v[18:19], off
	s_branch .LBB53_12
.LBB53_23:                              ;   in Loop: Header=BB53_10 Depth=1
	s_nop 0
	v_mov_b32_dpp v10, v30 row_shr:1 row_mask:0xf bank_mask:0xf
	v_min_i32_e32 v10, v10, v30
	s_nop 1
	v_mov_b32_dpp v12, v10 row_shr:2 row_mask:0xf bank_mask:0xf
	v_min_i32_e32 v10, v12, v10
	;; [unrolled: 3-line block ×4, first 2 shown]
	s_nop 1
	v_mov_b32_dpp v12, v10 row_bcast:15 row_mask:0xa bank_mask:0xf
	v_min_i32_e32 v10, v12, v10
	v_cmp_gt_i32_e32 vcc, s10, v10
	s_and_b64 s[26:27], s[0:1], vcc
	s_and_saveexec_b64 s[24:25], s[26:27]
	s_cbranch_execz .LBB53_27
; %bb.24:                               ;   in Loop: Header=BB53_10 Depth=1
	v_sub_u32_e32 v13, 0, v10
	v_max_i32_e32 v13, v10, v13
	v_mul_hi_u32 v14, v13, v26
	v_mul_lo_u32 v15, v14, s15
	v_sub_u32_e32 v13, v13, v15
	v_add_u32_e32 v15, 1, v14
	v_cmp_le_u32_e32 vcc, s15, v13
	v_ashrrev_i32_e32 v12, 31, v10
	v_xor_b32_e32 v12, s41, v12
	v_cndmask_b32_e32 v14, v14, v15, vcc
	v_subrev_u32_e32 v15, s15, v13
	v_cndmask_b32_e32 v13, v13, v15, vcc
	v_add_u32_e32 v15, 1, v14
	v_cmp_le_u32_e32 vcc, s15, v13
	s_nop 1
	v_cndmask_b32_e32 v13, v14, v15, vcc
	v_xor_b32_e32 v13, v13, v12
	v_sub_u32_e32 v12, v13, v12
	v_cmp_ge_i32_e32 vcc, v12, v28
	s_and_saveexec_b64 s[26:27], vcc
	s_cbranch_execz .LBB53_26
; %bb.25:                               ;   in Loop: Header=BB53_10 Depth=1
	v_add_u32_e32 v14, s11, v29
	v_add_u32_e32 v13, 1, v29
	v_ashrrev_i32_e32 v15, 31, v14
	v_add_u32_e32 v28, 1, v12
	s_waitcnt lgkmcnt(0)
	v_lshl_add_u64 v[14:15], v[14:15], 2, s[6:7]
	v_add_u32_e32 v12, s33, v12
	v_mov_b32_e32 v29, v13
	global_store_dword v[14:15], v12, off
.LBB53_26:                              ;   in Loop: Header=BB53_10 Depth=1
	s_or_b64 exec, exec, s[26:27]
.LBB53_27:                              ;   in Loop: Header=BB53_10 Depth=1
	s_or_b64 exec, exec, s[24:25]
	ds_bpermute_b32 v24, v1, v10
	ds_bpermute_b32 v29, v1, v29
	s_and_b64 vcc, exec, s[2:3]
	s_cbranch_vccnz .LBB53_9
; %bb.28:                               ;   in Loop: Header=BB53_10 Depth=1
	s_waitcnt lgkmcnt(0)
	v_add_u32_e32 v10, s38, v29
	v_ashrrev_i32_e32 v12, 31, v10
	v_mul_lo_u32 v14, s40, v12
	v_mul_lo_u32 v15, s39, v10
	v_mad_u64_u32 v[12:13], s[24:25], s40, v10, 0
	v_add3_u32 v13, v13, v14, v15
	v_sub_u32_e32 v14, 0, v24
	v_max_i32_e32 v14, v24, v14
	v_mul_hi_u32 v15, v14, v26
	v_mul_lo_u32 v16, v15, s15
	v_sub_u32_e32 v14, v14, v16
	v_add_u32_e32 v16, 1, v15
	v_cmp_le_u32_e32 vcc, s15, v14
	v_ashrrev_i32_e32 v10, 31, v24
	v_xor_b32_e32 v10, s41, v10
	v_cndmask_b32_e32 v15, v15, v16, vcc
	v_subrev_u32_e32 v16, s15, v14
	v_cndmask_b32_e32 v14, v14, v16, vcc
	v_add_u32_e32 v16, 1, v15
	v_cmp_le_u32_e32 vcc, s15, v14
	v_lshl_add_u64 v[12:13], v[12:13], 2, s[16:17]
	s_mov_b32 s20, s13
	v_cndmask_b32_e32 v14, v15, v16, vcc
	v_xor_b32_e32 v14, v14, v10
	v_sub_u32_e32 v25, v14, v10
	v_mov_b64_e32 v[14:15], v[8:9]
	v_mov_b64_e32 v[16:17], v[6:7]
	v_mov_b32_e32 v18, v0
	v_mov_b32_e32 v10, v27
	s_branch .LBB53_31
.LBB53_29:                              ;   in Loop: Header=BB53_31 Depth=2
	v_lshl_add_u64 v[20:21], v[20:21], 2, v[12:13]
	v_lshl_add_u64 v[20:21], v[22:23], 2, v[20:21]
	s_waitcnt vmcnt(0)
	global_store_dword v[20:21], v32, off
.LBB53_30:                              ;   in Loop: Header=BB53_31 Depth=2
	s_or_b64 exec, exec, s[24:25]
	s_add_i32 s20, s20, -1
	v_add_u32_e32 v10, s42, v10
	v_add_u32_e32 v18, 32, v18
	v_lshl_add_u64 v[16:17], v[16:17], 0, 4
	s_cmp_eq_u32 s20, 0
	v_lshl_add_u64 v[14:15], v[14:15], 0, 4
	s_cbranch_scc1 .LBB53_9
.LBB53_31:                              ;   Parent Loop BB53_10 Depth=1
                                        ; =>  This Inner Loop Header: Depth=2
	global_load_dword v19, v[16:17], off
	s_waitcnt vmcnt(0)
	v_cmp_gt_i32_e32 vcc, s10, v19
	s_and_saveexec_b64 s[24:25], vcc
	s_cbranch_execz .LBB53_30
; %bb.32:                               ;   in Loop: Header=BB53_31 Depth=2
	v_sub_u32_e32 v21, 0, v19
	v_max_i32_e32 v21, v19, v21
	v_mul_hi_u32 v22, v21, v26
	v_mul_lo_u32 v23, v22, s15
	v_sub_u32_e32 v31, v21, v23
	v_add_u32_e32 v21, 1, v22
	v_cmp_le_u32_e32 vcc, s15, v31
	v_subrev_u32_e32 v33, s15, v31
	v_ashrrev_i32_e32 v30, 31, v19
	v_cndmask_b32_e32 v21, v22, v21, vcc
	v_cndmask_b32_e32 v22, v31, v33, vcc
	v_add_u32_e32 v23, 1, v21
	v_cmp_le_u32_e32 vcc, s15, v22
	v_xor_b32_e32 v20, s41, v30
	s_nop 0
	v_cndmask_b32_e32 v21, v21, v23, vcc
	v_xor_b32_e32 v21, v21, v20
	v_sub_u32_e32 v20, v21, v20
	v_cmp_eq_u32_e32 vcc, v20, v25
	s_and_b64 exec, exec, vcc
	s_cbranch_execz .LBB53_30
; %bb.33:                               ;   in Loop: Header=BB53_31 Depth=2
	global_load_dword v32, v[14:15], off
	s_and_b64 vcc, exec, s[8:9]
	s_cbranch_vccz .LBB53_35
; %bb.34:                               ;   in Loop: Header=BB53_31 Depth=2
	v_mul_lo_u32 v20, v25, s12
	v_sub_u32_e32 v19, v19, v20
	v_mul_lo_u32 v20, v19, s12
	v_mov_b32_e32 v19, v11
	v_ashrrev_i32_e32 v21, 31, v20
	v_mov_b64_e32 v[22:23], v[18:19]
	s_cbranch_execnz .LBB53_29
	s_branch .LBB53_36
.LBB53_35:                              ;   in Loop: Header=BB53_31 Depth=2
                                        ; implicit-def: $vgpr22_vgpr23
                                        ; implicit-def: $vgpr20_vgpr21
.LBB53_36:                              ;   in Loop: Header=BB53_31 Depth=2
	v_cmp_le_u32_e32 vcc, s15, v31
	s_nop 1
	v_cndmask_b32_e32 v19, v31, v33, vcc
	v_subrev_u32_e32 v20, s15, v19
	v_cmp_le_u32_e32 vcc, s15, v19
	s_nop 1
	v_cndmask_b32_e32 v19, v19, v20, vcc
	v_xor_b32_e32 v19, v19, v30
	v_sub_u32_e32 v22, v19, v30
	v_ashrrev_i32_e32 v23, 31, v22
	v_mov_b64_e32 v[20:21], v[10:11]
	s_branch .LBB53_29
.LBB53_37:
	s_endpgm
	.section	.rodata,"a",@progbits
	.p2align	6, 0x0
	.amdhsa_kernel _ZN9rocsparseL21csr2bsr_65_inf_kernelILj32EfliEEv20rocsparse_direction_T2_S2_S2_S2_S2_S2_21rocsparse_index_base_PKT0_PKT1_PKS2_S3_PS4_PS7_PS2_SD_SE_SC_
		.amdhsa_group_segment_fixed_size 0
		.amdhsa_private_segment_fixed_size 0
		.amdhsa_kernarg_size 112
		.amdhsa_user_sgpr_count 2
		.amdhsa_user_sgpr_dispatch_ptr 0
		.amdhsa_user_sgpr_queue_ptr 0
		.amdhsa_user_sgpr_kernarg_segment_ptr 1
		.amdhsa_user_sgpr_dispatch_id 0
		.amdhsa_user_sgpr_kernarg_preload_length 0
		.amdhsa_user_sgpr_kernarg_preload_offset 0
		.amdhsa_user_sgpr_private_segment_size 0
		.amdhsa_uses_dynamic_stack 0
		.amdhsa_enable_private_segment 0
		.amdhsa_system_sgpr_workgroup_id_x 1
		.amdhsa_system_sgpr_workgroup_id_y 0
		.amdhsa_system_sgpr_workgroup_id_z 0
		.amdhsa_system_sgpr_workgroup_info 0
		.amdhsa_system_vgpr_workitem_id 0
		.amdhsa_next_free_vgpr 34
		.amdhsa_next_free_sgpr 46
		.amdhsa_accum_offset 36
		.amdhsa_reserve_vcc 1
		.amdhsa_float_round_mode_32 0
		.amdhsa_float_round_mode_16_64 0
		.amdhsa_float_denorm_mode_32 3
		.amdhsa_float_denorm_mode_16_64 3
		.amdhsa_dx10_clamp 1
		.amdhsa_ieee_mode 1
		.amdhsa_fp16_overflow 0
		.amdhsa_tg_split 0
		.amdhsa_exception_fp_ieee_invalid_op 0
		.amdhsa_exception_fp_denorm_src 0
		.amdhsa_exception_fp_ieee_div_zero 0
		.amdhsa_exception_fp_ieee_overflow 0
		.amdhsa_exception_fp_ieee_underflow 0
		.amdhsa_exception_fp_ieee_inexact 0
		.amdhsa_exception_int_div_zero 0
	.end_amdhsa_kernel
	.section	.text._ZN9rocsparseL21csr2bsr_65_inf_kernelILj32EfliEEv20rocsparse_direction_T2_S2_S2_S2_S2_S2_21rocsparse_index_base_PKT0_PKT1_PKS2_S3_PS4_PS7_PS2_SD_SE_SC_,"axG",@progbits,_ZN9rocsparseL21csr2bsr_65_inf_kernelILj32EfliEEv20rocsparse_direction_T2_S2_S2_S2_S2_S2_21rocsparse_index_base_PKT0_PKT1_PKS2_S3_PS4_PS7_PS2_SD_SE_SC_,comdat
.Lfunc_end53:
	.size	_ZN9rocsparseL21csr2bsr_65_inf_kernelILj32EfliEEv20rocsparse_direction_T2_S2_S2_S2_S2_S2_21rocsparse_index_base_PKT0_PKT1_PKS2_S3_PS4_PS7_PS2_SD_SE_SC_, .Lfunc_end53-_ZN9rocsparseL21csr2bsr_65_inf_kernelILj32EfliEEv20rocsparse_direction_T2_S2_S2_S2_S2_S2_21rocsparse_index_base_PKT0_PKT1_PKS2_S3_PS4_PS7_PS2_SD_SE_SC_
                                        ; -- End function
	.section	.AMDGPU.csdata,"",@progbits
; Kernel info:
; codeLenInByte = 1760
; NumSgprs: 52
; NumVgprs: 34
; NumAgprs: 0
; TotalNumVgprs: 34
; ScratchSize: 0
; MemoryBound: 0
; FloatMode: 240
; IeeeMode: 1
; LDSByteSize: 0 bytes/workgroup (compile time only)
; SGPRBlocks: 6
; VGPRBlocks: 4
; NumSGPRsForWavesPerEU: 52
; NumVGPRsForWavesPerEU: 34
; AccumOffset: 36
; Occupancy: 8
; WaveLimiterHint : 0
; COMPUTE_PGM_RSRC2:SCRATCH_EN: 0
; COMPUTE_PGM_RSRC2:USER_SGPR: 2
; COMPUTE_PGM_RSRC2:TRAP_HANDLER: 0
; COMPUTE_PGM_RSRC2:TGID_X_EN: 1
; COMPUTE_PGM_RSRC2:TGID_Y_EN: 0
; COMPUTE_PGM_RSRC2:TGID_Z_EN: 0
; COMPUTE_PGM_RSRC2:TIDIG_COMP_CNT: 0
; COMPUTE_PGM_RSRC3_GFX90A:ACCUM_OFFSET: 8
; COMPUTE_PGM_RSRC3_GFX90A:TG_SPLIT: 0
	.section	.text._ZN9rocsparseL35csr2bsr_block_dim_equals_one_kernelILj256EfilEEvT2_S1_S1_S1_21rocsparse_index_base_PKT0_PKT1_PKS1_S2_PS3_PS6_PS1_,"axG",@progbits,_ZN9rocsparseL35csr2bsr_block_dim_equals_one_kernelILj256EfilEEvT2_S1_S1_S1_21rocsparse_index_base_PKT0_PKT1_PKS1_S2_PS3_PS6_PS1_,comdat
	.globl	_ZN9rocsparseL35csr2bsr_block_dim_equals_one_kernelILj256EfilEEvT2_S1_S1_S1_21rocsparse_index_base_PKT0_PKT1_PKS1_S2_PS3_PS6_PS1_ ; -- Begin function _ZN9rocsparseL35csr2bsr_block_dim_equals_one_kernelILj256EfilEEvT2_S1_S1_S1_21rocsparse_index_base_PKT0_PKT1_PKS1_S2_PS3_PS6_PS1_
	.p2align	8
	.type	_ZN9rocsparseL35csr2bsr_block_dim_equals_one_kernelILj256EfilEEvT2_S1_S1_S1_21rocsparse_index_base_PKT0_PKT1_PKS1_S2_PS3_PS6_PS1_,@function
_ZN9rocsparseL35csr2bsr_block_dim_equals_one_kernelILj256EfilEEvT2_S1_S1_S1_21rocsparse_index_base_PKT0_PKT1_PKS1_S2_PS3_PS6_PS1_: ; @_ZN9rocsparseL35csr2bsr_block_dim_equals_one_kernelILj256EfilEEvT2_S1_S1_S1_21rocsparse_index_base_PKT0_PKT1_PKS1_S2_PS3_PS6_PS1_
; %bb.0:
	s_load_dwordx2 s[8:9], s[0:1], 0x0
	s_load_dwordx4 s[4:7], s[0:1], 0x28
	v_lshl_or_b32 v0, s2, 8, v0
	s_waitcnt lgkmcnt(0)
	s_lshl_b64 s[8:9], s[8:9], 2
	s_add_u32 s8, s6, s8
	s_addc_u32 s9, s7, s9
	s_load_dword s3, s[8:9], 0x0
	s_load_dword s10, s[6:7], 0x0
	s_waitcnt lgkmcnt(0)
	s_sub_i32 s12, s3, s10
	v_cmp_gt_i32_e32 vcc, s12, v0
	s_and_saveexec_b64 s[2:3], vcc
	s_cbranch_execz .LBB54_3
; %bb.1:
	s_load_dword s10, s[0:1], 0x40
	s_load_dwordx2 s[2:3], s[0:1], 0x48
	s_load_dword s11, s[0:1], 0x20
	s_load_dword s13, s[0:1], 0x60
	s_load_dwordx2 s[6:7], s[0:1], 0x38
	s_load_dwordx2 s[8:9], s[0:1], 0x58
	s_waitcnt lgkmcnt(0)
	s_sub_u32 s0, s10, s11
	s_subb_u32 s1, 0, 0
	s_lshl_b32 s13, s13, 8
	s_mov_b64 s[10:11], 0
.LBB54_2:                               ; =>This Inner Loop Header: Depth=1
	v_ashrrev_i32_e32 v1, 31, v0
	v_lshlrev_b64 v[2:3], 3, v[0:1]
	v_lshl_add_u64 v[4:5], s[6:7], 0, v[2:3]
	global_load_dwordx2 v[4:5], v[4:5], off
	v_lshlrev_b64 v[6:7], 2, v[0:1]
	v_lshl_add_u64 v[8:9], s[4:5], 0, v[6:7]
	global_load_dword v1, v[8:9], off
	v_add_u32_e32 v0, s13, v0
	v_cmp_le_i32_e32 vcc, s12, v0
	v_lshl_add_u64 v[2:3], s[8:9], 0, v[2:3]
	s_or_b64 s[10:11], vcc, s[10:11]
	v_lshl_add_u64 v[6:7], s[2:3], 0, v[6:7]
	s_waitcnt vmcnt(1)
	v_lshl_add_u64 v[4:5], s[0:1], 0, v[4:5]
	global_store_dwordx2 v[2:3], v[4:5], off
	s_waitcnt vmcnt(1)
	global_store_dword v[6:7], v1, off
	s_andn2_b64 exec, exec, s[10:11]
	s_cbranch_execnz .LBB54_2
.LBB54_3:
	s_endpgm
	.section	.rodata,"a",@progbits
	.p2align	6, 0x0
	.amdhsa_kernel _ZN9rocsparseL35csr2bsr_block_dim_equals_one_kernelILj256EfilEEvT2_S1_S1_S1_21rocsparse_index_base_PKT0_PKT1_PKS1_S2_PS3_PS6_PS1_
		.amdhsa_group_segment_fixed_size 0
		.amdhsa_private_segment_fixed_size 0
		.amdhsa_kernarg_size 352
		.amdhsa_user_sgpr_count 2
		.amdhsa_user_sgpr_dispatch_ptr 0
		.amdhsa_user_sgpr_queue_ptr 0
		.amdhsa_user_sgpr_kernarg_segment_ptr 1
		.amdhsa_user_sgpr_dispatch_id 0
		.amdhsa_user_sgpr_kernarg_preload_length 0
		.amdhsa_user_sgpr_kernarg_preload_offset 0
		.amdhsa_user_sgpr_private_segment_size 0
		.amdhsa_uses_dynamic_stack 0
		.amdhsa_enable_private_segment 0
		.amdhsa_system_sgpr_workgroup_id_x 1
		.amdhsa_system_sgpr_workgroup_id_y 0
		.amdhsa_system_sgpr_workgroup_id_z 0
		.amdhsa_system_sgpr_workgroup_info 0
		.amdhsa_system_vgpr_workitem_id 0
		.amdhsa_next_free_vgpr 10
		.amdhsa_next_free_sgpr 14
		.amdhsa_accum_offset 12
		.amdhsa_reserve_vcc 1
		.amdhsa_float_round_mode_32 0
		.amdhsa_float_round_mode_16_64 0
		.amdhsa_float_denorm_mode_32 3
		.amdhsa_float_denorm_mode_16_64 3
		.amdhsa_dx10_clamp 1
		.amdhsa_ieee_mode 1
		.amdhsa_fp16_overflow 0
		.amdhsa_tg_split 0
		.amdhsa_exception_fp_ieee_invalid_op 0
		.amdhsa_exception_fp_denorm_src 0
		.amdhsa_exception_fp_ieee_div_zero 0
		.amdhsa_exception_fp_ieee_overflow 0
		.amdhsa_exception_fp_ieee_underflow 0
		.amdhsa_exception_fp_ieee_inexact 0
		.amdhsa_exception_int_div_zero 0
	.end_amdhsa_kernel
	.section	.text._ZN9rocsparseL35csr2bsr_block_dim_equals_one_kernelILj256EfilEEvT2_S1_S1_S1_21rocsparse_index_base_PKT0_PKT1_PKS1_S2_PS3_PS6_PS1_,"axG",@progbits,_ZN9rocsparseL35csr2bsr_block_dim_equals_one_kernelILj256EfilEEvT2_S1_S1_S1_21rocsparse_index_base_PKT0_PKT1_PKS1_S2_PS3_PS6_PS1_,comdat
.Lfunc_end54:
	.size	_ZN9rocsparseL35csr2bsr_block_dim_equals_one_kernelILj256EfilEEvT2_S1_S1_S1_21rocsparse_index_base_PKT0_PKT1_PKS1_S2_PS3_PS6_PS1_, .Lfunc_end54-_ZN9rocsparseL35csr2bsr_block_dim_equals_one_kernelILj256EfilEEvT2_S1_S1_S1_21rocsparse_index_base_PKT0_PKT1_PKS1_S2_PS3_PS6_PS1_
                                        ; -- End function
	.section	.AMDGPU.csdata,"",@progbits
; Kernel info:
; codeLenInByte = 268
; NumSgprs: 20
; NumVgprs: 10
; NumAgprs: 0
; TotalNumVgprs: 10
; ScratchSize: 0
; MemoryBound: 0
; FloatMode: 240
; IeeeMode: 1
; LDSByteSize: 0 bytes/workgroup (compile time only)
; SGPRBlocks: 2
; VGPRBlocks: 1
; NumSGPRsForWavesPerEU: 20
; NumVGPRsForWavesPerEU: 10
; AccumOffset: 12
; Occupancy: 8
; WaveLimiterHint : 0
; COMPUTE_PGM_RSRC2:SCRATCH_EN: 0
; COMPUTE_PGM_RSRC2:USER_SGPR: 2
; COMPUTE_PGM_RSRC2:TRAP_HANDLER: 0
; COMPUTE_PGM_RSRC2:TGID_X_EN: 1
; COMPUTE_PGM_RSRC2:TGID_Y_EN: 0
; COMPUTE_PGM_RSRC2:TGID_Z_EN: 0
; COMPUTE_PGM_RSRC2:TIDIG_COMP_CNT: 0
; COMPUTE_PGM_RSRC3_GFX90A:ACCUM_OFFSET: 2
; COMPUTE_PGM_RSRC3_GFX90A:TG_SPLIT: 0
	.section	.text._ZN9rocsparseL42csr2bsr_wavefront_per_row_multipass_kernelILj256ELj16ELj4EfilEEv20rocsparse_direction_T4_S2_S2_S2_S2_21rocsparse_index_base_PKT2_PKT3_PKS2_S3_PS4_PS7_PS2_,"axG",@progbits,_ZN9rocsparseL42csr2bsr_wavefront_per_row_multipass_kernelILj256ELj16ELj4EfilEEv20rocsparse_direction_T4_S2_S2_S2_S2_21rocsparse_index_base_PKT2_PKT3_PKS2_S3_PS4_PS7_PS2_,comdat
	.globl	_ZN9rocsparseL42csr2bsr_wavefront_per_row_multipass_kernelILj256ELj16ELj4EfilEEv20rocsparse_direction_T4_S2_S2_S2_S2_21rocsparse_index_base_PKT2_PKT3_PKS2_S3_PS4_PS7_PS2_ ; -- Begin function _ZN9rocsparseL42csr2bsr_wavefront_per_row_multipass_kernelILj256ELj16ELj4EfilEEv20rocsparse_direction_T4_S2_S2_S2_S2_21rocsparse_index_base_PKT2_PKT3_PKS2_S3_PS4_PS7_PS2_
	.p2align	8
	.type	_ZN9rocsparseL42csr2bsr_wavefront_per_row_multipass_kernelILj256ELj16ELj4EfilEEv20rocsparse_direction_T4_S2_S2_S2_S2_21rocsparse_index_base_PKT2_PKT3_PKS2_S3_PS4_PS7_PS2_,@function
_ZN9rocsparseL42csr2bsr_wavefront_per_row_multipass_kernelILj256ELj16ELj4EfilEEv20rocsparse_direction_T4_S2_S2_S2_S2_21rocsparse_index_base_PKT2_PKT3_PKS2_S3_PS4_PS7_PS2_: ; @_ZN9rocsparseL42csr2bsr_wavefront_per_row_multipass_kernelILj256ELj16ELj4EfilEEv20rocsparse_direction_T4_S2_S2_S2_S2_21rocsparse_index_base_PKT2_PKT3_PKS2_S3_PS4_PS7_PS2_
; %bb.0:
	s_load_dwordx2 s[4:5], s[0:1], 0x8
	s_load_dwordx4 s[8:11], s[0:1], 0x18
	s_load_dwordx2 s[6:7], s[0:1], 0x28
	s_load_dword s26, s[0:1], 0x30
	s_load_dwordx2 s[12:13], s[0:1], 0x40
	s_ashr_i32 s3, s2, 31
	v_lshrrev_b32_e32 v22, 4, v0
	s_lshl_b64 s[14:15], s[2:3], 4
	v_bfe_u32 v2, v0, 2, 2
	v_mov_b32_e32 v3, 0
	v_or_b32_e32 v1, s14, v22
	s_waitcnt lgkmcnt(0)
	v_mul_lo_u32 v6, v1, s7
	v_mad_u64_u32 v[4:5], s[16:17], v1, s6, v[2:3]
	s_mul_i32 s3, s15, s6
	v_add3_u32 v5, s3, v5, v6
	v_cmp_gt_i64_e32 vcc, s[4:5], v[4:5]
	v_cmp_gt_i64_e64 s[4:5], s[6:7], v[2:3]
	s_and_b64 s[14:15], s[4:5], vcc
	v_mov_b32_e32 v1, v3
	s_and_saveexec_b64 s[16:17], s[14:15]
	s_cbranch_execz .LBB55_2
; %bb.1:
	v_lshl_add_u64 v[6:7], v[4:5], 2, s[12:13]
	global_load_dword v1, v[6:7], off
	s_waitcnt vmcnt(0)
	v_subrev_u32_e32 v1, s26, v1
.LBB55_2:
	s_or_b64 exec, exec, s[16:17]
	s_and_saveexec_b64 s[16:17], s[14:15]
	s_cbranch_execz .LBB55_4
; %bb.3:
	v_lshl_add_u64 v[4:5], v[4:5], 2, s[12:13]
	global_load_dword v3, v[4:5], off offset:4
	s_waitcnt vmcnt(0)
	v_subrev_u32_e32 v3, s26, v3
.LBB55_4:
	s_or_b64 exec, exec, s[16:17]
	s_load_dword s27, s[0:1], 0x50
	v_lshl_or_b32 v6, s2, 4, v22
	v_mov_b32_e32 v7, 0
	v_cmp_gt_i64_e32 vcc, s[8:9], v[6:7]
	v_mov_b32_e32 v4, v7
	s_and_saveexec_b64 s[2:3], vcc
	s_cbranch_execz .LBB55_6
; %bb.5:
	s_load_dwordx2 s[8:9], s[0:1], 0x60
	s_waitcnt lgkmcnt(0)
	v_lshl_add_u64 v[4:5], v[6:7], 2, s[8:9]
	global_load_dword v4, v[4:5], off
	s_waitcnt vmcnt(0)
	v_subrev_u32_e32 v4, s27, v4
.LBB55_6:
	s_or_b64 exec, exec, s[2:3]
	v_cmp_lt_i64_e64 s[2:3], s[10:11], 1
	s_and_b64 vcc, exec, s[2:3]
	s_cbranch_vccnz .LBB55_25
; %bb.7:
	s_load_dwordx2 s[2:3], s[0:1], 0x68
	s_load_dwordx2 s[14:15], s[0:1], 0x58
	;; [unrolled: 1-line block ×4, first 2 shown]
	s_load_dword s16, s[0:1], 0x0
	v_and_b32_e32 v6, 3, v0
	v_lshlrev_b32_e32 v8, 2, v2
	s_movk_i32 s0, 0x3f0
	v_and_or_b32 v23, v0, s0, v8
	v_mad_u64_u32 v[10:11], s[0:1], v6, s6, 0
	v_mov_b32_e32 v12, v11
	v_or_b32_e32 v0, v23, v6
	v_mad_u64_u32 v[12:13], s[0:1], v6, s7, v[12:13]
	v_lshlrev_b32_e32 v24, 2, v0
	v_mov_b32_e32 v0, 0
	v_mov_b32_e32 v11, v12
	s_waitcnt lgkmcnt(0)
	v_lshl_add_u64 v[10:11], v[10:11], 2, s[14:15]
	v_mov_b32_e32 v9, v0
	v_lshl_add_u64 v[8:9], v[10:11], 0, v[8:9]
	v_mad_u64_u32 v[10:11], s[0:1], v2, s6, 0
	v_mov_b32_e32 v12, v11
	v_mad_u64_u32 v[12:13], s[0:1], v2, s7, v[12:13]
	v_mbcnt_lo_u32_b32 v5, -1, 0
	v_mov_b32_e32 v11, v12
	v_mbcnt_hi_u32_b32 v5, -1, v5
	v_mov_b32_e32 v7, v0
	s_cmp_eq_u32 s16, 0
	s_mul_i32 s16, s6, s7
	s_mul_hi_u32 s17, s6, s6
	v_lshl_add_u64 v[10:11], v[10:11], 2, s[14:15]
	v_lshlrev_b32_e32 v12, 2, v6
	v_mov_b32_e32 v13, v0
	v_lshlrev_b32_e32 v5, 2, v5
	v_cmp_gt_u64_e32 vcc, s[6:7], v[6:7]
	v_lshl_add_u64 v[10:11], v[10:11], 0, v[12:13]
	s_cselect_b64 s[0:1], -1, 0
	s_add_i32 s14, s17, s16
	s_mov_b32 s28, 0
	v_or_b32_e32 v25, 12, v5
	s_add_i32 s29, s14, s16
	s_mul_i32 s30, s6, s6
	v_or_b32_e32 v2, 60, v5
	s_and_b64 s[4:5], s[4:5], vcc
	v_cndmask_b32_e64 v9, v9, v11, s[0:1]
	v_cndmask_b32_e64 v8, v8, v10, s[0:1]
	s_mov_b64 s[14:15], 0
	v_mov_b64_e32 v[12:13], 0
	s_ashr_i32 s16, s7, 31
	v_mov_b32_e32 v7, 1
	v_mov_b32_e32 v5, 0
	s_branch .LBB55_10
.LBB55_8:                               ;   in Loop: Header=BB55_10 Depth=1
	s_or_b64 exec, exec, s[18:19]
	v_mov_b32_e32 v13, 1
.LBB55_9:                               ;   in Loop: Header=BB55_10 Depth=1
	s_or_b64 exec, exec, s[0:1]
	v_mov_b32_dpp v14, v10 row_shr:1 row_mask:0xf bank_mask:0xf
	v_mov_b32_dpp v15, v11 row_shr:1 row_mask:0xf bank_mask:0xf
	v_cmp_lt_i64_e32 vcc, v[14:15], v[10:11]
	v_add_u32_e32 v4, v13, v4
	s_waitcnt lgkmcnt(0)
	v_cndmask_b32_e32 v11, v11, v15, vcc
	v_cndmask_b32_e32 v10, v10, v14, vcc
	s_nop 0
	v_mov_b32_dpp v15, v11 row_shr:2 row_mask:0xf bank_mask:0xf
	v_mov_b32_dpp v14, v10 row_shr:2 row_mask:0xf bank_mask:0xf
	v_cmp_lt_i64_e32 vcc, v[14:15], v[10:11]
	s_nop 1
	v_cndmask_b32_e32 v11, v11, v15, vcc
	v_cndmask_b32_e32 v10, v10, v14, vcc
	s_nop 0
	v_mov_b32_dpp v15, v11 row_shr:4 row_mask:0xf bank_mask:0xe
	v_mov_b32_dpp v14, v10 row_shr:4 row_mask:0xf bank_mask:0xe
	v_cmp_lt_i64_e32 vcc, v[14:15], v[10:11]
	s_nop 1
	v_cndmask_b32_e32 v11, v11, v15, vcc
	v_cndmask_b32_e32 v10, v10, v14, vcc
	s_nop 0
	v_mov_b32_dpp v15, v11 row_shr:8 row_mask:0xf bank_mask:0xc
	v_mov_b32_dpp v14, v10 row_shr:8 row_mask:0xf bank_mask:0xc
	v_cmp_lt_i64_e32 vcc, v[14:15], v[10:11]
	s_nop 1
	v_cndmask_b32_e32 v5, v10, v14, vcc
	ds_bpermute_b32 v12, v2, v5
	s_waitcnt lgkmcnt(0)
	v_ashrrev_i32_e32 v13, 31, v12
	v_cmp_le_i64_e32 vcc, s[10:11], v[12:13]
	s_or_b64 s[14:15], vcc, s[14:15]
	v_mov_b32_e32 v5, v12
	s_andn2_b64 exec, exec, s[14:15]
	s_cbranch_execz .LBB55_25
.LBB55_10:                              ; =>This Loop Header: Depth=1
                                        ;     Child Loop BB55_13 Depth 2
	v_add_u32_e32 v14, v1, v6
	v_cmp_lt_i32_e32 vcc, v14, v3
	v_mov_b64_e32 v[10:11], s[10:11]
	v_mov_b32_e32 v1, v3
	ds_write_b8 v22, v0 offset:1024
	ds_write_b32 v24, v0
	s_waitcnt lgkmcnt(0)
	s_and_saveexec_b64 s[18:19], vcc
	s_cbranch_execz .LBB55_22
; %bb.11:                               ;   in Loop: Header=BB55_10 Depth=1
	v_mad_u64_u32 v[16:17], s[0:1], v12, s6, 0
	s_mov_b64 s[20:21], 0
	v_mov_b64_e32 v[10:11], s[10:11]
	v_mov_b32_e32 v17, v3
	s_branch .LBB55_13
.LBB55_12:                              ;   in Loop: Header=BB55_13 Depth=2
	s_or_b64 exec, exec, s[0:1]
	v_add_u32_e32 v14, 4, v14
	v_cmp_ge_i32_e64 s[0:1], v14, v3
	s_xor_b64 s[22:23], vcc, -1
	s_or_b64 s[0:1], s[22:23], s[0:1]
	s_and_b64 s[0:1], exec, s[0:1]
	s_or_b64 s[20:21], s[0:1], s[20:21]
	v_mov_b32_e32 v17, v1
	s_andn2_b64 exec, exec, s[20:21]
	s_cbranch_execz .LBB55_21
.LBB55_13:                              ;   Parent Loop BB55_10 Depth=1
                                        ; =>  This Inner Loop Header: Depth=2
	v_ashrrev_i32_e32 v15, 31, v14
	v_lshl_add_u64 v[18:19], v[14:15], 3, s[8:9]
	global_load_dwordx2 v[18:19], v[18:19], off
	v_mov_b32_e32 v1, s28
                                        ; implicit-def: $vgpr20_vgpr21
	s_waitcnt vmcnt(0)
	v_subrev_co_u32_e32 v18, vcc, s26, v18
	s_nop 1
	v_subb_co_u32_e32 v19, vcc, v19, v1, vcc
	v_or_b32_e32 v1, s7, v19
	v_cmp_ne_u64_e32 vcc, 0, v[0:1]
	s_and_saveexec_b64 s[0:1], vcc
	s_xor_b64 s[22:23], exec, s[0:1]
	s_cbranch_execz .LBB55_15
; %bb.14:                               ;   in Loop: Header=BB55_13 Depth=2
	s_add_u32 s0, s6, s16
	s_mov_b32 s17, s16
	s_addc_u32 s1, s7, s16
	s_xor_b64 s[24:25], s[0:1], s[16:17]
	v_cvt_f32_u32_e32 v1, s24
	v_cvt_f32_u32_e32 v20, s25
	s_sub_u32 s0, 0, s24
	s_subb_u32 s1, 0, s25
	v_mov_b32_e32 v27, v0
	v_fmac_f32_e32 v1, 0x4f800000, v20
	v_rcp_f32_e32 v1, v1
	s_nop 0
	v_mul_f32_e32 v1, 0x5f7ffffc, v1
	v_mul_f32_e32 v20, 0x2f800000, v1
	v_trunc_f32_e32 v20, v20
	v_fmac_f32_e32 v1, 0xcf800000, v20
	v_cvt_u32_f32_e32 v28, v20
	v_cvt_u32_f32_e32 v1, v1
	v_mul_lo_u32 v20, s0, v28
	v_mul_hi_u32 v26, s0, v1
	v_mul_lo_u32 v21, s1, v1
	v_add_u32_e32 v20, v26, v20
	v_mul_lo_u32 v29, s0, v1
	v_add_u32_e32 v30, v20, v21
	v_mul_hi_u32 v21, v1, v30
	v_mul_lo_u32 v20, v1, v30
	v_mul_hi_u32 v26, v1, v29
	v_lshl_add_u64 v[20:21], v[26:27], 0, v[20:21]
	v_mul_hi_u32 v27, v28, v29
	v_mul_lo_u32 v29, v28, v29
	v_add_co_u32_e32 v20, vcc, v20, v29
	v_mul_hi_u32 v26, v28, v30
	s_nop 0
	v_addc_co_u32_e32 v20, vcc, v21, v27, vcc
	v_mov_b32_e32 v21, v0
	s_nop 0
	v_addc_co_u32_e32 v27, vcc, 0, v26, vcc
	v_mul_lo_u32 v26, v28, v30
	v_lshl_add_u64 v[20:21], v[20:21], 0, v[26:27]
	v_add_co_u32_e32 v1, vcc, v1, v20
	v_mul_lo_u32 v26, s0, v1
	s_nop 0
	v_addc_co_u32_e32 v28, vcc, v28, v21, vcc
	v_mul_lo_u32 v20, s0, v28
	v_mul_hi_u32 v21, s0, v1
	v_add_u32_e32 v20, v21, v20
	v_mul_lo_u32 v21, s1, v1
	v_add_u32_e32 v29, v20, v21
	v_mul_hi_u32 v31, v28, v26
	v_mul_lo_u32 v32, v28, v26
	v_mul_hi_u32 v21, v1, v29
	v_mul_lo_u32 v20, v1, v29
	v_mul_hi_u32 v26, v1, v26
	v_mov_b32_e32 v27, v0
	v_lshl_add_u64 v[20:21], v[26:27], 0, v[20:21]
	v_add_co_u32_e32 v20, vcc, v20, v32
	v_mul_hi_u32 v30, v28, v29
	s_nop 0
	v_addc_co_u32_e32 v20, vcc, v21, v31, vcc
	v_mul_lo_u32 v26, v28, v29
	s_nop 0
	v_addc_co_u32_e32 v27, vcc, 0, v30, vcc
	v_mov_b32_e32 v21, v0
	v_lshl_add_u64 v[20:21], v[20:21], 0, v[26:27]
	v_add_co_u32_e32 v1, vcc, v1, v20
	v_ashrrev_i32_e32 v20, 31, v19
	s_nop 0
	v_addc_co_u32_e32 v30, vcc, v28, v21, vcc
	v_mov_b32_e32 v21, v20
	v_lshl_add_u64 v[26:27], v[18:19], 0, v[20:21]
	v_xor_b32_e32 v21, v26, v20
	v_xor_b32_e32 v19, v27, v20
	v_mad_u64_u32 v[26:27], s[0:1], v21, v30, 0
	v_mul_hi_u32 v28, v21, v1
	v_mov_b32_e32 v29, v0
	v_lshl_add_u64 v[26:27], v[28:29], 0, v[26:27]
	v_mad_u64_u32 v[28:29], s[0:1], v19, v30, 0
	v_mad_u64_u32 v[30:31], s[0:1], v19, v1, 0
	v_add_co_u32_e32 v1, vcc, v26, v30
	s_nop 1
	v_addc_co_u32_e32 v26, vcc, v27, v31, vcc
	v_mov_b32_e32 v27, v0
	s_nop 0
	v_addc_co_u32_e32 v29, vcc, 0, v29, vcc
	v_lshl_add_u64 v[26:27], v[26:27], 0, v[28:29]
	v_mul_lo_u32 v1, s25, v26
	v_mul_lo_u32 v30, s24, v27
	v_mad_u64_u32 v[28:29], s[0:1], s24, v26, 0
	v_add3_u32 v1, v29, v30, v1
	v_sub_u32_e32 v29, v19, v1
	v_mov_b32_e32 v30, s25
	v_sub_co_u32_e32 v21, vcc, v21, v28
	s_nop 1
	v_subb_co_u32_e64 v28, s[0:1], v29, v30, vcc
	v_subrev_co_u32_e64 v29, s[0:1], s24, v21
	v_subb_co_u32_e32 v1, vcc, v19, v1, vcc
	s_nop 0
	v_subbrev_co_u32_e64 v28, s[0:1], 0, v28, s[0:1]
	v_cmp_le_u32_e64 s[0:1], s25, v28
	v_cmp_le_u32_e32 vcc, s25, v1
	s_nop 0
	v_cndmask_b32_e64 v30, 0, -1, s[0:1]
	v_cmp_le_u32_e64 s[0:1], s24, v29
	v_cndmask_b32_e64 v19, 0, -1, vcc
	v_cmp_le_u32_e32 vcc, s24, v21
	v_cndmask_b32_e64 v29, 0, -1, s[0:1]
	v_cmp_eq_u32_e64 s[0:1], s25, v28
	v_cndmask_b32_e64 v21, 0, -1, vcc
	v_cmp_eq_u32_e32 vcc, s25, v1
	v_cndmask_b32_e64 v32, v30, v29, s[0:1]
	v_lshl_add_u64 v[28:29], v[26:27], 0, 2
	v_lshl_add_u64 v[30:31], v[26:27], 0, 1
	v_cmp_ne_u32_e64 s[0:1], 0, v32
	v_cndmask_b32_e32 v1, v19, v21, vcc
	v_cmp_ne_u32_e32 vcc, 0, v1
	v_cndmask_b32_e64 v19, v30, v28, s[0:1]
	v_cndmask_b32_e64 v29, v31, v29, s[0:1]
	v_cndmask_b32_e32 v19, v26, v19, vcc
	v_xor_b32_e32 v21, s16, v20
	v_cndmask_b32_e32 v1, v27, v29, vcc
	v_xor_b32_e32 v19, v19, v21
	v_xor_b32_e32 v1, v1, v21
	v_sub_co_u32_e32 v20, vcc, v19, v21
	s_nop 1
	v_subb_co_u32_e32 v21, vcc, v1, v21, vcc
.LBB55_15:                              ;   in Loop: Header=BB55_13 Depth=2
	s_andn2_saveexec_b64 s[0:1], s[22:23]
	s_cbranch_execz .LBB55_17
; %bb.16:                               ;   in Loop: Header=BB55_13 Depth=2
	v_cvt_f32_u32_e32 v1, s6
	s_sub_i32 s17, 0, s6
	v_rcp_iflag_f32_e32 v1, v1
	s_nop 0
	v_mul_f32_e32 v1, 0x4f7ffffe, v1
	v_cvt_u32_f32_e32 v1, v1
	v_mul_lo_u32 v19, s17, v1
	v_mul_hi_u32 v19, v1, v19
	v_add_u32_e32 v1, v1, v19
	v_mul_hi_u32 v1, v18, v1
	v_mul_lo_u32 v19, v1, s6
	v_sub_u32_e32 v19, v18, v19
	v_add_u32_e32 v20, 1, v1
	v_subrev_u32_e32 v21, s6, v19
	v_cmp_le_u32_e32 vcc, s6, v19
	s_nop 1
	v_cndmask_b32_e32 v19, v19, v21, vcc
	v_cndmask_b32_e32 v1, v1, v20, vcc
	v_add_u32_e32 v20, 1, v1
	v_cmp_le_u32_e32 vcc, s6, v19
	v_mov_b32_e32 v21, v0
	s_nop 0
	v_cndmask_b32_e32 v20, v1, v20, vcc
.LBB55_17:                              ;   in Loop: Header=BB55_13 Depth=2
	s_or_b64 exec, exec, s[0:1]
	v_cmp_eq_u64_e32 vcc, v[20:21], v[12:13]
	v_cmp_ne_u64_e64 s[0:1], v[20:21], v[12:13]
	s_and_saveexec_b64 s[22:23], s[0:1]
	s_xor_b64 s[22:23], exec, s[22:23]
; %bb.18:                               ;   in Loop: Header=BB55_13 Depth=2
	v_cmp_lt_i64_e64 s[0:1], v[20:21], v[10:11]
                                        ; implicit-def: $vgpr18_vgpr19
                                        ; implicit-def: $vgpr17
	s_nop 1
	v_cndmask_b32_e64 v11, v11, v21, s[0:1]
	v_cndmask_b32_e64 v10, v10, v20, s[0:1]
; %bb.19:                               ;   in Loop: Header=BB55_13 Depth=2
	s_or_saveexec_b64 s[0:1], s[22:23]
	v_mov_b32_e32 v1, v14
	s_xor_b64 exec, exec, s[0:1]
	s_cbranch_execz .LBB55_12
; %bb.20:                               ;   in Loop: Header=BB55_13 Depth=2
	v_lshl_add_u64 v[20:21], v[14:15], 2, s[12:13]
	global_load_dword v1, v[20:21], off
	v_sub_u32_e32 v15, v18, v16
	v_add_lshl_u32 v15, v23, v15, 2
	ds_write_b8 v22, v7 offset:1024
	s_waitcnt vmcnt(0)
	ds_write_b32 v15, v1
	v_mov_b32_e32 v1, v17
	s_branch .LBB55_12
.LBB55_21:                              ;   in Loop: Header=BB55_10 Depth=1
	s_or_b64 exec, exec, s[20:21]
.LBB55_22:                              ;   in Loop: Header=BB55_10 Depth=1
	s_or_b64 exec, exec, s[18:19]
	v_mov_b32_dpp v12, v1 row_shr:1 row_mask:0xf bank_mask:0xf
	v_min_i32_e32 v1, v12, v1
	s_waitcnt lgkmcnt(0)
	ds_read_u8 v12, v22 offset:1024
	v_mov_b32_dpp v13, v1 row_shr:2 row_mask:0xf bank_mask:0xf
	v_min_i32_e32 v1, v13, v1
	ds_bpermute_b32 v1, v25, v1
	v_mov_b32_e32 v13, 0
	s_waitcnt lgkmcnt(1)
	v_and_b32_e32 v12, 1, v12
	v_cmp_eq_u32_e32 vcc, 1, v12
	s_and_saveexec_b64 s[0:1], vcc
	s_cbranch_execz .LBB55_9
; %bb.23:                               ;   in Loop: Header=BB55_10 Depth=1
	v_add_u32_e32 v12, s27, v5
	v_ashrrev_i32_e32 v5, 31, v4
	v_ashrrev_i32_e32 v13, 31, v12
	v_lshl_add_u64 v[14:15], v[4:5], 3, s[2:3]
	global_store_dwordx2 v[14:15], v[12:13], off
	s_and_saveexec_b64 s[18:19], s[4:5]
	s_cbranch_execz .LBB55_8
; %bb.24:                               ;   in Loop: Header=BB55_10 Depth=1
	ds_read_b32 v14, v24
	v_mul_lo_u32 v15, s29, v4
	v_mul_lo_u32 v5, s30, v5
	v_mad_u64_u32 v[12:13], s[20:21], s30, v4, 0
	v_add3_u32 v13, v13, v5, v15
	v_lshl_add_u64 v[12:13], v[12:13], 2, v[8:9]
	s_waitcnt lgkmcnt(0)
	global_store_dword v[12:13], v14, off
	s_branch .LBB55_8
.LBB55_25:
	s_endpgm
	.section	.rodata,"a",@progbits
	.p2align	6, 0x0
	.amdhsa_kernel _ZN9rocsparseL42csr2bsr_wavefront_per_row_multipass_kernelILj256ELj16ELj4EfilEEv20rocsparse_direction_T4_S2_S2_S2_S2_21rocsparse_index_base_PKT2_PKT3_PKS2_S3_PS4_PS7_PS2_
		.amdhsa_group_segment_fixed_size 1040
		.amdhsa_private_segment_fixed_size 0
		.amdhsa_kernarg_size 112
		.amdhsa_user_sgpr_count 2
		.amdhsa_user_sgpr_dispatch_ptr 0
		.amdhsa_user_sgpr_queue_ptr 0
		.amdhsa_user_sgpr_kernarg_segment_ptr 1
		.amdhsa_user_sgpr_dispatch_id 0
		.amdhsa_user_sgpr_kernarg_preload_length 0
		.amdhsa_user_sgpr_kernarg_preload_offset 0
		.amdhsa_user_sgpr_private_segment_size 0
		.amdhsa_uses_dynamic_stack 0
		.amdhsa_enable_private_segment 0
		.amdhsa_system_sgpr_workgroup_id_x 1
		.amdhsa_system_sgpr_workgroup_id_y 0
		.amdhsa_system_sgpr_workgroup_id_z 0
		.amdhsa_system_sgpr_workgroup_info 0
		.amdhsa_system_vgpr_workitem_id 0
		.amdhsa_next_free_vgpr 33
		.amdhsa_next_free_sgpr 31
		.amdhsa_accum_offset 36
		.amdhsa_reserve_vcc 1
		.amdhsa_float_round_mode_32 0
		.amdhsa_float_round_mode_16_64 0
		.amdhsa_float_denorm_mode_32 3
		.amdhsa_float_denorm_mode_16_64 3
		.amdhsa_dx10_clamp 1
		.amdhsa_ieee_mode 1
		.amdhsa_fp16_overflow 0
		.amdhsa_tg_split 0
		.amdhsa_exception_fp_ieee_invalid_op 0
		.amdhsa_exception_fp_denorm_src 0
		.amdhsa_exception_fp_ieee_div_zero 0
		.amdhsa_exception_fp_ieee_overflow 0
		.amdhsa_exception_fp_ieee_underflow 0
		.amdhsa_exception_fp_ieee_inexact 0
		.amdhsa_exception_int_div_zero 0
	.end_amdhsa_kernel
	.section	.text._ZN9rocsparseL42csr2bsr_wavefront_per_row_multipass_kernelILj256ELj16ELj4EfilEEv20rocsparse_direction_T4_S2_S2_S2_S2_21rocsparse_index_base_PKT2_PKT3_PKS2_S3_PS4_PS7_PS2_,"axG",@progbits,_ZN9rocsparseL42csr2bsr_wavefront_per_row_multipass_kernelILj256ELj16ELj4EfilEEv20rocsparse_direction_T4_S2_S2_S2_S2_21rocsparse_index_base_PKT2_PKT3_PKS2_S3_PS4_PS7_PS2_,comdat
.Lfunc_end55:
	.size	_ZN9rocsparseL42csr2bsr_wavefront_per_row_multipass_kernelILj256ELj16ELj4EfilEEv20rocsparse_direction_T4_S2_S2_S2_S2_21rocsparse_index_base_PKT2_PKT3_PKS2_S3_PS4_PS7_PS2_, .Lfunc_end55-_ZN9rocsparseL42csr2bsr_wavefront_per_row_multipass_kernelILj256ELj16ELj4EfilEEv20rocsparse_direction_T4_S2_S2_S2_S2_21rocsparse_index_base_PKT2_PKT3_PKS2_S3_PS4_PS7_PS2_
                                        ; -- End function
	.section	.AMDGPU.csdata,"",@progbits
; Kernel info:
; codeLenInByte = 2076
; NumSgprs: 37
; NumVgprs: 33
; NumAgprs: 0
; TotalNumVgprs: 33
; ScratchSize: 0
; MemoryBound: 0
; FloatMode: 240
; IeeeMode: 1
; LDSByteSize: 1040 bytes/workgroup (compile time only)
; SGPRBlocks: 4
; VGPRBlocks: 4
; NumSGPRsForWavesPerEU: 37
; NumVGPRsForWavesPerEU: 33
; AccumOffset: 36
; Occupancy: 8
; WaveLimiterHint : 0
; COMPUTE_PGM_RSRC2:SCRATCH_EN: 0
; COMPUTE_PGM_RSRC2:USER_SGPR: 2
; COMPUTE_PGM_RSRC2:TRAP_HANDLER: 0
; COMPUTE_PGM_RSRC2:TGID_X_EN: 1
; COMPUTE_PGM_RSRC2:TGID_Y_EN: 0
; COMPUTE_PGM_RSRC2:TGID_Z_EN: 0
; COMPUTE_PGM_RSRC2:TIDIG_COMP_CNT: 0
; COMPUTE_PGM_RSRC3_GFX90A:ACCUM_OFFSET: 8
; COMPUTE_PGM_RSRC3_GFX90A:TG_SPLIT: 0
	.section	.text._ZN9rocsparseL42csr2bsr_wavefront_per_row_multipass_kernelILj256ELj64ELj8EfilEEv20rocsparse_direction_T4_S2_S2_S2_S2_21rocsparse_index_base_PKT2_PKT3_PKS2_S3_PS4_PS7_PS2_,"axG",@progbits,_ZN9rocsparseL42csr2bsr_wavefront_per_row_multipass_kernelILj256ELj64ELj8EfilEEv20rocsparse_direction_T4_S2_S2_S2_S2_21rocsparse_index_base_PKT2_PKT3_PKS2_S3_PS4_PS7_PS2_,comdat
	.globl	_ZN9rocsparseL42csr2bsr_wavefront_per_row_multipass_kernelILj256ELj64ELj8EfilEEv20rocsparse_direction_T4_S2_S2_S2_S2_21rocsparse_index_base_PKT2_PKT3_PKS2_S3_PS4_PS7_PS2_ ; -- Begin function _ZN9rocsparseL42csr2bsr_wavefront_per_row_multipass_kernelILj256ELj64ELj8EfilEEv20rocsparse_direction_T4_S2_S2_S2_S2_21rocsparse_index_base_PKT2_PKT3_PKS2_S3_PS4_PS7_PS2_
	.p2align	8
	.type	_ZN9rocsparseL42csr2bsr_wavefront_per_row_multipass_kernelILj256ELj64ELj8EfilEEv20rocsparse_direction_T4_S2_S2_S2_S2_21rocsparse_index_base_PKT2_PKT3_PKS2_S3_PS4_PS7_PS2_,@function
_ZN9rocsparseL42csr2bsr_wavefront_per_row_multipass_kernelILj256ELj64ELj8EfilEEv20rocsparse_direction_T4_S2_S2_S2_S2_21rocsparse_index_base_PKT2_PKT3_PKS2_S3_PS4_PS7_PS2_: ; @_ZN9rocsparseL42csr2bsr_wavefront_per_row_multipass_kernelILj256ELj64ELj8EfilEEv20rocsparse_direction_T4_S2_S2_S2_S2_21rocsparse_index_base_PKT2_PKT3_PKS2_S3_PS4_PS7_PS2_
; %bb.0:
	s_load_dwordx2 s[4:5], s[0:1], 0x8
	s_load_dwordx4 s[8:11], s[0:1], 0x18
	s_load_dwordx2 s[6:7], s[0:1], 0x28
	s_load_dword s26, s[0:1], 0x30
	s_load_dwordx2 s[12:13], s[0:1], 0x40
	s_ashr_i32 s3, s2, 31
	v_lshrrev_b32_e32 v22, 6, v0
	s_lshl_b64 s[14:15], s[2:3], 2
	v_bfe_u32 v2, v0, 3, 3
	v_mov_b32_e32 v3, 0
	v_or_b32_e32 v1, s14, v22
	s_waitcnt lgkmcnt(0)
	v_mul_lo_u32 v6, v1, s7
	v_mad_u64_u32 v[4:5], s[16:17], v1, s6, v[2:3]
	s_mul_i32 s3, s15, s6
	v_add3_u32 v5, s3, v5, v6
	v_cmp_gt_i64_e32 vcc, s[4:5], v[4:5]
	v_cmp_gt_i64_e64 s[4:5], s[6:7], v[2:3]
	s_and_b64 s[14:15], s[4:5], vcc
	v_mov_b32_e32 v1, v3
	s_and_saveexec_b64 s[16:17], s[14:15]
	s_cbranch_execz .LBB56_2
; %bb.1:
	v_lshl_add_u64 v[6:7], v[4:5], 2, s[12:13]
	global_load_dword v1, v[6:7], off
	s_waitcnt vmcnt(0)
	v_subrev_u32_e32 v1, s26, v1
.LBB56_2:
	s_or_b64 exec, exec, s[16:17]
	s_and_saveexec_b64 s[16:17], s[14:15]
	s_cbranch_execz .LBB56_4
; %bb.3:
	v_lshl_add_u64 v[4:5], v[4:5], 2, s[12:13]
	global_load_dword v3, v[4:5], off offset:4
	s_waitcnt vmcnt(0)
	v_subrev_u32_e32 v3, s26, v3
.LBB56_4:
	s_or_b64 exec, exec, s[16:17]
	s_load_dword s27, s[0:1], 0x50
	v_lshl_or_b32 v6, s2, 2, v22
	v_mov_b32_e32 v7, 0
	v_cmp_gt_i64_e32 vcc, s[8:9], v[6:7]
	v_mov_b32_e32 v4, v7
	s_and_saveexec_b64 s[2:3], vcc
	s_cbranch_execz .LBB56_6
; %bb.5:
	s_load_dwordx2 s[8:9], s[0:1], 0x60
	s_waitcnt lgkmcnt(0)
	v_lshl_add_u64 v[4:5], v[6:7], 2, s[8:9]
	global_load_dword v4, v[4:5], off
	s_waitcnt vmcnt(0)
	v_subrev_u32_e32 v4, s27, v4
.LBB56_6:
	s_or_b64 exec, exec, s[2:3]
	v_cmp_lt_i64_e64 s[2:3], s[10:11], 1
	s_and_b64 vcc, exec, s[2:3]
	s_cbranch_vccnz .LBB56_25
; %bb.7:
	v_and_b32_e32 v6, 7, v0
	s_load_dwordx2 s[2:3], s[0:1], 0x68
	s_load_dwordx2 s[14:15], s[0:1], 0x58
	s_load_dwordx2 s[8:9], s[0:1], 0x48
	s_load_dwordx2 s[12:13], s[0:1], 0x38
	s_load_dword s16, s[0:1], 0x0
	v_and_b32_e32 v0, 0x3c0, v0
	v_mad_u64_u32 v[8:9], s[0:1], v6, s6, 0
	v_lshl_or_b32 v23, v2, 3, v0
	v_mov_b32_e32 v10, v9
	v_or_b32_e32 v0, v23, v6
	v_mad_u64_u32 v[10:11], s[0:1], v6, s7, v[10:11]
	v_lshlrev_b32_e32 v24, 2, v0
	v_mov_b32_e32 v0, 0
	v_mov_b32_e32 v9, v10
	s_waitcnt lgkmcnt(0)
	v_lshl_add_u64 v[8:9], v[8:9], 2, s[14:15]
	v_lshlrev_b32_e32 v10, 2, v2
	v_mov_b32_e32 v11, v0
	v_lshl_add_u64 v[8:9], v[8:9], 0, v[10:11]
	v_mad_u64_u32 v[10:11], s[0:1], v2, s6, 0
	v_mov_b32_e32 v12, v11
	v_mad_u64_u32 v[12:13], s[0:1], v2, s7, v[12:13]
	v_mbcnt_lo_u32_b32 v5, -1, 0
	v_mov_b32_e32 v11, v12
	v_mbcnt_hi_u32_b32 v5, -1, v5
	v_mov_b32_e32 v7, v0
	s_cmp_eq_u32 s16, 0
	s_mul_i32 s16, s6, s7
	s_mul_hi_u32 s17, s6, s6
	v_lshl_add_u64 v[10:11], v[10:11], 2, s[14:15]
	v_lshlrev_b32_e32 v12, 2, v6
	v_mov_b32_e32 v13, v0
	v_lshlrev_b32_e32 v5, 2, v5
	v_cmp_gt_u64_e32 vcc, s[6:7], v[6:7]
	v_lshl_add_u64 v[10:11], v[10:11], 0, v[12:13]
	s_cselect_b64 s[0:1], -1, 0
	s_add_i32 s14, s17, s16
	s_mov_b32 s28, 0
	v_or_b32_e32 v25, 28, v5
	s_add_i32 s29, s14, s16
	s_mul_i32 s30, s6, s6
	v_or_b32_e32 v2, 0xfc, v5
	s_and_b64 s[4:5], s[4:5], vcc
	v_cndmask_b32_e64 v9, v9, v11, s[0:1]
	v_cndmask_b32_e64 v8, v8, v10, s[0:1]
	s_mov_b64 s[14:15], 0
	v_mov_b64_e32 v[12:13], 0
	s_ashr_i32 s16, s7, 31
	v_mov_b32_e32 v7, 1
	v_mov_b32_e32 v5, 0
	s_branch .LBB56_10
.LBB56_8:                               ;   in Loop: Header=BB56_10 Depth=1
	s_or_b64 exec, exec, s[18:19]
	v_mov_b32_e32 v13, 1
.LBB56_9:                               ;   in Loop: Header=BB56_10 Depth=1
	s_or_b64 exec, exec, s[0:1]
	v_mov_b32_dpp v14, v10 row_shr:1 row_mask:0xf bank_mask:0xf
	v_mov_b32_dpp v15, v11 row_shr:1 row_mask:0xf bank_mask:0xf
	v_cmp_lt_i64_e32 vcc, v[14:15], v[10:11]
	v_add_u32_e32 v4, v13, v4
	s_waitcnt lgkmcnt(0)
	v_cndmask_b32_e32 v11, v11, v15, vcc
	v_cndmask_b32_e32 v10, v10, v14, vcc
	s_nop 0
	v_mov_b32_dpp v15, v11 row_shr:2 row_mask:0xf bank_mask:0xf
	v_mov_b32_dpp v14, v10 row_shr:2 row_mask:0xf bank_mask:0xf
	v_cmp_lt_i64_e32 vcc, v[14:15], v[10:11]
	s_nop 1
	v_cndmask_b32_e32 v11, v11, v15, vcc
	v_cndmask_b32_e32 v10, v10, v14, vcc
	s_nop 0
	v_mov_b32_dpp v15, v11 row_shr:4 row_mask:0xf bank_mask:0xe
	v_mov_b32_dpp v14, v10 row_shr:4 row_mask:0xf bank_mask:0xe
	v_cmp_lt_i64_e32 vcc, v[14:15], v[10:11]
	s_nop 1
	;; [unrolled: 7-line block ×3, first 2 shown]
	v_cndmask_b32_e32 v11, v11, v15, vcc
	v_cndmask_b32_e32 v10, v10, v14, vcc
	s_nop 0
	v_mov_b32_dpp v15, v11 row_bcast:15 row_mask:0xa bank_mask:0xf
	v_mov_b32_dpp v14, v10 row_bcast:15 row_mask:0xa bank_mask:0xf
	v_cmp_lt_i64_e32 vcc, v[14:15], v[10:11]
	s_nop 1
	v_cndmask_b32_e32 v11, v11, v15, vcc
	v_cndmask_b32_e32 v10, v10, v14, vcc
	s_nop 0
	v_mov_b32_dpp v15, v11 row_bcast:31 row_mask:0xc bank_mask:0xf
	v_mov_b32_dpp v14, v10 row_bcast:31 row_mask:0xc bank_mask:0xf
	v_cmp_lt_i64_e32 vcc, v[14:15], v[10:11]
	s_nop 1
	v_cndmask_b32_e32 v5, v10, v14, vcc
	ds_bpermute_b32 v12, v2, v5
	s_waitcnt lgkmcnt(0)
	v_ashrrev_i32_e32 v13, 31, v12
	v_cmp_le_i64_e32 vcc, s[10:11], v[12:13]
	s_or_b64 s[14:15], vcc, s[14:15]
	v_mov_b32_e32 v5, v12
	s_andn2_b64 exec, exec, s[14:15]
	s_cbranch_execz .LBB56_25
.LBB56_10:                              ; =>This Loop Header: Depth=1
                                        ;     Child Loop BB56_13 Depth 2
	v_add_u32_e32 v14, v1, v6
	v_cmp_lt_i32_e32 vcc, v14, v3
	v_mov_b64_e32 v[10:11], s[10:11]
	v_mov_b32_e32 v1, v3
	ds_write_b8 v22, v0 offset:1024
	ds_write_b32 v24, v0
	s_waitcnt lgkmcnt(0)
	s_and_saveexec_b64 s[18:19], vcc
	s_cbranch_execz .LBB56_22
; %bb.11:                               ;   in Loop: Header=BB56_10 Depth=1
	v_mad_u64_u32 v[16:17], s[0:1], v12, s6, 0
	s_mov_b64 s[20:21], 0
	v_mov_b64_e32 v[10:11], s[10:11]
	v_mov_b32_e32 v17, v3
	s_branch .LBB56_13
.LBB56_12:                              ;   in Loop: Header=BB56_13 Depth=2
	s_or_b64 exec, exec, s[0:1]
	v_add_u32_e32 v14, 8, v14
	v_cmp_ge_i32_e64 s[0:1], v14, v3
	s_xor_b64 s[22:23], vcc, -1
	s_or_b64 s[0:1], s[22:23], s[0:1]
	s_and_b64 s[0:1], exec, s[0:1]
	s_or_b64 s[20:21], s[0:1], s[20:21]
	v_mov_b32_e32 v17, v1
	s_andn2_b64 exec, exec, s[20:21]
	s_cbranch_execz .LBB56_21
.LBB56_13:                              ;   Parent Loop BB56_10 Depth=1
                                        ; =>  This Inner Loop Header: Depth=2
	v_ashrrev_i32_e32 v15, 31, v14
	v_lshl_add_u64 v[18:19], v[14:15], 3, s[8:9]
	global_load_dwordx2 v[18:19], v[18:19], off
	v_mov_b32_e32 v1, s28
                                        ; implicit-def: $vgpr20_vgpr21
	s_waitcnt vmcnt(0)
	v_subrev_co_u32_e32 v18, vcc, s26, v18
	s_nop 1
	v_subb_co_u32_e32 v19, vcc, v19, v1, vcc
	v_or_b32_e32 v1, s7, v19
	v_cmp_ne_u64_e32 vcc, 0, v[0:1]
	s_and_saveexec_b64 s[0:1], vcc
	s_xor_b64 s[22:23], exec, s[0:1]
	s_cbranch_execz .LBB56_15
; %bb.14:                               ;   in Loop: Header=BB56_13 Depth=2
	s_add_u32 s0, s6, s16
	s_mov_b32 s17, s16
	s_addc_u32 s1, s7, s16
	s_xor_b64 s[24:25], s[0:1], s[16:17]
	v_cvt_f32_u32_e32 v1, s24
	v_cvt_f32_u32_e32 v20, s25
	s_sub_u32 s0, 0, s24
	s_subb_u32 s1, 0, s25
	v_mov_b32_e32 v27, v0
	v_fmac_f32_e32 v1, 0x4f800000, v20
	v_rcp_f32_e32 v1, v1
	s_nop 0
	v_mul_f32_e32 v1, 0x5f7ffffc, v1
	v_mul_f32_e32 v20, 0x2f800000, v1
	v_trunc_f32_e32 v20, v20
	v_fmac_f32_e32 v1, 0xcf800000, v20
	v_cvt_u32_f32_e32 v28, v20
	v_cvt_u32_f32_e32 v1, v1
	v_mul_lo_u32 v20, s0, v28
	v_mul_hi_u32 v26, s0, v1
	v_mul_lo_u32 v21, s1, v1
	v_add_u32_e32 v20, v26, v20
	v_mul_lo_u32 v29, s0, v1
	v_add_u32_e32 v30, v20, v21
	v_mul_hi_u32 v21, v1, v30
	v_mul_lo_u32 v20, v1, v30
	v_mul_hi_u32 v26, v1, v29
	v_lshl_add_u64 v[20:21], v[26:27], 0, v[20:21]
	v_mul_hi_u32 v27, v28, v29
	v_mul_lo_u32 v29, v28, v29
	v_add_co_u32_e32 v20, vcc, v20, v29
	v_mul_hi_u32 v26, v28, v30
	s_nop 0
	v_addc_co_u32_e32 v20, vcc, v21, v27, vcc
	v_mov_b32_e32 v21, v0
	s_nop 0
	v_addc_co_u32_e32 v27, vcc, 0, v26, vcc
	v_mul_lo_u32 v26, v28, v30
	v_lshl_add_u64 v[20:21], v[20:21], 0, v[26:27]
	v_add_co_u32_e32 v1, vcc, v1, v20
	v_mul_lo_u32 v26, s0, v1
	s_nop 0
	v_addc_co_u32_e32 v28, vcc, v28, v21, vcc
	v_mul_lo_u32 v20, s0, v28
	v_mul_hi_u32 v21, s0, v1
	v_add_u32_e32 v20, v21, v20
	v_mul_lo_u32 v21, s1, v1
	v_add_u32_e32 v29, v20, v21
	v_mul_hi_u32 v31, v28, v26
	v_mul_lo_u32 v32, v28, v26
	v_mul_hi_u32 v21, v1, v29
	v_mul_lo_u32 v20, v1, v29
	v_mul_hi_u32 v26, v1, v26
	v_mov_b32_e32 v27, v0
	v_lshl_add_u64 v[20:21], v[26:27], 0, v[20:21]
	v_add_co_u32_e32 v20, vcc, v20, v32
	v_mul_hi_u32 v30, v28, v29
	s_nop 0
	v_addc_co_u32_e32 v20, vcc, v21, v31, vcc
	v_mul_lo_u32 v26, v28, v29
	s_nop 0
	v_addc_co_u32_e32 v27, vcc, 0, v30, vcc
	v_mov_b32_e32 v21, v0
	v_lshl_add_u64 v[20:21], v[20:21], 0, v[26:27]
	v_add_co_u32_e32 v1, vcc, v1, v20
	v_ashrrev_i32_e32 v20, 31, v19
	s_nop 0
	v_addc_co_u32_e32 v30, vcc, v28, v21, vcc
	v_mov_b32_e32 v21, v20
	v_lshl_add_u64 v[26:27], v[18:19], 0, v[20:21]
	v_xor_b32_e32 v21, v26, v20
	v_xor_b32_e32 v19, v27, v20
	v_mad_u64_u32 v[26:27], s[0:1], v21, v30, 0
	v_mul_hi_u32 v28, v21, v1
	v_mov_b32_e32 v29, v0
	v_lshl_add_u64 v[26:27], v[28:29], 0, v[26:27]
	v_mad_u64_u32 v[28:29], s[0:1], v19, v30, 0
	v_mad_u64_u32 v[30:31], s[0:1], v19, v1, 0
	v_add_co_u32_e32 v1, vcc, v26, v30
	s_nop 1
	v_addc_co_u32_e32 v26, vcc, v27, v31, vcc
	v_mov_b32_e32 v27, v0
	s_nop 0
	v_addc_co_u32_e32 v29, vcc, 0, v29, vcc
	v_lshl_add_u64 v[26:27], v[26:27], 0, v[28:29]
	v_mul_lo_u32 v1, s25, v26
	v_mul_lo_u32 v30, s24, v27
	v_mad_u64_u32 v[28:29], s[0:1], s24, v26, 0
	v_add3_u32 v1, v29, v30, v1
	v_sub_u32_e32 v29, v19, v1
	v_mov_b32_e32 v30, s25
	v_sub_co_u32_e32 v21, vcc, v21, v28
	s_nop 1
	v_subb_co_u32_e64 v28, s[0:1], v29, v30, vcc
	v_subrev_co_u32_e64 v29, s[0:1], s24, v21
	v_subb_co_u32_e32 v1, vcc, v19, v1, vcc
	s_nop 0
	v_subbrev_co_u32_e64 v28, s[0:1], 0, v28, s[0:1]
	v_cmp_le_u32_e64 s[0:1], s25, v28
	v_cmp_le_u32_e32 vcc, s25, v1
	s_nop 0
	v_cndmask_b32_e64 v30, 0, -1, s[0:1]
	v_cmp_le_u32_e64 s[0:1], s24, v29
	v_cndmask_b32_e64 v19, 0, -1, vcc
	v_cmp_le_u32_e32 vcc, s24, v21
	v_cndmask_b32_e64 v29, 0, -1, s[0:1]
	v_cmp_eq_u32_e64 s[0:1], s25, v28
	v_cndmask_b32_e64 v21, 0, -1, vcc
	v_cmp_eq_u32_e32 vcc, s25, v1
	v_cndmask_b32_e64 v32, v30, v29, s[0:1]
	v_lshl_add_u64 v[28:29], v[26:27], 0, 2
	v_lshl_add_u64 v[30:31], v[26:27], 0, 1
	v_cmp_ne_u32_e64 s[0:1], 0, v32
	v_cndmask_b32_e32 v1, v19, v21, vcc
	v_cmp_ne_u32_e32 vcc, 0, v1
	v_cndmask_b32_e64 v19, v30, v28, s[0:1]
	v_cndmask_b32_e64 v29, v31, v29, s[0:1]
	v_cndmask_b32_e32 v19, v26, v19, vcc
	v_xor_b32_e32 v21, s16, v20
	v_cndmask_b32_e32 v1, v27, v29, vcc
	v_xor_b32_e32 v19, v19, v21
	v_xor_b32_e32 v1, v1, v21
	v_sub_co_u32_e32 v20, vcc, v19, v21
	s_nop 1
	v_subb_co_u32_e32 v21, vcc, v1, v21, vcc
.LBB56_15:                              ;   in Loop: Header=BB56_13 Depth=2
	s_andn2_saveexec_b64 s[0:1], s[22:23]
	s_cbranch_execz .LBB56_17
; %bb.16:                               ;   in Loop: Header=BB56_13 Depth=2
	v_cvt_f32_u32_e32 v1, s6
	s_sub_i32 s17, 0, s6
	v_rcp_iflag_f32_e32 v1, v1
	s_nop 0
	v_mul_f32_e32 v1, 0x4f7ffffe, v1
	v_cvt_u32_f32_e32 v1, v1
	v_mul_lo_u32 v19, s17, v1
	v_mul_hi_u32 v19, v1, v19
	v_add_u32_e32 v1, v1, v19
	v_mul_hi_u32 v1, v18, v1
	v_mul_lo_u32 v19, v1, s6
	v_sub_u32_e32 v19, v18, v19
	v_add_u32_e32 v20, 1, v1
	v_subrev_u32_e32 v21, s6, v19
	v_cmp_le_u32_e32 vcc, s6, v19
	s_nop 1
	v_cndmask_b32_e32 v19, v19, v21, vcc
	v_cndmask_b32_e32 v1, v1, v20, vcc
	v_add_u32_e32 v20, 1, v1
	v_cmp_le_u32_e32 vcc, s6, v19
	v_mov_b32_e32 v21, v0
	s_nop 0
	v_cndmask_b32_e32 v20, v1, v20, vcc
.LBB56_17:                              ;   in Loop: Header=BB56_13 Depth=2
	s_or_b64 exec, exec, s[0:1]
	v_cmp_eq_u64_e32 vcc, v[20:21], v[12:13]
	v_cmp_ne_u64_e64 s[0:1], v[20:21], v[12:13]
	s_and_saveexec_b64 s[22:23], s[0:1]
	s_xor_b64 s[22:23], exec, s[22:23]
; %bb.18:                               ;   in Loop: Header=BB56_13 Depth=2
	v_cmp_lt_i64_e64 s[0:1], v[20:21], v[10:11]
                                        ; implicit-def: $vgpr18_vgpr19
                                        ; implicit-def: $vgpr17
	s_nop 1
	v_cndmask_b32_e64 v11, v11, v21, s[0:1]
	v_cndmask_b32_e64 v10, v10, v20, s[0:1]
; %bb.19:                               ;   in Loop: Header=BB56_13 Depth=2
	s_or_saveexec_b64 s[0:1], s[22:23]
	v_mov_b32_e32 v1, v14
	s_xor_b64 exec, exec, s[0:1]
	s_cbranch_execz .LBB56_12
; %bb.20:                               ;   in Loop: Header=BB56_13 Depth=2
	v_lshl_add_u64 v[20:21], v[14:15], 2, s[12:13]
	global_load_dword v1, v[20:21], off
	v_sub_u32_e32 v15, v18, v16
	v_add_lshl_u32 v15, v23, v15, 2
	ds_write_b8 v22, v7 offset:1024
	s_waitcnt vmcnt(0)
	ds_write_b32 v15, v1
	v_mov_b32_e32 v1, v17
	s_branch .LBB56_12
.LBB56_21:                              ;   in Loop: Header=BB56_10 Depth=1
	s_or_b64 exec, exec, s[20:21]
.LBB56_22:                              ;   in Loop: Header=BB56_10 Depth=1
	s_or_b64 exec, exec, s[18:19]
	v_mov_b32_dpp v12, v1 row_shr:1 row_mask:0xf bank_mask:0xf
	v_min_i32_e32 v1, v12, v1
	s_waitcnt lgkmcnt(0)
	s_nop 0
	v_mov_b32_dpp v12, v1 row_shr:2 row_mask:0xf bank_mask:0xf
	v_min_i32_e32 v1, v12, v1
	ds_read_u8 v12, v22 offset:1024
	s_waitcnt lgkmcnt(0)
	v_and_b32_e32 v12, 1, v12
	v_mov_b32_dpp v13, v1 row_shr:4 row_mask:0xf bank_mask:0xe
	v_min_i32_e32 v1, v13, v1
	ds_bpermute_b32 v1, v25, v1
	v_cmp_eq_u32_e32 vcc, 1, v12
	v_mov_b32_e32 v13, 0
	s_and_saveexec_b64 s[0:1], vcc
	s_cbranch_execz .LBB56_9
; %bb.23:                               ;   in Loop: Header=BB56_10 Depth=1
	v_add_u32_e32 v12, s27, v5
	v_ashrrev_i32_e32 v5, 31, v4
	v_ashrrev_i32_e32 v13, 31, v12
	v_lshl_add_u64 v[14:15], v[4:5], 3, s[2:3]
	global_store_dwordx2 v[14:15], v[12:13], off
	s_and_saveexec_b64 s[18:19], s[4:5]
	s_cbranch_execz .LBB56_8
; %bb.24:                               ;   in Loop: Header=BB56_10 Depth=1
	ds_read_b32 v14, v24
	v_mul_lo_u32 v15, s29, v4
	v_mul_lo_u32 v5, s30, v5
	v_mad_u64_u32 v[12:13], s[20:21], s30, v4, 0
	v_add3_u32 v13, v13, v5, v15
	v_lshl_add_u64 v[12:13], v[12:13], 2, v[8:9]
	s_waitcnt lgkmcnt(0)
	global_store_dword v[12:13], v14, off
	s_branch .LBB56_8
.LBB56_25:
	s_endpgm
	.section	.rodata,"a",@progbits
	.p2align	6, 0x0
	.amdhsa_kernel _ZN9rocsparseL42csr2bsr_wavefront_per_row_multipass_kernelILj256ELj64ELj8EfilEEv20rocsparse_direction_T4_S2_S2_S2_S2_21rocsparse_index_base_PKT2_PKT3_PKS2_S3_PS4_PS7_PS2_
		.amdhsa_group_segment_fixed_size 1028
		.amdhsa_private_segment_fixed_size 0
		.amdhsa_kernarg_size 112
		.amdhsa_user_sgpr_count 2
		.amdhsa_user_sgpr_dispatch_ptr 0
		.amdhsa_user_sgpr_queue_ptr 0
		.amdhsa_user_sgpr_kernarg_segment_ptr 1
		.amdhsa_user_sgpr_dispatch_id 0
		.amdhsa_user_sgpr_kernarg_preload_length 0
		.amdhsa_user_sgpr_kernarg_preload_offset 0
		.amdhsa_user_sgpr_private_segment_size 0
		.amdhsa_uses_dynamic_stack 0
		.amdhsa_enable_private_segment 0
		.amdhsa_system_sgpr_workgroup_id_x 1
		.amdhsa_system_sgpr_workgroup_id_y 0
		.amdhsa_system_sgpr_workgroup_id_z 0
		.amdhsa_system_sgpr_workgroup_info 0
		.amdhsa_system_vgpr_workitem_id 0
		.amdhsa_next_free_vgpr 33
		.amdhsa_next_free_sgpr 31
		.amdhsa_accum_offset 36
		.amdhsa_reserve_vcc 1
		.amdhsa_float_round_mode_32 0
		.amdhsa_float_round_mode_16_64 0
		.amdhsa_float_denorm_mode_32 3
		.amdhsa_float_denorm_mode_16_64 3
		.amdhsa_dx10_clamp 1
		.amdhsa_ieee_mode 1
		.amdhsa_fp16_overflow 0
		.amdhsa_tg_split 0
		.amdhsa_exception_fp_ieee_invalid_op 0
		.amdhsa_exception_fp_denorm_src 0
		.amdhsa_exception_fp_ieee_div_zero 0
		.amdhsa_exception_fp_ieee_overflow 0
		.amdhsa_exception_fp_ieee_underflow 0
		.amdhsa_exception_fp_ieee_inexact 0
		.amdhsa_exception_int_div_zero 0
	.end_amdhsa_kernel
	.section	.text._ZN9rocsparseL42csr2bsr_wavefront_per_row_multipass_kernelILj256ELj64ELj8EfilEEv20rocsparse_direction_T4_S2_S2_S2_S2_21rocsparse_index_base_PKT2_PKT3_PKS2_S3_PS4_PS7_PS2_,"axG",@progbits,_ZN9rocsparseL42csr2bsr_wavefront_per_row_multipass_kernelILj256ELj64ELj8EfilEEv20rocsparse_direction_T4_S2_S2_S2_S2_21rocsparse_index_base_PKT2_PKT3_PKS2_S3_PS4_PS7_PS2_,comdat
.Lfunc_end56:
	.size	_ZN9rocsparseL42csr2bsr_wavefront_per_row_multipass_kernelILj256ELj64ELj8EfilEEv20rocsparse_direction_T4_S2_S2_S2_S2_21rocsparse_index_base_PKT2_PKT3_PKS2_S3_PS4_PS7_PS2_, .Lfunc_end56-_ZN9rocsparseL42csr2bsr_wavefront_per_row_multipass_kernelILj256ELj64ELj8EfilEEv20rocsparse_direction_T4_S2_S2_S2_S2_21rocsparse_index_base_PKT2_PKT3_PKS2_S3_PS4_PS7_PS2_
                                        ; -- End function
	.section	.AMDGPU.csdata,"",@progbits
; Kernel info:
; codeLenInByte = 2172
; NumSgprs: 37
; NumVgprs: 33
; NumAgprs: 0
; TotalNumVgprs: 33
; ScratchSize: 0
; MemoryBound: 0
; FloatMode: 240
; IeeeMode: 1
; LDSByteSize: 1028 bytes/workgroup (compile time only)
; SGPRBlocks: 4
; VGPRBlocks: 4
; NumSGPRsForWavesPerEU: 37
; NumVGPRsForWavesPerEU: 33
; AccumOffset: 36
; Occupancy: 8
; WaveLimiterHint : 0
; COMPUTE_PGM_RSRC2:SCRATCH_EN: 0
; COMPUTE_PGM_RSRC2:USER_SGPR: 2
; COMPUTE_PGM_RSRC2:TRAP_HANDLER: 0
; COMPUTE_PGM_RSRC2:TGID_X_EN: 1
; COMPUTE_PGM_RSRC2:TGID_Y_EN: 0
; COMPUTE_PGM_RSRC2:TGID_Z_EN: 0
; COMPUTE_PGM_RSRC2:TIDIG_COMP_CNT: 0
; COMPUTE_PGM_RSRC3_GFX90A:ACCUM_OFFSET: 8
; COMPUTE_PGM_RSRC3_GFX90A:TG_SPLIT: 0
	.section	.text._ZN9rocsparseL42csr2bsr_wavefront_per_row_multipass_kernelILj256ELj32ELj8EfilEEv20rocsparse_direction_T4_S2_S2_S2_S2_21rocsparse_index_base_PKT2_PKT3_PKS2_S3_PS4_PS7_PS2_,"axG",@progbits,_ZN9rocsparseL42csr2bsr_wavefront_per_row_multipass_kernelILj256ELj32ELj8EfilEEv20rocsparse_direction_T4_S2_S2_S2_S2_21rocsparse_index_base_PKT2_PKT3_PKS2_S3_PS4_PS7_PS2_,comdat
	.globl	_ZN9rocsparseL42csr2bsr_wavefront_per_row_multipass_kernelILj256ELj32ELj8EfilEEv20rocsparse_direction_T4_S2_S2_S2_S2_21rocsparse_index_base_PKT2_PKT3_PKS2_S3_PS4_PS7_PS2_ ; -- Begin function _ZN9rocsparseL42csr2bsr_wavefront_per_row_multipass_kernelILj256ELj32ELj8EfilEEv20rocsparse_direction_T4_S2_S2_S2_S2_21rocsparse_index_base_PKT2_PKT3_PKS2_S3_PS4_PS7_PS2_
	.p2align	8
	.type	_ZN9rocsparseL42csr2bsr_wavefront_per_row_multipass_kernelILj256ELj32ELj8EfilEEv20rocsparse_direction_T4_S2_S2_S2_S2_21rocsparse_index_base_PKT2_PKT3_PKS2_S3_PS4_PS7_PS2_,@function
_ZN9rocsparseL42csr2bsr_wavefront_per_row_multipass_kernelILj256ELj32ELj8EfilEEv20rocsparse_direction_T4_S2_S2_S2_S2_21rocsparse_index_base_PKT2_PKT3_PKS2_S3_PS4_PS7_PS2_: ; @_ZN9rocsparseL42csr2bsr_wavefront_per_row_multipass_kernelILj256ELj32ELj8EfilEEv20rocsparse_direction_T4_S2_S2_S2_S2_21rocsparse_index_base_PKT2_PKT3_PKS2_S3_PS4_PS7_PS2_
; %bb.0:
	s_load_dwordx2 s[4:5], s[0:1], 0x8
	s_load_dwordx4 s[8:11], s[0:1], 0x18
	s_load_dwordx2 s[6:7], s[0:1], 0x28
	s_load_dword s30, s[0:1], 0x30
	s_load_dwordx2 s[12:13], s[0:1], 0x40
	s_ashr_i32 s3, s2, 31
	v_lshrrev_b32_e32 v28, 5, v0
	s_lshl_b64 s[14:15], s[2:3], 3
	v_bfe_u32 v2, v0, 2, 3
	v_mov_b32_e32 v3, 0
	v_or_b32_e32 v1, s14, v28
	s_waitcnt lgkmcnt(0)
	v_mul_lo_u32 v6, v1, s7
	v_mad_u64_u32 v[4:5], s[16:17], v1, s6, v[2:3]
	s_mul_i32 s3, s15, s6
	v_add3_u32 v5, s3, v5, v6
	v_cmp_gt_i64_e32 vcc, s[4:5], v[4:5]
	v_cmp_gt_i64_e64 s[4:5], s[6:7], v[2:3]
	s_and_b64 s[14:15], s[4:5], vcc
	v_mov_b32_e32 v22, v3
	s_and_saveexec_b64 s[16:17], s[14:15]
	s_cbranch_execz .LBB57_2
; %bb.1:
	v_lshl_add_u64 v[6:7], v[4:5], 2, s[12:13]
	global_load_dword v1, v[6:7], off
	s_waitcnt vmcnt(0)
	v_subrev_u32_e32 v22, s30, v1
.LBB57_2:
	s_or_b64 exec, exec, s[16:17]
	s_and_saveexec_b64 s[16:17], s[14:15]
	s_cbranch_execz .LBB57_4
; %bb.3:
	v_lshl_add_u64 v[4:5], v[4:5], 2, s[12:13]
	global_load_dword v1, v[4:5], off offset:4
	s_waitcnt vmcnt(0)
	v_subrev_u32_e32 v3, s30, v1
.LBB57_4:
	s_or_b64 exec, exec, s[16:17]
	s_load_dword s31, s[0:1], 0x50
	v_lshl_or_b32 v6, s2, 3, v28
	v_mov_b32_e32 v7, 0
	v_cmp_gt_i64_e32 vcc, s[8:9], v[6:7]
	v_mov_b32_e32 v4, v7
	s_and_saveexec_b64 s[2:3], vcc
	s_cbranch_execz .LBB57_6
; %bb.5:
	s_load_dwordx2 s[8:9], s[0:1], 0x60
	s_waitcnt lgkmcnt(0)
	v_lshl_add_u64 v[4:5], v[6:7], 2, s[8:9]
	global_load_dword v1, v[4:5], off
	s_waitcnt vmcnt(0)
	v_subrev_u32_e32 v4, s31, v1
.LBB57_6:
	s_or_b64 exec, exec, s[2:3]
	v_cmp_lt_i64_e64 s[2:3], s[10:11], 1
	s_and_b64 vcc, exec, s[2:3]
	s_cbranch_vccnz .LBB57_34
; %bb.7:
	s_mul_i32 s8, s6, s7
	s_mul_hi_u32 s9, s6, s6
	s_add_i32 s9, s9, s8
	s_load_dwordx2 s[2:3], s[0:1], 0x68
	s_load_dwordx2 s[16:17], s[0:1], 0x58
	s_add_i32 s33, s9, s8
	s_load_dwordx2 s[8:9], s[0:1], 0x48
	s_load_dwordx2 s[12:13], s[0:1], 0x38
	s_load_dword s14, s[0:1], 0x0
	v_mad_u64_u32 v[10:11], s[0:1], v2, s6, 0
	v_mov_b32_e32 v12, v11
	v_and_b32_e32 v0, 3, v0
	v_lshlrev_b32_e32 v1, 6, v28
	v_mad_u64_u32 v[12:13], s[0:1], v2, s7, v[12:13]
	v_lshl_or_b32 v29, v2, 3, v1
	v_mbcnt_lo_u32_b32 v1, -1, 0
	v_mov_b32_e32 v11, v12
	v_mad_u64_u32 v[12:13], s[0:1], v0, s6, 0
	v_mov_b32_e32 v6, 0
	v_mbcnt_hi_u32_b32 v1, -1, v1
	v_mov_b32_e32 v14, v13
	v_lshlrev_b32_e32 v8, 2, v2
	v_mov_b32_e32 v9, v6
	v_lshlrev_b32_e32 v1, 2, v1
	v_mad_u64_u32 v[14:15], s[0:1], v0, s7, v[14:15]
	v_or_b32_e32 v16, 4, v0
	s_waitcnt lgkmcnt(0)
	v_lshl_add_u64 v[8:9], s[16:17], 0, v[8:9]
	v_or_b32_e32 v30, 12, v1
	v_lshl_add_u64 v[10:11], v[10:11], 2, s[16:17]
	v_or_b32_e32 v2, 0x7c, v1
	v_or_b32_e32 v1, v29, v0
	v_mov_b32_e32 v13, v14
	v_mad_u64_u32 v[14:15], s[16:17], v16, s6, 0
	v_lshlrev_b32_e32 v31, 2, v1
	v_mov_b32_e32 v1, v6
	v_mov_b32_e32 v17, v6
	;; [unrolled: 1-line block ×3, first 2 shown]
	s_cmp_lg_u32 s14, 0
	v_cmp_gt_u64_e32 vcc, s[6:7], v[0:1]
	v_cmp_gt_u64_e64 s[0:1], s[6:7], v[16:17]
	v_mad_u64_u32 v[16:17], s[16:17], v16, s7, v[18:19]
	s_mul_i32 s34, s6, s6
	s_mov_b32 s35, 0
	s_cselect_b64 s[14:15], -1, 0
	v_mov_b32_e32 v15, v16
	s_and_b64 s[16:17], s[4:5], vcc
	s_and_b64 s[4:5], s[4:5], s[0:1]
	s_mov_b64 s[18:19], 0
	v_mov_b64_e32 v[18:19], 0
	s_ashr_i32 s20, s7, 31
	v_mov_b32_e32 v1, 1
	v_mov_b32_e32 v5, 0
	s_branch .LBB57_11
.LBB57_8:                               ;   in Loop: Header=BB57_11 Depth=1
	v_mov_b32_e32 v7, s21
.LBB57_9:                               ;   in Loop: Header=BB57_11 Depth=1
	s_or_b64 exec, exec, s[22:23]
.LBB57_10:                              ;   in Loop: Header=BB57_11 Depth=1
	s_or_b64 exec, exec, s[0:1]
	v_mov_b32_dpp v18, v16 row_shr:1 row_mask:0xf bank_mask:0xf
	v_mov_b32_dpp v19, v17 row_shr:1 row_mask:0xf bank_mask:0xf
	v_cmp_lt_i64_e32 vcc, v[18:19], v[16:17]
	v_add_u32_e32 v4, v7, v4
	s_waitcnt lgkmcnt(0)
	v_cndmask_b32_e32 v17, v17, v19, vcc
	v_cndmask_b32_e32 v16, v16, v18, vcc
	s_nop 0
	v_mov_b32_dpp v19, v17 row_shr:2 row_mask:0xf bank_mask:0xf
	v_mov_b32_dpp v18, v16 row_shr:2 row_mask:0xf bank_mask:0xf
	v_cmp_lt_i64_e32 vcc, v[18:19], v[16:17]
	s_nop 1
	v_cndmask_b32_e32 v17, v17, v19, vcc
	v_cndmask_b32_e32 v16, v16, v18, vcc
	s_nop 0
	v_mov_b32_dpp v19, v17 row_shr:4 row_mask:0xf bank_mask:0xe
	v_mov_b32_dpp v18, v16 row_shr:4 row_mask:0xf bank_mask:0xe
	v_cmp_lt_i64_e32 vcc, v[18:19], v[16:17]
	s_nop 1
	;; [unrolled: 7-line block ×3, first 2 shown]
	v_cndmask_b32_e32 v17, v17, v19, vcc
	v_cndmask_b32_e32 v16, v16, v18, vcc
	s_nop 0
	v_mov_b32_dpp v19, v17 row_bcast:15 row_mask:0xa bank_mask:0xf
	v_mov_b32_dpp v18, v16 row_bcast:15 row_mask:0xa bank_mask:0xf
	v_cmp_lt_i64_e32 vcc, v[18:19], v[16:17]
	s_nop 1
	v_cndmask_b32_e32 v5, v16, v18, vcc
	ds_bpermute_b32 v18, v2, v5
	s_waitcnt lgkmcnt(0)
	v_ashrrev_i32_e32 v19, 31, v18
	v_cmp_le_i64_e32 vcc, s[10:11], v[18:19]
	s_or_b64 s[18:19], vcc, s[18:19]
	v_mov_b32_e32 v5, v18
	s_andn2_b64 exec, exec, s[18:19]
	s_cbranch_execz .LBB57_34
.LBB57_11:                              ; =>This Loop Header: Depth=1
                                        ;     Child Loop BB57_14 Depth 2
	v_add_u32_e32 v20, v22, v0
	v_cmp_lt_i32_e32 vcc, v20, v3
	v_mov_b64_e32 v[16:17], s[10:11]
	v_mov_b32_e32 v7, v3
	ds_write_b8 v28, v6 offset:2048
	ds_write2_b32 v31, v6, v6 offset1:4
	s_waitcnt lgkmcnt(0)
	s_and_saveexec_b64 s[22:23], vcc
	s_cbranch_execz .LBB57_23
; %bb.12:                               ;   in Loop: Header=BB57_11 Depth=1
	v_mad_u64_u32 v[22:23], s[0:1], v18, s6, 0
	s_mov_b64 s[24:25], 0
	v_mov_b64_e32 v[16:17], s[10:11]
	v_mov_b32_e32 v23, v3
	s_branch .LBB57_14
.LBB57_13:                              ;   in Loop: Header=BB57_14 Depth=2
	s_or_b64 exec, exec, s[0:1]
	v_add_u32_e32 v20, 4, v20
	v_cmp_ge_i32_e64 s[0:1], v20, v3
	s_xor_b64 s[26:27], vcc, -1
	s_or_b64 s[0:1], s[26:27], s[0:1]
	s_and_b64 s[0:1], exec, s[0:1]
	s_or_b64 s[24:25], s[0:1], s[24:25]
	v_mov_b32_e32 v23, v7
	s_andn2_b64 exec, exec, s[24:25]
	s_cbranch_execz .LBB57_22
.LBB57_14:                              ;   Parent Loop BB57_11 Depth=1
                                        ; =>  This Inner Loop Header: Depth=2
	v_ashrrev_i32_e32 v21, 31, v20
	v_lshl_add_u64 v[24:25], v[20:21], 3, s[8:9]
	global_load_dwordx2 v[24:25], v[24:25], off
	v_mov_b32_e32 v7, s35
                                        ; implicit-def: $vgpr26_vgpr27
	s_waitcnt vmcnt(0)
	v_subrev_co_u32_e32 v24, vcc, s30, v24
	s_nop 1
	v_subb_co_u32_e32 v25, vcc, v25, v7, vcc
	v_or_b32_e32 v7, s7, v25
	v_cmp_ne_u64_e32 vcc, 0, v[6:7]
	s_and_saveexec_b64 s[0:1], vcc
	s_xor_b64 s[26:27], exec, s[0:1]
	s_cbranch_execz .LBB57_16
; %bb.15:                               ;   in Loop: Header=BB57_14 Depth=2
	s_add_u32 s0, s6, s20
	s_mov_b32 s21, s20
	s_addc_u32 s1, s7, s20
	s_xor_b64 s[28:29], s[0:1], s[20:21]
	v_cvt_f32_u32_e32 v7, s28
	v_cvt_f32_u32_e32 v26, s29
	s_sub_u32 s0, 0, s28
	s_subb_u32 s1, 0, s29
	v_mov_b32_e32 v33, v6
	v_fmac_f32_e32 v7, 0x4f800000, v26
	v_rcp_f32_e32 v7, v7
	s_nop 0
	v_mul_f32_e32 v7, 0x5f7ffffc, v7
	v_mul_f32_e32 v26, 0x2f800000, v7
	v_trunc_f32_e32 v26, v26
	v_fmac_f32_e32 v7, 0xcf800000, v26
	v_cvt_u32_f32_e32 v34, v26
	v_cvt_u32_f32_e32 v7, v7
	v_mul_lo_u32 v26, s0, v34
	v_mul_hi_u32 v32, s0, v7
	v_mul_lo_u32 v27, s1, v7
	v_add_u32_e32 v26, v32, v26
	v_mul_lo_u32 v35, s0, v7
	v_add_u32_e32 v36, v26, v27
	v_mul_hi_u32 v27, v7, v36
	v_mul_lo_u32 v26, v7, v36
	v_mul_hi_u32 v32, v7, v35
	v_lshl_add_u64 v[26:27], v[32:33], 0, v[26:27]
	v_mul_hi_u32 v33, v34, v35
	v_mul_lo_u32 v35, v34, v35
	v_add_co_u32_e32 v26, vcc, v26, v35
	v_mul_hi_u32 v32, v34, v36
	s_nop 0
	v_addc_co_u32_e32 v26, vcc, v27, v33, vcc
	v_mov_b32_e32 v27, v6
	s_nop 0
	v_addc_co_u32_e32 v33, vcc, 0, v32, vcc
	v_mul_lo_u32 v32, v34, v36
	v_lshl_add_u64 v[26:27], v[26:27], 0, v[32:33]
	v_add_co_u32_e32 v7, vcc, v7, v26
	v_mul_lo_u32 v32, s0, v7
	s_nop 0
	v_addc_co_u32_e32 v34, vcc, v34, v27, vcc
	v_mul_lo_u32 v26, s0, v34
	v_mul_hi_u32 v27, s0, v7
	v_add_u32_e32 v26, v27, v26
	v_mul_lo_u32 v27, s1, v7
	v_add_u32_e32 v35, v26, v27
	v_mul_hi_u32 v37, v34, v32
	v_mul_lo_u32 v38, v34, v32
	v_mul_hi_u32 v27, v7, v35
	v_mul_lo_u32 v26, v7, v35
	v_mul_hi_u32 v32, v7, v32
	v_mov_b32_e32 v33, v6
	v_lshl_add_u64 v[26:27], v[32:33], 0, v[26:27]
	v_add_co_u32_e32 v26, vcc, v26, v38
	v_mul_hi_u32 v36, v34, v35
	s_nop 0
	v_addc_co_u32_e32 v26, vcc, v27, v37, vcc
	v_mul_lo_u32 v32, v34, v35
	s_nop 0
	v_addc_co_u32_e32 v33, vcc, 0, v36, vcc
	v_mov_b32_e32 v27, v6
	v_lshl_add_u64 v[26:27], v[26:27], 0, v[32:33]
	v_add_co_u32_e32 v7, vcc, v7, v26
	v_ashrrev_i32_e32 v26, 31, v25
	s_nop 0
	v_addc_co_u32_e32 v36, vcc, v34, v27, vcc
	v_mov_b32_e32 v27, v26
	v_lshl_add_u64 v[32:33], v[24:25], 0, v[26:27]
	v_xor_b32_e32 v27, v32, v26
	v_xor_b32_e32 v25, v33, v26
	v_mad_u64_u32 v[32:33], s[0:1], v27, v36, 0
	v_mul_hi_u32 v34, v27, v7
	v_mov_b32_e32 v35, v6
	v_lshl_add_u64 v[32:33], v[34:35], 0, v[32:33]
	v_mad_u64_u32 v[34:35], s[0:1], v25, v36, 0
	v_mad_u64_u32 v[36:37], s[0:1], v25, v7, 0
	v_add_co_u32_e32 v7, vcc, v32, v36
	s_nop 1
	v_addc_co_u32_e32 v32, vcc, v33, v37, vcc
	v_mov_b32_e32 v33, v6
	s_nop 0
	v_addc_co_u32_e32 v35, vcc, 0, v35, vcc
	v_lshl_add_u64 v[32:33], v[32:33], 0, v[34:35]
	v_mul_lo_u32 v7, s29, v32
	v_mul_lo_u32 v36, s28, v33
	v_mad_u64_u32 v[34:35], s[0:1], s28, v32, 0
	v_add3_u32 v7, v35, v36, v7
	v_sub_u32_e32 v35, v25, v7
	v_mov_b32_e32 v36, s29
	v_sub_co_u32_e32 v27, vcc, v27, v34
	s_nop 1
	v_subb_co_u32_e64 v34, s[0:1], v35, v36, vcc
	v_subrev_co_u32_e64 v35, s[0:1], s28, v27
	v_subb_co_u32_e32 v7, vcc, v25, v7, vcc
	s_nop 0
	v_subbrev_co_u32_e64 v34, s[0:1], 0, v34, s[0:1]
	v_cmp_le_u32_e64 s[0:1], s29, v34
	v_cmp_le_u32_e32 vcc, s29, v7
	s_nop 0
	v_cndmask_b32_e64 v36, 0, -1, s[0:1]
	v_cmp_le_u32_e64 s[0:1], s28, v35
	v_cndmask_b32_e64 v25, 0, -1, vcc
	v_cmp_le_u32_e32 vcc, s28, v27
	v_cndmask_b32_e64 v35, 0, -1, s[0:1]
	v_cmp_eq_u32_e64 s[0:1], s29, v34
	v_cndmask_b32_e64 v27, 0, -1, vcc
	v_cmp_eq_u32_e32 vcc, s29, v7
	v_cndmask_b32_e64 v38, v36, v35, s[0:1]
	v_lshl_add_u64 v[34:35], v[32:33], 0, 2
	v_lshl_add_u64 v[36:37], v[32:33], 0, 1
	v_cmp_ne_u32_e64 s[0:1], 0, v38
	v_cndmask_b32_e32 v7, v25, v27, vcc
	v_cmp_ne_u32_e32 vcc, 0, v7
	v_cndmask_b32_e64 v25, v36, v34, s[0:1]
	v_cndmask_b32_e64 v35, v37, v35, s[0:1]
	v_cndmask_b32_e32 v25, v32, v25, vcc
	v_xor_b32_e32 v27, s20, v26
	v_cndmask_b32_e32 v7, v33, v35, vcc
	v_xor_b32_e32 v25, v25, v27
	v_xor_b32_e32 v7, v7, v27
	v_sub_co_u32_e32 v26, vcc, v25, v27
	s_nop 1
	v_subb_co_u32_e32 v27, vcc, v7, v27, vcc
.LBB57_16:                              ;   in Loop: Header=BB57_14 Depth=2
	s_andn2_saveexec_b64 s[0:1], s[26:27]
	s_cbranch_execz .LBB57_18
; %bb.17:                               ;   in Loop: Header=BB57_14 Depth=2
	v_cvt_f32_u32_e32 v7, s6
	s_sub_i32 s21, 0, s6
	v_rcp_iflag_f32_e32 v7, v7
	s_nop 0
	v_mul_f32_e32 v7, 0x4f7ffffe, v7
	v_cvt_u32_f32_e32 v7, v7
	v_mul_lo_u32 v25, s21, v7
	v_mul_hi_u32 v25, v7, v25
	v_add_u32_e32 v7, v7, v25
	v_mul_hi_u32 v7, v24, v7
	v_mul_lo_u32 v25, v7, s6
	v_sub_u32_e32 v25, v24, v25
	v_add_u32_e32 v26, 1, v7
	v_subrev_u32_e32 v27, s6, v25
	v_cmp_le_u32_e32 vcc, s6, v25
	s_nop 1
	v_cndmask_b32_e32 v25, v25, v27, vcc
	v_cndmask_b32_e32 v7, v7, v26, vcc
	v_add_u32_e32 v26, 1, v7
	v_cmp_le_u32_e32 vcc, s6, v25
	v_mov_b32_e32 v27, v6
	s_nop 0
	v_cndmask_b32_e32 v26, v7, v26, vcc
.LBB57_18:                              ;   in Loop: Header=BB57_14 Depth=2
	s_or_b64 exec, exec, s[0:1]
	v_cmp_eq_u64_e32 vcc, v[26:27], v[18:19]
	v_cmp_ne_u64_e64 s[0:1], v[26:27], v[18:19]
	s_and_saveexec_b64 s[26:27], s[0:1]
	s_xor_b64 s[26:27], exec, s[26:27]
; %bb.19:                               ;   in Loop: Header=BB57_14 Depth=2
	v_cmp_lt_i64_e64 s[0:1], v[26:27], v[16:17]
                                        ; implicit-def: $vgpr24_vgpr25
                                        ; implicit-def: $vgpr23
	s_nop 1
	v_cndmask_b32_e64 v17, v17, v27, s[0:1]
	v_cndmask_b32_e64 v16, v16, v26, s[0:1]
; %bb.20:                               ;   in Loop: Header=BB57_14 Depth=2
	s_or_saveexec_b64 s[0:1], s[26:27]
	v_mov_b32_e32 v7, v20
	s_xor_b64 exec, exec, s[0:1]
	s_cbranch_execz .LBB57_13
; %bb.21:                               ;   in Loop: Header=BB57_14 Depth=2
	v_lshl_add_u64 v[26:27], v[20:21], 2, s[12:13]
	global_load_dword v7, v[26:27], off
	v_sub_u32_e32 v21, v24, v22
	v_add_lshl_u32 v21, v29, v21, 2
	ds_write_b8 v28, v1 offset:2048
	s_waitcnt vmcnt(0)
	ds_write_b32 v21, v7
	v_mov_b32_e32 v7, v23
	s_branch .LBB57_13
.LBB57_22:                              ;   in Loop: Header=BB57_11 Depth=1
	s_or_b64 exec, exec, s[24:25]
.LBB57_23:                              ;   in Loop: Header=BB57_11 Depth=1
	s_or_b64 exec, exec, s[22:23]
	v_mov_b32_dpp v18, v7 row_shr:1 row_mask:0xf bank_mask:0xf
	v_min_i32_e32 v7, v18, v7
	s_waitcnt lgkmcnt(0)
	ds_read_u8 v18, v28 offset:2048
	v_mov_b32_dpp v19, v7 row_shr:2 row_mask:0xf bank_mask:0xf
	v_min_i32_e32 v7, v19, v7
	ds_bpermute_b32 v22, v30, v7
	s_waitcnt lgkmcnt(1)
	v_and_b32_e32 v7, 1, v18
	v_cmp_eq_u32_e32 vcc, 1, v7
	v_mov_b32_e32 v7, 0
	s_and_saveexec_b64 s[0:1], vcc
	s_cbranch_execz .LBB57_10
; %bb.24:                               ;   in Loop: Header=BB57_11 Depth=1
	v_add_u32_e32 v18, s31, v5
	v_ashrrev_i32_e32 v5, 31, v4
	v_ashrrev_i32_e32 v19, 31, v18
	v_lshl_add_u64 v[20:21], v[4:5], 3, s[2:3]
	global_store_dwordx2 v[20:21], v[18:19], off
	v_mul_lo_u32 v7, s33, v4
	v_mul_lo_u32 v5, s34, v5
	v_mad_u64_u32 v[18:19], s[22:23], s34, v4, 0
	v_add3_u32 v19, v19, v5, v7
	v_lshlrev_b64 v[18:19], 2, v[18:19]
	v_lshl_add_u64 v[20:21], v[8:9], 0, v[18:19]
	v_lshl_add_u64 v[18:19], v[10:11], 0, v[18:19]
	s_and_saveexec_b64 s[22:23], s[16:17]
	s_cbranch_execz .LBB57_28
; %bb.25:                               ;   in Loop: Header=BB57_11 Depth=1
	s_and_b64 vcc, exec, s[14:15]
	s_cbranch_vccz .LBB57_31
; %bb.26:                               ;   in Loop: Header=BB57_11 Depth=1
	ds_read_b32 v5, v31
	v_lshl_add_u64 v[24:25], v[12:13], 2, v[20:21]
	s_waitcnt lgkmcnt(0)
	global_store_dword v[24:25], v5, off
	s_cbranch_execnz .LBB57_28
.LBB57_27:                              ;   in Loop: Header=BB57_11 Depth=1
	ds_read_b32 v5, v31
	v_lshlrev_b32_e32 v24, 2, v0
	v_mov_b32_e32 v25, v6
	v_lshl_add_u64 v[24:25], v[18:19], 0, v[24:25]
	s_waitcnt lgkmcnt(0)
	global_store_dword v[24:25], v5, off
.LBB57_28:                              ;   in Loop: Header=BB57_11 Depth=1
	s_or_b64 exec, exec, s[22:23]
	v_mov_b32_e32 v7, 1
	s_and_saveexec_b64 s[22:23], s[4:5]
	s_cbranch_execz .LBB57_9
; %bb.29:                               ;   in Loop: Header=BB57_11 Depth=1
	s_andn2_b64 vcc, exec, s[14:15]
	s_cbranch_vccnz .LBB57_32
; %bb.30:                               ;   in Loop: Header=BB57_11 Depth=1
	ds_read_b32 v5, v31 offset:16
	v_lshl_add_u64 v[20:21], v[14:15], 2, v[20:21]
	s_mov_b32 s21, 1
	s_waitcnt lgkmcnt(0)
	global_store_dword v[20:21], v5, off
	s_cbranch_execnz .LBB57_8
	s_branch .LBB57_33
.LBB57_31:                              ;   in Loop: Header=BB57_11 Depth=1
	s_branch .LBB57_27
.LBB57_32:                              ;   in Loop: Header=BB57_11 Depth=1
                                        ; implicit-def: $sgpr21
.LBB57_33:                              ;   in Loop: Header=BB57_11 Depth=1
	ds_read_b32 v5, v31 offset:16
	v_lshlrev_b32_e32 v20, 2, v0
	v_mov_b32_e32 v21, v6
	v_lshl_add_u64 v[18:19], v[18:19], 0, v[20:21]
	s_mov_b32 s21, 1
	s_waitcnt lgkmcnt(0)
	global_store_dword v[18:19], v5, off offset:16
	s_branch .LBB57_8
.LBB57_34:
	s_endpgm
	.section	.rodata,"a",@progbits
	.p2align	6, 0x0
	.amdhsa_kernel _ZN9rocsparseL42csr2bsr_wavefront_per_row_multipass_kernelILj256ELj32ELj8EfilEEv20rocsparse_direction_T4_S2_S2_S2_S2_21rocsparse_index_base_PKT2_PKT3_PKS2_S3_PS4_PS7_PS2_
		.amdhsa_group_segment_fixed_size 2056
		.amdhsa_private_segment_fixed_size 0
		.amdhsa_kernarg_size 112
		.amdhsa_user_sgpr_count 2
		.amdhsa_user_sgpr_dispatch_ptr 0
		.amdhsa_user_sgpr_queue_ptr 0
		.amdhsa_user_sgpr_kernarg_segment_ptr 1
		.amdhsa_user_sgpr_dispatch_id 0
		.amdhsa_user_sgpr_kernarg_preload_length 0
		.amdhsa_user_sgpr_kernarg_preload_offset 0
		.amdhsa_user_sgpr_private_segment_size 0
		.amdhsa_uses_dynamic_stack 0
		.amdhsa_enable_private_segment 0
		.amdhsa_system_sgpr_workgroup_id_x 1
		.amdhsa_system_sgpr_workgroup_id_y 0
		.amdhsa_system_sgpr_workgroup_id_z 0
		.amdhsa_system_sgpr_workgroup_info 0
		.amdhsa_system_vgpr_workitem_id 0
		.amdhsa_next_free_vgpr 39
		.amdhsa_next_free_sgpr 36
		.amdhsa_accum_offset 40
		.amdhsa_reserve_vcc 1
		.amdhsa_float_round_mode_32 0
		.amdhsa_float_round_mode_16_64 0
		.amdhsa_float_denorm_mode_32 3
		.amdhsa_float_denorm_mode_16_64 3
		.amdhsa_dx10_clamp 1
		.amdhsa_ieee_mode 1
		.amdhsa_fp16_overflow 0
		.amdhsa_tg_split 0
		.amdhsa_exception_fp_ieee_invalid_op 0
		.amdhsa_exception_fp_denorm_src 0
		.amdhsa_exception_fp_ieee_div_zero 0
		.amdhsa_exception_fp_ieee_overflow 0
		.amdhsa_exception_fp_ieee_underflow 0
		.amdhsa_exception_fp_ieee_inexact 0
		.amdhsa_exception_int_div_zero 0
	.end_amdhsa_kernel
	.section	.text._ZN9rocsparseL42csr2bsr_wavefront_per_row_multipass_kernelILj256ELj32ELj8EfilEEv20rocsparse_direction_T4_S2_S2_S2_S2_21rocsparse_index_base_PKT2_PKT3_PKS2_S3_PS4_PS7_PS2_,"axG",@progbits,_ZN9rocsparseL42csr2bsr_wavefront_per_row_multipass_kernelILj256ELj32ELj8EfilEEv20rocsparse_direction_T4_S2_S2_S2_S2_21rocsparse_index_base_PKT2_PKT3_PKS2_S3_PS4_PS7_PS2_,comdat
.Lfunc_end57:
	.size	_ZN9rocsparseL42csr2bsr_wavefront_per_row_multipass_kernelILj256ELj32ELj8EfilEEv20rocsparse_direction_T4_S2_S2_S2_S2_21rocsparse_index_base_PKT2_PKT3_PKS2_S3_PS4_PS7_PS2_, .Lfunc_end57-_ZN9rocsparseL42csr2bsr_wavefront_per_row_multipass_kernelILj256ELj32ELj8EfilEEv20rocsparse_direction_T4_S2_S2_S2_S2_21rocsparse_index_base_PKT2_PKT3_PKS2_S3_PS4_PS7_PS2_
                                        ; -- End function
	.section	.AMDGPU.csdata,"",@progbits
; Kernel info:
; codeLenInByte = 2300
; NumSgprs: 42
; NumVgprs: 39
; NumAgprs: 0
; TotalNumVgprs: 39
; ScratchSize: 0
; MemoryBound: 0
; FloatMode: 240
; IeeeMode: 1
; LDSByteSize: 2056 bytes/workgroup (compile time only)
; SGPRBlocks: 5
; VGPRBlocks: 4
; NumSGPRsForWavesPerEU: 42
; NumVGPRsForWavesPerEU: 39
; AccumOffset: 40
; Occupancy: 8
; WaveLimiterHint : 0
; COMPUTE_PGM_RSRC2:SCRATCH_EN: 0
; COMPUTE_PGM_RSRC2:USER_SGPR: 2
; COMPUTE_PGM_RSRC2:TRAP_HANDLER: 0
; COMPUTE_PGM_RSRC2:TGID_X_EN: 1
; COMPUTE_PGM_RSRC2:TGID_Y_EN: 0
; COMPUTE_PGM_RSRC2:TGID_Z_EN: 0
; COMPUTE_PGM_RSRC2:TIDIG_COMP_CNT: 0
; COMPUTE_PGM_RSRC3_GFX90A:ACCUM_OFFSET: 9
; COMPUTE_PGM_RSRC3_GFX90A:TG_SPLIT: 0
	.section	.text._ZN9rocsparseL42csr2bsr_wavefront_per_row_multipass_kernelILj256ELj64ELj16EfilEEv20rocsparse_direction_T4_S2_S2_S2_S2_21rocsparse_index_base_PKT2_PKT3_PKS2_S3_PS4_PS7_PS2_,"axG",@progbits,_ZN9rocsparseL42csr2bsr_wavefront_per_row_multipass_kernelILj256ELj64ELj16EfilEEv20rocsparse_direction_T4_S2_S2_S2_S2_21rocsparse_index_base_PKT2_PKT3_PKS2_S3_PS4_PS7_PS2_,comdat
	.globl	_ZN9rocsparseL42csr2bsr_wavefront_per_row_multipass_kernelILj256ELj64ELj16EfilEEv20rocsparse_direction_T4_S2_S2_S2_S2_21rocsparse_index_base_PKT2_PKT3_PKS2_S3_PS4_PS7_PS2_ ; -- Begin function _ZN9rocsparseL42csr2bsr_wavefront_per_row_multipass_kernelILj256ELj64ELj16EfilEEv20rocsparse_direction_T4_S2_S2_S2_S2_21rocsparse_index_base_PKT2_PKT3_PKS2_S3_PS4_PS7_PS2_
	.p2align	8
	.type	_ZN9rocsparseL42csr2bsr_wavefront_per_row_multipass_kernelILj256ELj64ELj16EfilEEv20rocsparse_direction_T4_S2_S2_S2_S2_21rocsparse_index_base_PKT2_PKT3_PKS2_S3_PS4_PS7_PS2_,@function
_ZN9rocsparseL42csr2bsr_wavefront_per_row_multipass_kernelILj256ELj64ELj16EfilEEv20rocsparse_direction_T4_S2_S2_S2_S2_21rocsparse_index_base_PKT2_PKT3_PKS2_S3_PS4_PS7_PS2_: ; @_ZN9rocsparseL42csr2bsr_wavefront_per_row_multipass_kernelILj256ELj64ELj16EfilEEv20rocsparse_direction_T4_S2_S2_S2_S2_21rocsparse_index_base_PKT2_PKT3_PKS2_S3_PS4_PS7_PS2_
; %bb.0:
	s_load_dwordx2 s[4:5], s[0:1], 0x8
	s_load_dwordx4 s[8:11], s[0:1], 0x18
	s_load_dwordx2 s[12:13], s[0:1], 0x28
	s_load_dword s33, s[0:1], 0x30
	s_load_dwordx2 s[6:7], s[0:1], 0x40
	s_ashr_i32 s3, s2, 31
	v_lshrrev_b32_e32 v32, 6, v0
	s_lshl_b64 s[14:15], s[2:3], 2
	v_bfe_u32 v2, v0, 2, 4
	v_mov_b32_e32 v3, 0
	v_or_b32_e32 v1, s14, v32
	s_waitcnt lgkmcnt(0)
	v_mul_lo_u32 v6, v1, s13
	v_mad_u64_u32 v[4:5], s[16:17], v1, s12, v[2:3]
	s_mul_i32 s3, s15, s12
	v_add3_u32 v5, s3, v5, v6
	v_cmp_gt_i64_e32 vcc, s[4:5], v[4:5]
	v_cmp_gt_i64_e64 s[4:5], s[12:13], v[2:3]
	s_and_b64 s[14:15], s[4:5], vcc
	v_mov_b32_e32 v26, v3
	s_and_saveexec_b64 s[16:17], s[14:15]
	s_cbranch_execz .LBB58_2
; %bb.1:
	v_lshl_add_u64 v[6:7], v[4:5], 2, s[6:7]
	global_load_dword v1, v[6:7], off
	s_waitcnt vmcnt(0)
	v_subrev_u32_e32 v26, s33, v1
.LBB58_2:
	s_or_b64 exec, exec, s[16:17]
	s_and_saveexec_b64 s[16:17], s[14:15]
	s_cbranch_execz .LBB58_4
; %bb.3:
	v_lshl_add_u64 v[4:5], v[4:5], 2, s[6:7]
	global_load_dword v1, v[4:5], off offset:4
	s_waitcnt vmcnt(0)
	v_subrev_u32_e32 v3, s33, v1
.LBB58_4:
	s_or_b64 exec, exec, s[16:17]
	s_load_dword s36, s[0:1], 0x50
	v_lshl_or_b32 v6, s2, 2, v32
	v_mov_b32_e32 v7, 0
	v_cmp_gt_i64_e32 vcc, s[8:9], v[6:7]
	v_mov_b32_e32 v4, v7
	s_and_saveexec_b64 s[2:3], vcc
	s_cbranch_execz .LBB58_6
; %bb.5:
	s_load_dwordx2 s[6:7], s[0:1], 0x60
	s_waitcnt lgkmcnt(0)
	v_lshl_add_u64 v[4:5], v[6:7], 2, s[6:7]
	global_load_dword v1, v[4:5], off
	s_waitcnt vmcnt(0)
	v_subrev_u32_e32 v4, s36, v1
.LBB58_6:
	s_or_b64 exec, exec, s[2:3]
	v_cmp_lt_i64_e64 s[2:3], s[10:11], 1
	s_and_b64 vcc, exec, s[2:3]
	s_cbranch_vccnz .LBB58_44
; %bb.7:
	s_mul_i32 s2, s12, s13
	s_mul_hi_u32 s3, s12, s12
	s_add_i32 s3, s3, s2
	s_load_dwordx2 s[8:9], s[0:1], 0x68
	s_add_i32 s37, s3, s2
	s_load_dwordx2 s[2:3], s[0:1], 0x58
	s_load_dwordx2 s[14:15], s[0:1], 0x48
	s_load_dwordx2 s[16:17], s[0:1], 0x38
	s_load_dword s6, s[0:1], 0x0
	v_mad_u64_u32 v[10:11], s[0:1], v2, s12, 0
	v_mov_b32_e32 v12, v11
	v_and_b32_e32 v0, 3, v0
	v_mad_u64_u32 v[12:13], s[0:1], v2, s13, v[12:13]
	v_mov_b32_e32 v11, v12
	v_mad_u64_u32 v[12:13], s[0:1], v0, s12, 0
	v_mov_b32_e32 v6, 0
	v_mov_b32_e32 v14, v13
	v_lshlrev_b32_e32 v8, 2, v2
	v_mov_b32_e32 v9, v6
	v_mad_u64_u32 v[14:15], s[0:1], v0, s13, v[14:15]
	v_or_b32_e32 v16, 4, v0
	s_waitcnt lgkmcnt(0)
	v_lshl_add_u64 v[8:9], s[2:3], 0, v[8:9]
	v_lshl_add_u64 v[10:11], v[10:11], 2, s[2:3]
	v_mov_b32_e32 v13, v14
	v_mad_u64_u32 v[14:15], s[2:3], v16, s12, 0
	v_mov_b32_e32 v17, v6
	v_mov_b32_e32 v18, v15
	v_lshlrev_b32_e32 v1, 8, v32
	v_cmp_gt_u64_e64 s[0:1], s[12:13], v[16:17]
	v_mad_u64_u32 v[16:17], s[2:3], v16, s13, v[18:19]
	v_or_b32_e32 v18, 8, v0
	v_lshl_or_b32 v33, v2, 4, v1
	v_mbcnt_lo_u32_b32 v1, -1, 0
	s_cmp_lg_u32 s6, 0
	v_mov_b32_e32 v15, v16
	v_mad_u64_u32 v[16:17], s[6:7], v18, s12, 0
	v_mbcnt_hi_u32_b32 v1, -1, v1
	v_mov_b32_e32 v19, v6
	v_mov_b32_e32 v20, v17
	v_lshlrev_b32_e32 v1, 2, v1
	v_cmp_gt_u64_e64 s[2:3], s[12:13], v[18:19]
	v_mad_u64_u32 v[18:19], s[6:7], v18, s13, v[20:21]
	v_or_b32_e32 v20, 12, v0
	v_or_b32_e32 v34, 12, v1
	;; [unrolled: 1-line block ×4, first 2 shown]
	v_mov_b32_e32 v17, v18
	v_mad_u64_u32 v[18:19], s[20:21], v20, s12, 0
	v_lshlrev_b32_e32 v35, 2, v1
	v_mov_b32_e32 v1, v6
	v_mov_b32_e32 v21, v6
	;; [unrolled: 1-line block ×3, first 2 shown]
	v_cmp_gt_u64_e32 vcc, s[12:13], v[0:1]
	v_cmp_gt_u64_e64 s[6:7], s[12:13], v[20:21]
	v_mad_u64_u32 v[20:21], s[20:21], v20, s13, v[22:23]
	s_mul_i32 s38, s12, s12
	s_mov_b32 s39, 0
	s_cselect_b64 s[18:19], -1, 0
	v_mov_b32_e32 v19, v20
	s_and_b64 s[20:21], s[4:5], vcc
	s_and_b64 s[22:23], s[4:5], s[0:1]
	s_and_b64 s[2:3], s[4:5], s[2:3]
	;; [unrolled: 1-line block ×3, first 2 shown]
	s_mov_b64 s[6:7], 0
	v_mov_b64_e32 v[22:23], 0
	v_mov_b32_e32 v1, 1
	v_mov_b32_e32 v5, 0
	s_branch .LBB58_11
.LBB58_8:                               ;   in Loop: Header=BB58_11 Depth=1
	v_mov_b32_e32 v7, s28
.LBB58_9:                               ;   in Loop: Header=BB58_11 Depth=1
	s_or_b64 exec, exec, s[26:27]
.LBB58_10:                              ;   in Loop: Header=BB58_11 Depth=1
	s_or_b64 exec, exec, s[24:25]
	v_mov_b32_dpp v22, v20 row_shr:1 row_mask:0xf bank_mask:0xf
	v_mov_b32_dpp v23, v21 row_shr:1 row_mask:0xf bank_mask:0xf
	v_cmp_lt_i64_e32 vcc, v[22:23], v[20:21]
	v_add_u32_e32 v4, v7, v4
	s_waitcnt lgkmcnt(0)
	v_cndmask_b32_e32 v21, v21, v23, vcc
	v_cndmask_b32_e32 v20, v20, v22, vcc
	s_nop 0
	v_mov_b32_dpp v23, v21 row_shr:2 row_mask:0xf bank_mask:0xf
	v_mov_b32_dpp v22, v20 row_shr:2 row_mask:0xf bank_mask:0xf
	v_cmp_lt_i64_e32 vcc, v[22:23], v[20:21]
	s_nop 1
	v_cndmask_b32_e32 v21, v21, v23, vcc
	v_cndmask_b32_e32 v20, v20, v22, vcc
	s_nop 0
	v_mov_b32_dpp v23, v21 row_shr:4 row_mask:0xf bank_mask:0xe
	v_mov_b32_dpp v22, v20 row_shr:4 row_mask:0xf bank_mask:0xe
	v_cmp_lt_i64_e32 vcc, v[22:23], v[20:21]
	s_nop 1
	;; [unrolled: 7-line block ×3, first 2 shown]
	v_cndmask_b32_e32 v21, v21, v23, vcc
	v_cndmask_b32_e32 v20, v20, v22, vcc
	s_nop 0
	v_mov_b32_dpp v23, v21 row_bcast:15 row_mask:0xa bank_mask:0xf
	v_mov_b32_dpp v22, v20 row_bcast:15 row_mask:0xa bank_mask:0xf
	v_cmp_lt_i64_e32 vcc, v[22:23], v[20:21]
	s_nop 1
	v_cndmask_b32_e32 v21, v21, v23, vcc
	v_cndmask_b32_e32 v20, v20, v22, vcc
	s_nop 0
	v_mov_b32_dpp v23, v21 row_bcast:31 row_mask:0xc bank_mask:0xf
	v_mov_b32_dpp v22, v20 row_bcast:31 row_mask:0xc bank_mask:0xf
	v_cmp_lt_i64_e32 vcc, v[22:23], v[20:21]
	s_nop 1
	v_cndmask_b32_e32 v5, v20, v22, vcc
	ds_bpermute_b32 v22, v2, v5
	s_waitcnt lgkmcnt(0)
	v_ashrrev_i32_e32 v23, 31, v22
	v_cmp_le_i64_e32 vcc, s[10:11], v[22:23]
	s_or_b64 s[6:7], vcc, s[6:7]
	v_mov_b32_e32 v5, v22
	s_andn2_b64 exec, exec, s[6:7]
	s_cbranch_execz .LBB58_44
.LBB58_11:                              ; =>This Loop Header: Depth=1
                                        ;     Child Loop BB58_14 Depth 2
	v_add_u32_e32 v24, v26, v0
	v_cmp_lt_i32_e32 vcc, v24, v3
	v_mov_b64_e32 v[20:21], s[10:11]
	v_mov_b32_e32 v7, v3
	ds_write_b8 v32, v6 offset:4096
	ds_write2_b32 v35, v6, v6 offset1:4
	ds_write2_b32 v35, v6, v6 offset0:8 offset1:12
	s_waitcnt lgkmcnt(0)
	s_and_saveexec_b64 s[24:25], vcc
	s_cbranch_execz .LBB58_23
; %bb.12:                               ;   in Loop: Header=BB58_11 Depth=1
	v_mad_u64_u32 v[26:27], s[0:1], v22, s12, 0
	s_mov_b64 s[26:27], 0
	v_mov_b64_e32 v[20:21], s[10:11]
	v_mov_b32_e32 v27, v3
	s_branch .LBB58_14
.LBB58_13:                              ;   in Loop: Header=BB58_14 Depth=2
	s_or_b64 exec, exec, s[0:1]
	v_add_u32_e32 v24, 4, v24
	v_cmp_ge_i32_e64 s[0:1], v24, v3
	s_xor_b64 s[28:29], vcc, -1
	s_or_b64 s[0:1], s[28:29], s[0:1]
	s_and_b64 s[0:1], exec, s[0:1]
	s_or_b64 s[26:27], s[0:1], s[26:27]
	v_mov_b32_e32 v27, v7
	s_andn2_b64 exec, exec, s[26:27]
	s_cbranch_execz .LBB58_22
.LBB58_14:                              ;   Parent Loop BB58_11 Depth=1
                                        ; =>  This Inner Loop Header: Depth=2
	v_ashrrev_i32_e32 v25, 31, v24
	v_lshl_add_u64 v[28:29], v[24:25], 3, s[14:15]
	global_load_dwordx2 v[28:29], v[28:29], off
	v_mov_b32_e32 v7, s39
                                        ; implicit-def: $vgpr30_vgpr31
	s_waitcnt vmcnt(0)
	v_subrev_co_u32_e32 v28, vcc, s33, v28
	s_nop 1
	v_subb_co_u32_e32 v29, vcc, v29, v7, vcc
	v_or_b32_e32 v7, s13, v29
	v_cmp_ne_u64_e32 vcc, 0, v[6:7]
	s_and_saveexec_b64 s[0:1], vcc
	s_xor_b64 s[28:29], exec, s[0:1]
	s_cbranch_execz .LBB58_16
; %bb.15:                               ;   in Loop: Header=BB58_14 Depth=2
	s_ashr_i32 s30, s13, 31
	s_add_u32 s0, s12, s30
	s_mov_b32 s31, s30
	s_addc_u32 s1, s13, s30
	s_xor_b64 s[34:35], s[0:1], s[30:31]
	v_cvt_f32_u32_e32 v7, s34
	v_cvt_f32_u32_e32 v30, s35
	s_sub_u32 s0, 0, s34
	s_subb_u32 s1, 0, s35
	v_mov_b32_e32 v37, v6
	v_fmac_f32_e32 v7, 0x4f800000, v30
	v_rcp_f32_e32 v7, v7
	s_nop 0
	v_mul_f32_e32 v7, 0x5f7ffffc, v7
	v_mul_f32_e32 v30, 0x2f800000, v7
	v_trunc_f32_e32 v30, v30
	v_fmac_f32_e32 v7, 0xcf800000, v30
	v_cvt_u32_f32_e32 v38, v30
	v_cvt_u32_f32_e32 v7, v7
	v_mul_lo_u32 v30, s0, v38
	v_mul_hi_u32 v36, s0, v7
	v_mul_lo_u32 v31, s1, v7
	v_add_u32_e32 v30, v36, v30
	v_mul_lo_u32 v39, s0, v7
	v_add_u32_e32 v40, v30, v31
	v_mul_hi_u32 v31, v7, v40
	v_mul_lo_u32 v30, v7, v40
	v_mul_hi_u32 v36, v7, v39
	v_lshl_add_u64 v[30:31], v[36:37], 0, v[30:31]
	v_mul_hi_u32 v37, v38, v39
	v_mul_lo_u32 v39, v38, v39
	v_add_co_u32_e32 v30, vcc, v30, v39
	v_mul_hi_u32 v36, v38, v40
	s_nop 0
	v_addc_co_u32_e32 v30, vcc, v31, v37, vcc
	v_mov_b32_e32 v31, v6
	s_nop 0
	v_addc_co_u32_e32 v37, vcc, 0, v36, vcc
	v_mul_lo_u32 v36, v38, v40
	v_lshl_add_u64 v[30:31], v[30:31], 0, v[36:37]
	v_add_co_u32_e32 v7, vcc, v7, v30
	v_mul_lo_u32 v36, s0, v7
	s_nop 0
	v_addc_co_u32_e32 v38, vcc, v38, v31, vcc
	v_mul_lo_u32 v30, s0, v38
	v_mul_hi_u32 v31, s0, v7
	v_add_u32_e32 v30, v31, v30
	v_mul_lo_u32 v31, s1, v7
	v_add_u32_e32 v39, v30, v31
	v_mul_hi_u32 v41, v38, v36
	v_mul_lo_u32 v42, v38, v36
	v_mul_hi_u32 v31, v7, v39
	v_mul_lo_u32 v30, v7, v39
	v_mul_hi_u32 v36, v7, v36
	v_mov_b32_e32 v37, v6
	v_lshl_add_u64 v[30:31], v[36:37], 0, v[30:31]
	v_add_co_u32_e32 v30, vcc, v30, v42
	v_mul_hi_u32 v40, v38, v39
	s_nop 0
	v_addc_co_u32_e32 v30, vcc, v31, v41, vcc
	v_mul_lo_u32 v36, v38, v39
	s_nop 0
	v_addc_co_u32_e32 v37, vcc, 0, v40, vcc
	v_mov_b32_e32 v31, v6
	v_lshl_add_u64 v[30:31], v[30:31], 0, v[36:37]
	v_add_co_u32_e32 v7, vcc, v7, v30
	v_ashrrev_i32_e32 v30, 31, v29
	s_nop 0
	v_addc_co_u32_e32 v40, vcc, v38, v31, vcc
	v_mov_b32_e32 v31, v30
	v_lshl_add_u64 v[36:37], v[28:29], 0, v[30:31]
	v_xor_b32_e32 v31, v36, v30
	v_xor_b32_e32 v29, v37, v30
	v_mad_u64_u32 v[36:37], s[0:1], v31, v40, 0
	v_mul_hi_u32 v38, v31, v7
	v_mov_b32_e32 v39, v6
	v_lshl_add_u64 v[36:37], v[38:39], 0, v[36:37]
	v_mad_u64_u32 v[38:39], s[0:1], v29, v40, 0
	v_mad_u64_u32 v[40:41], s[0:1], v29, v7, 0
	v_add_co_u32_e32 v7, vcc, v36, v40
	s_nop 1
	v_addc_co_u32_e32 v36, vcc, v37, v41, vcc
	v_mov_b32_e32 v37, v6
	s_nop 0
	v_addc_co_u32_e32 v39, vcc, 0, v39, vcc
	v_lshl_add_u64 v[36:37], v[36:37], 0, v[38:39]
	v_mul_lo_u32 v7, s35, v36
	v_mul_lo_u32 v40, s34, v37
	v_mad_u64_u32 v[38:39], s[0:1], s34, v36, 0
	v_add3_u32 v7, v39, v40, v7
	v_sub_u32_e32 v39, v29, v7
	v_mov_b32_e32 v40, s35
	v_sub_co_u32_e32 v31, vcc, v31, v38
	s_nop 1
	v_subb_co_u32_e64 v38, s[0:1], v39, v40, vcc
	v_subrev_co_u32_e64 v39, s[0:1], s34, v31
	v_subb_co_u32_e32 v7, vcc, v29, v7, vcc
	s_nop 0
	v_subbrev_co_u32_e64 v38, s[0:1], 0, v38, s[0:1]
	v_cmp_le_u32_e64 s[0:1], s35, v38
	v_cmp_le_u32_e32 vcc, s35, v7
	s_nop 0
	v_cndmask_b32_e64 v40, 0, -1, s[0:1]
	v_cmp_le_u32_e64 s[0:1], s34, v39
	v_cndmask_b32_e64 v29, 0, -1, vcc
	v_cmp_le_u32_e32 vcc, s34, v31
	v_cndmask_b32_e64 v39, 0, -1, s[0:1]
	v_cmp_eq_u32_e64 s[0:1], s35, v38
	v_cndmask_b32_e64 v31, 0, -1, vcc
	v_cmp_eq_u32_e32 vcc, s35, v7
	v_cndmask_b32_e64 v42, v40, v39, s[0:1]
	v_lshl_add_u64 v[38:39], v[36:37], 0, 2
	v_lshl_add_u64 v[40:41], v[36:37], 0, 1
	v_cmp_ne_u32_e64 s[0:1], 0, v42
	v_cndmask_b32_e32 v7, v29, v31, vcc
	v_cmp_ne_u32_e32 vcc, 0, v7
	v_cndmask_b32_e64 v29, v40, v38, s[0:1]
	v_cndmask_b32_e64 v39, v41, v39, s[0:1]
	v_cndmask_b32_e32 v29, v36, v29, vcc
	v_xor_b32_e32 v31, s30, v30
	v_cndmask_b32_e32 v7, v37, v39, vcc
	v_xor_b32_e32 v29, v29, v31
	v_xor_b32_e32 v7, v7, v31
	v_sub_co_u32_e32 v30, vcc, v29, v31
	s_nop 1
	v_subb_co_u32_e32 v31, vcc, v7, v31, vcc
.LBB58_16:                              ;   in Loop: Header=BB58_14 Depth=2
	s_andn2_saveexec_b64 s[0:1], s[28:29]
	s_cbranch_execz .LBB58_18
; %bb.17:                               ;   in Loop: Header=BB58_14 Depth=2
	v_cvt_f32_u32_e32 v7, s12
	s_sub_i32 s28, 0, s12
	v_rcp_iflag_f32_e32 v7, v7
	s_nop 0
	v_mul_f32_e32 v7, 0x4f7ffffe, v7
	v_cvt_u32_f32_e32 v7, v7
	v_mul_lo_u32 v29, s28, v7
	v_mul_hi_u32 v29, v7, v29
	v_add_u32_e32 v7, v7, v29
	v_mul_hi_u32 v7, v28, v7
	v_mul_lo_u32 v29, v7, s12
	v_sub_u32_e32 v29, v28, v29
	v_add_u32_e32 v30, 1, v7
	v_subrev_u32_e32 v31, s12, v29
	v_cmp_le_u32_e32 vcc, s12, v29
	s_nop 1
	v_cndmask_b32_e32 v29, v29, v31, vcc
	v_cndmask_b32_e32 v7, v7, v30, vcc
	v_add_u32_e32 v30, 1, v7
	v_cmp_le_u32_e32 vcc, s12, v29
	v_mov_b32_e32 v31, v6
	s_nop 0
	v_cndmask_b32_e32 v30, v7, v30, vcc
.LBB58_18:                              ;   in Loop: Header=BB58_14 Depth=2
	s_or_b64 exec, exec, s[0:1]
	v_cmp_eq_u64_e32 vcc, v[30:31], v[22:23]
	v_cmp_ne_u64_e64 s[0:1], v[30:31], v[22:23]
	s_and_saveexec_b64 s[28:29], s[0:1]
	s_xor_b64 s[28:29], exec, s[28:29]
; %bb.19:                               ;   in Loop: Header=BB58_14 Depth=2
	v_cmp_lt_i64_e64 s[0:1], v[30:31], v[20:21]
                                        ; implicit-def: $vgpr28_vgpr29
                                        ; implicit-def: $vgpr27
	s_nop 1
	v_cndmask_b32_e64 v21, v21, v31, s[0:1]
	v_cndmask_b32_e64 v20, v20, v30, s[0:1]
; %bb.20:                               ;   in Loop: Header=BB58_14 Depth=2
	s_or_saveexec_b64 s[0:1], s[28:29]
	v_mov_b32_e32 v7, v24
	s_xor_b64 exec, exec, s[0:1]
	s_cbranch_execz .LBB58_13
; %bb.21:                               ;   in Loop: Header=BB58_14 Depth=2
	v_lshl_add_u64 v[30:31], v[24:25], 2, s[16:17]
	global_load_dword v7, v[30:31], off
	v_sub_u32_e32 v25, v28, v26
	v_add_lshl_u32 v25, v33, v25, 2
	ds_write_b8 v32, v1 offset:4096
	s_waitcnt vmcnt(0)
	ds_write_b32 v25, v7
	v_mov_b32_e32 v7, v27
	s_branch .LBB58_13
.LBB58_22:                              ;   in Loop: Header=BB58_11 Depth=1
	s_or_b64 exec, exec, s[26:27]
.LBB58_23:                              ;   in Loop: Header=BB58_11 Depth=1
	s_or_b64 exec, exec, s[24:25]
	v_mov_b32_dpp v22, v7 row_shr:1 row_mask:0xf bank_mask:0xf
	v_min_i32_e32 v7, v22, v7
	s_waitcnt lgkmcnt(0)
	ds_read_u8 v22, v32 offset:4096
	v_mov_b32_dpp v23, v7 row_shr:2 row_mask:0xf bank_mask:0xf
	v_min_i32_e32 v7, v23, v7
	ds_bpermute_b32 v26, v34, v7
	s_waitcnt lgkmcnt(1)
	v_and_b32_e32 v7, 1, v22
	v_cmp_eq_u32_e32 vcc, 1, v7
	v_mov_b32_e32 v7, 0
	s_and_saveexec_b64 s[24:25], vcc
	s_cbranch_execz .LBB58_10
; %bb.24:                               ;   in Loop: Header=BB58_11 Depth=1
	v_add_u32_e32 v22, s36, v5
	v_ashrrev_i32_e32 v5, 31, v4
	v_ashrrev_i32_e32 v23, 31, v22
	v_lshl_add_u64 v[24:25], v[4:5], 3, s[8:9]
	global_store_dwordx2 v[24:25], v[22:23], off
	v_mul_lo_u32 v7, s37, v4
	v_mul_lo_u32 v5, s38, v5
	v_mad_u64_u32 v[22:23], s[0:1], s38, v4, 0
	v_add3_u32 v23, v23, v5, v7
	v_lshlrev_b64 v[22:23], 2, v[22:23]
	v_lshl_add_u64 v[24:25], v[8:9], 0, v[22:23]
	v_lshl_add_u64 v[22:23], v[10:11], 0, v[22:23]
	s_and_saveexec_b64 s[0:1], s[20:21]
	s_cbranch_execz .LBB58_28
; %bb.25:                               ;   in Loop: Header=BB58_11 Depth=1
	s_and_b64 vcc, exec, s[18:19]
	s_cbranch_vccz .LBB58_39
; %bb.26:                               ;   in Loop: Header=BB58_11 Depth=1
	ds_read_b32 v5, v35
	v_lshl_add_u64 v[28:29], v[12:13], 2, v[24:25]
	s_waitcnt lgkmcnt(0)
	global_store_dword v[28:29], v5, off
	s_cbranch_execnz .LBB58_28
.LBB58_27:                              ;   in Loop: Header=BB58_11 Depth=1
	ds_read_b32 v5, v35
	v_lshlrev_b32_e32 v28, 2, v0
	v_mov_b32_e32 v29, v6
	v_lshl_add_u64 v[28:29], v[22:23], 0, v[28:29]
	s_waitcnt lgkmcnt(0)
	global_store_dword v[28:29], v5, off
.LBB58_28:                              ;   in Loop: Header=BB58_11 Depth=1
	s_or_b64 exec, exec, s[0:1]
	v_cndmask_b32_e64 v5, 0, 1, s[18:19]
	v_cmp_ne_u32_e64 s[0:1], 1, v5
	s_and_saveexec_b64 s[26:27], s[22:23]
	s_cbranch_execz .LBB58_32
; %bb.29:                               ;   in Loop: Header=BB58_11 Depth=1
	s_and_b64 vcc, exec, s[0:1]
	s_cbranch_vccnz .LBB58_40
; %bb.30:                               ;   in Loop: Header=BB58_11 Depth=1
	ds_read_b32 v5, v35 offset:16
	v_lshl_add_u64 v[28:29], v[14:15], 2, v[24:25]
	s_waitcnt lgkmcnt(0)
	global_store_dword v[28:29], v5, off
	s_cbranch_execnz .LBB58_32
.LBB58_31:                              ;   in Loop: Header=BB58_11 Depth=1
	ds_read_b32 v5, v35 offset:16
	v_lshlrev_b32_e32 v28, 2, v0
	v_mov_b32_e32 v29, v6
	v_lshl_add_u64 v[28:29], v[22:23], 0, v[28:29]
	s_waitcnt lgkmcnt(0)
	global_store_dword v[28:29], v5, off offset:16
.LBB58_32:                              ;   in Loop: Header=BB58_11 Depth=1
	s_or_b64 exec, exec, s[26:27]
	s_and_saveexec_b64 s[26:27], s[2:3]
	s_cbranch_execz .LBB58_36
; %bb.33:                               ;   in Loop: Header=BB58_11 Depth=1
	s_and_b64 vcc, exec, s[0:1]
	s_cbranch_vccnz .LBB58_41
; %bb.34:                               ;   in Loop: Header=BB58_11 Depth=1
	ds_read_b32 v5, v35 offset:32
	v_lshl_add_u64 v[28:29], v[16:17], 2, v[24:25]
	s_waitcnt lgkmcnt(0)
	global_store_dword v[28:29], v5, off
	s_cbranch_execnz .LBB58_36
.LBB58_35:                              ;   in Loop: Header=BB58_11 Depth=1
	ds_read_b32 v5, v35 offset:32
	v_lshlrev_b32_e32 v28, 2, v0
	v_mov_b32_e32 v29, v6
	v_lshl_add_u64 v[28:29], v[22:23], 0, v[28:29]
	s_waitcnt lgkmcnt(0)
	global_store_dword v[28:29], v5, off offset:32
.LBB58_36:                              ;   in Loop: Header=BB58_11 Depth=1
	s_or_b64 exec, exec, s[26:27]
	v_mov_b32_e32 v7, 1
	s_and_saveexec_b64 s[26:27], s[4:5]
	s_cbranch_execz .LBB58_9
; %bb.37:                               ;   in Loop: Header=BB58_11 Depth=1
	s_and_b64 vcc, exec, s[0:1]
	s_cbranch_vccnz .LBB58_42
; %bb.38:                               ;   in Loop: Header=BB58_11 Depth=1
	ds_read_b32 v5, v35 offset:48
	v_lshl_add_u64 v[24:25], v[18:19], 2, v[24:25]
	s_mov_b32 s28, 1
	s_waitcnt lgkmcnt(0)
	global_store_dword v[24:25], v5, off
	s_cbranch_execnz .LBB58_8
	s_branch .LBB58_43
.LBB58_39:                              ;   in Loop: Header=BB58_11 Depth=1
	s_branch .LBB58_27
.LBB58_40:                              ;   in Loop: Header=BB58_11 Depth=1
	s_branch .LBB58_31
.LBB58_41:                              ;   in Loop: Header=BB58_11 Depth=1
	s_branch .LBB58_35
.LBB58_42:                              ;   in Loop: Header=BB58_11 Depth=1
                                        ; implicit-def: $sgpr28
.LBB58_43:                              ;   in Loop: Header=BB58_11 Depth=1
	ds_read_b32 v5, v35 offset:48
	v_lshlrev_b32_e32 v24, 2, v0
	v_mov_b32_e32 v25, v6
	v_lshl_add_u64 v[22:23], v[22:23], 0, v[24:25]
	s_mov_b32 s28, 1
	s_waitcnt lgkmcnt(0)
	global_store_dword v[22:23], v5, off offset:48
	s_branch .LBB58_8
.LBB58_44:
	s_endpgm
	.section	.rodata,"a",@progbits
	.p2align	6, 0x0
	.amdhsa_kernel _ZN9rocsparseL42csr2bsr_wavefront_per_row_multipass_kernelILj256ELj64ELj16EfilEEv20rocsparse_direction_T4_S2_S2_S2_S2_21rocsparse_index_base_PKT2_PKT3_PKS2_S3_PS4_PS7_PS2_
		.amdhsa_group_segment_fixed_size 4100
		.amdhsa_private_segment_fixed_size 0
		.amdhsa_kernarg_size 112
		.amdhsa_user_sgpr_count 2
		.amdhsa_user_sgpr_dispatch_ptr 0
		.amdhsa_user_sgpr_queue_ptr 0
		.amdhsa_user_sgpr_kernarg_segment_ptr 1
		.amdhsa_user_sgpr_dispatch_id 0
		.amdhsa_user_sgpr_kernarg_preload_length 0
		.amdhsa_user_sgpr_kernarg_preload_offset 0
		.amdhsa_user_sgpr_private_segment_size 0
		.amdhsa_uses_dynamic_stack 0
		.amdhsa_enable_private_segment 0
		.amdhsa_system_sgpr_workgroup_id_x 1
		.amdhsa_system_sgpr_workgroup_id_y 0
		.amdhsa_system_sgpr_workgroup_id_z 0
		.amdhsa_system_sgpr_workgroup_info 0
		.amdhsa_system_vgpr_workitem_id 0
		.amdhsa_next_free_vgpr 43
		.amdhsa_next_free_sgpr 40
		.amdhsa_accum_offset 44
		.amdhsa_reserve_vcc 1
		.amdhsa_float_round_mode_32 0
		.amdhsa_float_round_mode_16_64 0
		.amdhsa_float_denorm_mode_32 3
		.amdhsa_float_denorm_mode_16_64 3
		.amdhsa_dx10_clamp 1
		.amdhsa_ieee_mode 1
		.amdhsa_fp16_overflow 0
		.amdhsa_tg_split 0
		.amdhsa_exception_fp_ieee_invalid_op 0
		.amdhsa_exception_fp_denorm_src 0
		.amdhsa_exception_fp_ieee_div_zero 0
		.amdhsa_exception_fp_ieee_overflow 0
		.amdhsa_exception_fp_ieee_underflow 0
		.amdhsa_exception_fp_ieee_inexact 0
		.amdhsa_exception_int_div_zero 0
	.end_amdhsa_kernel
	.section	.text._ZN9rocsparseL42csr2bsr_wavefront_per_row_multipass_kernelILj256ELj64ELj16EfilEEv20rocsparse_direction_T4_S2_S2_S2_S2_21rocsparse_index_base_PKT2_PKT3_PKS2_S3_PS4_PS7_PS2_,"axG",@progbits,_ZN9rocsparseL42csr2bsr_wavefront_per_row_multipass_kernelILj256ELj64ELj16EfilEEv20rocsparse_direction_T4_S2_S2_S2_S2_21rocsparse_index_base_PKT2_PKT3_PKS2_S3_PS4_PS7_PS2_,comdat
.Lfunc_end58:
	.size	_ZN9rocsparseL42csr2bsr_wavefront_per_row_multipass_kernelILj256ELj64ELj16EfilEEv20rocsparse_direction_T4_S2_S2_S2_S2_21rocsparse_index_base_PKT2_PKT3_PKS2_S3_PS4_PS7_PS2_, .Lfunc_end58-_ZN9rocsparseL42csr2bsr_wavefront_per_row_multipass_kernelILj256ELj64ELj16EfilEEv20rocsparse_direction_T4_S2_S2_S2_S2_21rocsparse_index_base_PKT2_PKT3_PKS2_S3_PS4_PS7_PS2_
                                        ; -- End function
	.section	.AMDGPU.csdata,"",@progbits
; Kernel info:
; codeLenInByte = 2632
; NumSgprs: 46
; NumVgprs: 43
; NumAgprs: 0
; TotalNumVgprs: 43
; ScratchSize: 0
; MemoryBound: 0
; FloatMode: 240
; IeeeMode: 1
; LDSByteSize: 4100 bytes/workgroup (compile time only)
; SGPRBlocks: 5
; VGPRBlocks: 5
; NumSGPRsForWavesPerEU: 46
; NumVGPRsForWavesPerEU: 43
; AccumOffset: 44
; Occupancy: 8
; WaveLimiterHint : 0
; COMPUTE_PGM_RSRC2:SCRATCH_EN: 0
; COMPUTE_PGM_RSRC2:USER_SGPR: 2
; COMPUTE_PGM_RSRC2:TRAP_HANDLER: 0
; COMPUTE_PGM_RSRC2:TGID_X_EN: 1
; COMPUTE_PGM_RSRC2:TGID_Y_EN: 0
; COMPUTE_PGM_RSRC2:TGID_Z_EN: 0
; COMPUTE_PGM_RSRC2:TIDIG_COMP_CNT: 0
; COMPUTE_PGM_RSRC3_GFX90A:ACCUM_OFFSET: 10
; COMPUTE_PGM_RSRC3_GFX90A:TG_SPLIT: 0
	.section	.text._ZN9rocsparseL42csr2bsr_wavefront_per_row_multipass_kernelILj256ELj32ELj16EfilEEv20rocsparse_direction_T4_S2_S2_S2_S2_21rocsparse_index_base_PKT2_PKT3_PKS2_S3_PS4_PS7_PS2_,"axG",@progbits,_ZN9rocsparseL42csr2bsr_wavefront_per_row_multipass_kernelILj256ELj32ELj16EfilEEv20rocsparse_direction_T4_S2_S2_S2_S2_21rocsparse_index_base_PKT2_PKT3_PKS2_S3_PS4_PS7_PS2_,comdat
	.globl	_ZN9rocsparseL42csr2bsr_wavefront_per_row_multipass_kernelILj256ELj32ELj16EfilEEv20rocsparse_direction_T4_S2_S2_S2_S2_21rocsparse_index_base_PKT2_PKT3_PKS2_S3_PS4_PS7_PS2_ ; -- Begin function _ZN9rocsparseL42csr2bsr_wavefront_per_row_multipass_kernelILj256ELj32ELj16EfilEEv20rocsparse_direction_T4_S2_S2_S2_S2_21rocsparse_index_base_PKT2_PKT3_PKS2_S3_PS4_PS7_PS2_
	.p2align	8
	.type	_ZN9rocsparseL42csr2bsr_wavefront_per_row_multipass_kernelILj256ELj32ELj16EfilEEv20rocsparse_direction_T4_S2_S2_S2_S2_21rocsparse_index_base_PKT2_PKT3_PKS2_S3_PS4_PS7_PS2_,@function
_ZN9rocsparseL42csr2bsr_wavefront_per_row_multipass_kernelILj256ELj32ELj16EfilEEv20rocsparse_direction_T4_S2_S2_S2_S2_21rocsparse_index_base_PKT2_PKT3_PKS2_S3_PS4_PS7_PS2_: ; @_ZN9rocsparseL42csr2bsr_wavefront_per_row_multipass_kernelILj256ELj32ELj16EfilEEv20rocsparse_direction_T4_S2_S2_S2_S2_21rocsparse_index_base_PKT2_PKT3_PKS2_S3_PS4_PS7_PS2_
; %bb.0:
	s_load_dwordx2 s[4:5], s[0:1], 0x8
	s_load_dwordx4 s[16:19], s[0:1], 0x18
	s_load_dwordx2 s[20:21], s[0:1], 0x28
	s_load_dword s33, s[0:1], 0x30
	s_load_dwordx2 s[6:7], s[0:1], 0x40
	s_ashr_i32 s3, s2, 31
	v_lshrrev_b32_e32 v40, 5, v0
	s_lshl_b64 s[8:9], s[2:3], 3
	v_bfe_u32 v2, v0, 1, 4
	v_mov_b32_e32 v3, 0
	v_or_b32_e32 v1, s8, v40
	s_waitcnt lgkmcnt(0)
	v_mul_lo_u32 v6, v1, s21
	v_mad_u64_u32 v[4:5], s[10:11], v1, s20, v[2:3]
	s_mul_i32 s3, s9, s20
	v_add3_u32 v5, s3, v5, v6
	v_cmp_gt_i64_e32 vcc, s[4:5], v[4:5]
	v_cmp_gt_i64_e64 s[4:5], s[20:21], v[2:3]
	s_and_b64 s[8:9], s[4:5], vcc
	v_mov_b32_e32 v34, v3
	s_and_saveexec_b64 s[10:11], s[8:9]
	s_cbranch_execz .LBB59_2
; %bb.1:
	v_lshl_add_u64 v[6:7], v[4:5], 2, s[6:7]
	global_load_dword v1, v[6:7], off
	s_waitcnt vmcnt(0)
	v_subrev_u32_e32 v34, s33, v1
.LBB59_2:
	s_or_b64 exec, exec, s[10:11]
	s_and_saveexec_b64 s[10:11], s[8:9]
	s_cbranch_execz .LBB59_4
; %bb.3:
	v_lshl_add_u64 v[4:5], v[4:5], 2, s[6:7]
	global_load_dword v1, v[4:5], off offset:4
	s_waitcnt vmcnt(0)
	v_subrev_u32_e32 v3, s33, v1
.LBB59_4:
	s_or_b64 exec, exec, s[10:11]
	s_load_dword s44, s[0:1], 0x50
	v_lshl_or_b32 v6, s2, 3, v40
	v_mov_b32_e32 v7, 0
	v_cmp_gt_i64_e32 vcc, s[16:17], v[6:7]
	v_mov_b32_e32 v4, v7
	s_and_saveexec_b64 s[2:3], vcc
	s_cbranch_execz .LBB59_6
; %bb.5:
	s_load_dwordx2 s[6:7], s[0:1], 0x60
	s_waitcnt lgkmcnt(0)
	v_lshl_add_u64 v[4:5], v[6:7], 2, s[6:7]
	global_load_dword v1, v[4:5], off
	s_waitcnt vmcnt(0)
	v_subrev_u32_e32 v4, s44, v1
.LBB59_6:
	s_or_b64 exec, exec, s[2:3]
	v_cmp_lt_i64_e64 s[2:3], s[18:19], 1
	s_and_b64 vcc, exec, s[2:3]
	s_cbranch_vccnz .LBB59_64
; %bb.7:
	s_mul_i32 s2, s20, s21
	s_mul_hi_u32 s3, s20, s20
	s_add_i32 s3, s3, s2
	s_load_dwordx2 s[16:17], s[0:1], 0x68
	s_add_i32 s45, s3, s2
	s_load_dwordx2 s[2:3], s[0:1], 0x58
	s_load_dwordx2 s[22:23], s[0:1], 0x48
	;; [unrolled: 1-line block ×3, first 2 shown]
	s_load_dword s6, s[0:1], 0x0
	v_mad_u64_u32 v[10:11], s[0:1], v2, s20, 0
	v_mov_b32_e32 v12, v11
	v_mov_b32_e32 v6, 0
	v_and_b32_e32 v0, 1, v0
	v_mad_u64_u32 v[12:13], s[0:1], v2, s21, v[12:13]
	v_lshlrev_b32_e32 v8, 2, v2
	v_mov_b32_e32 v9, v6
	v_mov_b32_e32 v11, v12
	v_or_b32_e32 v16, 2, v0
	s_waitcnt lgkmcnt(0)
	v_lshl_add_u64 v[8:9], s[2:3], 0, v[8:9]
	v_lshl_add_u64 v[10:11], v[10:11], 2, s[2:3]
	v_mad_u64_u32 v[14:15], s[2:3], v16, s20, 0
	v_mov_b32_e32 v17, v6
	v_mov_b32_e32 v18, v15
	v_cmp_gt_u64_e64 s[0:1], s[20:21], v[16:17]
	v_mad_u64_u32 v[16:17], s[2:3], v16, s21, v[18:19]
	v_or_b32_e32 v18, 4, v0
	s_cmp_lg_u32 s6, 0
	v_mov_b32_e32 v15, v16
	v_mad_u64_u32 v[16:17], s[6:7], v18, s20, 0
	v_mov_b32_e32 v19, v6
	v_mov_b32_e32 v20, v17
	v_cmp_gt_u64_e64 s[2:3], s[20:21], v[18:19]
	v_mad_u64_u32 v[18:19], s[6:7], v18, s21, v[20:21]
	v_or_b32_e32 v20, 6, v0
	v_mov_b32_e32 v17, v18
	v_mad_u64_u32 v[18:19], s[8:9], v20, s20, 0
	v_mov_b32_e32 v21, v6
	v_mov_b32_e32 v22, v19
	v_cmp_gt_u64_e64 s[6:7], s[20:21], v[20:21]
	v_mad_u64_u32 v[20:21], s[8:9], v20, s21, v[22:23]
	v_or_b32_e32 v22, 8, v0
	;; [unrolled: 7-line block ×3, first 2 shown]
	v_mov_b32_e32 v21, v22
	v_mad_u64_u32 v[22:23], s[12:13], v24, s20, 0
	v_mov_b32_e32 v25, v6
	v_mov_b32_e32 v26, v23
	v_lshlrev_b32_e32 v1, 8, v40
	v_cmp_gt_u64_e64 s[10:11], s[20:21], v[24:25]
	v_mad_u64_u32 v[24:25], s[12:13], v24, s21, v[26:27]
	v_or_b32_e32 v26, 12, v0
	v_lshl_or_b32 v41, v2, 4, v1
	v_mbcnt_lo_u32_b32 v1, -1, 0
	v_mov_b32_e32 v23, v24
	v_mad_u64_u32 v[24:25], s[14:15], v26, s20, 0
	v_mbcnt_hi_u32_b32 v1, -1, v1
	v_mov_b32_e32 v27, v6
	v_mov_b32_e32 v28, v25
	v_lshlrev_b32_e32 v1, 2, v1
	v_cmp_gt_u64_e64 s[12:13], s[20:21], v[26:27]
	v_mad_u64_u32 v[26:27], s[14:15], v26, s21, v[28:29]
	v_or_b32_e32 v28, 14, v0
	v_or_b32_e32 v42, 4, v1
	;; [unrolled: 1-line block ×4, first 2 shown]
	v_mov_b32_e32 v25, v26
	v_mad_u64_u32 v[26:27], s[28:29], v28, s20, 0
	v_lshlrev_b32_e32 v43, 2, v1
	v_mov_b32_e32 v1, v6
	v_mov_b32_e32 v29, v6
	;; [unrolled: 1-line block ×3, first 2 shown]
	v_cmp_gt_u64_e32 vcc, s[20:21], v[0:1]
	v_cmp_gt_u64_e64 s[14:15], s[20:21], v[28:29]
	v_mad_u64_u32 v[28:29], s[28:29], v28, s21, v[30:31]
	s_mul_i32 s46, s20, s20
	s_mov_b32 s47, 0
	s_cselect_b64 s[26:27], -1, 0
	v_mul_lo_u32 v13, v0, s21
	v_mul_lo_u32 v12, v0, s20
	v_mov_b32_e32 v27, v28
	s_and_b64 s[28:29], s[4:5], vcc
	s_and_b64 s[30:31], s[4:5], s[0:1]
	s_and_b64 s[2:3], s[4:5], s[2:3]
	;; [unrolled: 1-line block ×7, first 2 shown]
	s_mov_b64 s[14:15], 0
	v_mov_b64_e32 v[30:31], 0
	v_mov_b32_e32 v1, 1
	v_mov_b32_e32 v5, 0
	s_branch .LBB59_11
.LBB59_8:                               ;   in Loop: Header=BB59_11 Depth=1
	v_mov_b32_e32 v7, s38
.LBB59_9:                               ;   in Loop: Header=BB59_11 Depth=1
	s_or_b64 exec, exec, s[36:37]
.LBB59_10:                              ;   in Loop: Header=BB59_11 Depth=1
	s_or_b64 exec, exec, s[34:35]
	v_mov_b32_dpp v30, v28 row_shr:1 row_mask:0xf bank_mask:0xf
	v_mov_b32_dpp v31, v29 row_shr:1 row_mask:0xf bank_mask:0xf
	v_cmp_lt_i64_e32 vcc, v[30:31], v[28:29]
	v_add_u32_e32 v4, v7, v4
	s_waitcnt lgkmcnt(0)
	v_cndmask_b32_e32 v29, v29, v31, vcc
	v_cndmask_b32_e32 v28, v28, v30, vcc
	s_nop 0
	v_mov_b32_dpp v31, v29 row_shr:2 row_mask:0xf bank_mask:0xf
	v_mov_b32_dpp v30, v28 row_shr:2 row_mask:0xf bank_mask:0xf
	v_cmp_lt_i64_e32 vcc, v[30:31], v[28:29]
	s_nop 1
	v_cndmask_b32_e32 v29, v29, v31, vcc
	v_cndmask_b32_e32 v28, v28, v30, vcc
	s_nop 0
	v_mov_b32_dpp v31, v29 row_shr:4 row_mask:0xf bank_mask:0xe
	v_mov_b32_dpp v30, v28 row_shr:4 row_mask:0xf bank_mask:0xe
	v_cmp_lt_i64_e32 vcc, v[30:31], v[28:29]
	s_nop 1
	;; [unrolled: 7-line block ×3, first 2 shown]
	v_cndmask_b32_e32 v29, v29, v31, vcc
	v_cndmask_b32_e32 v28, v28, v30, vcc
	s_nop 0
	v_mov_b32_dpp v31, v29 row_bcast:15 row_mask:0xa bank_mask:0xf
	v_mov_b32_dpp v30, v28 row_bcast:15 row_mask:0xa bank_mask:0xf
	v_cmp_lt_i64_e32 vcc, v[30:31], v[28:29]
	s_nop 1
	v_cndmask_b32_e32 v5, v28, v30, vcc
	ds_bpermute_b32 v30, v2, v5
	s_waitcnt lgkmcnt(0)
	v_ashrrev_i32_e32 v31, 31, v30
	v_cmp_le_i64_e32 vcc, s[18:19], v[30:31]
	s_or_b64 s[14:15], vcc, s[14:15]
	v_mov_b32_e32 v5, v30
	s_andn2_b64 exec, exec, s[14:15]
	s_cbranch_execz .LBB59_64
.LBB59_11:                              ; =>This Loop Header: Depth=1
                                        ;     Child Loop BB59_14 Depth 2
	v_add_u32_e32 v32, v34, v0
	v_cmp_lt_i32_e32 vcc, v32, v3
	v_mov_b64_e32 v[28:29], s[18:19]
	v_mov_b32_e32 v7, v3
	ds_write_b8 v40, v6 offset:8192
	ds_write2_b32 v43, v6, v6 offset1:2
	ds_write2_b32 v43, v6, v6 offset0:4 offset1:6
	ds_write2_b32 v43, v6, v6 offset0:8 offset1:10
	;; [unrolled: 1-line block ×3, first 2 shown]
	s_waitcnt lgkmcnt(0)
	s_and_saveexec_b64 s[34:35], vcc
	s_cbranch_execz .LBB59_23
; %bb.12:                               ;   in Loop: Header=BB59_11 Depth=1
	v_mad_u64_u32 v[34:35], s[0:1], v30, s20, 0
	s_mov_b64 s[36:37], 0
	v_mov_b64_e32 v[28:29], s[18:19]
	v_mov_b32_e32 v35, v3
	s_branch .LBB59_14
.LBB59_13:                              ;   in Loop: Header=BB59_14 Depth=2
	s_or_b64 exec, exec, s[0:1]
	v_add_u32_e32 v32, 2, v32
	v_cmp_ge_i32_e64 s[0:1], v32, v3
	s_xor_b64 s[38:39], vcc, -1
	s_or_b64 s[0:1], s[38:39], s[0:1]
	s_and_b64 s[0:1], exec, s[0:1]
	s_or_b64 s[36:37], s[0:1], s[36:37]
	v_mov_b32_e32 v35, v7
	s_andn2_b64 exec, exec, s[36:37]
	s_cbranch_execz .LBB59_22
.LBB59_14:                              ;   Parent Loop BB59_11 Depth=1
                                        ; =>  This Inner Loop Header: Depth=2
	v_ashrrev_i32_e32 v33, 31, v32
	v_lshl_add_u64 v[36:37], v[32:33], 3, s[22:23]
	global_load_dwordx2 v[36:37], v[36:37], off
	v_mov_b32_e32 v7, s47
                                        ; implicit-def: $vgpr38_vgpr39
	s_waitcnt vmcnt(0)
	v_subrev_co_u32_e32 v36, vcc, s33, v36
	s_nop 1
	v_subb_co_u32_e32 v37, vcc, v37, v7, vcc
	v_or_b32_e32 v7, s21, v37
	v_cmp_ne_u64_e32 vcc, 0, v[6:7]
	s_and_saveexec_b64 s[0:1], vcc
	s_xor_b64 s[38:39], exec, s[0:1]
	s_cbranch_execz .LBB59_16
; %bb.15:                               ;   in Loop: Header=BB59_14 Depth=2
	s_ashr_i32 s40, s21, 31
	s_add_u32 s0, s20, s40
	s_mov_b32 s41, s40
	s_addc_u32 s1, s21, s40
	s_xor_b64 s[42:43], s[0:1], s[40:41]
	v_cvt_f32_u32_e32 v7, s42
	v_cvt_f32_u32_e32 v38, s43
	s_sub_u32 s0, 0, s42
	s_subb_u32 s1, 0, s43
	v_mov_b32_e32 v45, v6
	v_fmac_f32_e32 v7, 0x4f800000, v38
	v_rcp_f32_e32 v7, v7
	s_nop 0
	v_mul_f32_e32 v7, 0x5f7ffffc, v7
	v_mul_f32_e32 v38, 0x2f800000, v7
	v_trunc_f32_e32 v38, v38
	v_fmac_f32_e32 v7, 0xcf800000, v38
	v_cvt_u32_f32_e32 v46, v38
	v_cvt_u32_f32_e32 v7, v7
	v_mul_lo_u32 v38, s0, v46
	v_mul_hi_u32 v44, s0, v7
	v_mul_lo_u32 v39, s1, v7
	v_add_u32_e32 v38, v44, v38
	v_mul_lo_u32 v47, s0, v7
	v_add_u32_e32 v48, v38, v39
	v_mul_hi_u32 v39, v7, v48
	v_mul_lo_u32 v38, v7, v48
	v_mul_hi_u32 v44, v7, v47
	v_lshl_add_u64 v[38:39], v[44:45], 0, v[38:39]
	v_mul_hi_u32 v45, v46, v47
	v_mul_lo_u32 v47, v46, v47
	v_add_co_u32_e32 v38, vcc, v38, v47
	v_mul_hi_u32 v44, v46, v48
	s_nop 0
	v_addc_co_u32_e32 v38, vcc, v39, v45, vcc
	v_mov_b32_e32 v39, v6
	s_nop 0
	v_addc_co_u32_e32 v45, vcc, 0, v44, vcc
	v_mul_lo_u32 v44, v46, v48
	v_lshl_add_u64 v[38:39], v[38:39], 0, v[44:45]
	v_add_co_u32_e32 v7, vcc, v7, v38
	v_mul_lo_u32 v44, s0, v7
	s_nop 0
	v_addc_co_u32_e32 v46, vcc, v46, v39, vcc
	v_mul_lo_u32 v38, s0, v46
	v_mul_hi_u32 v39, s0, v7
	v_add_u32_e32 v38, v39, v38
	v_mul_lo_u32 v39, s1, v7
	v_add_u32_e32 v47, v38, v39
	v_mul_hi_u32 v49, v46, v44
	v_mul_lo_u32 v50, v46, v44
	v_mul_hi_u32 v39, v7, v47
	v_mul_lo_u32 v38, v7, v47
	v_mul_hi_u32 v44, v7, v44
	v_mov_b32_e32 v45, v6
	v_lshl_add_u64 v[38:39], v[44:45], 0, v[38:39]
	v_add_co_u32_e32 v38, vcc, v38, v50
	v_mul_hi_u32 v48, v46, v47
	s_nop 0
	v_addc_co_u32_e32 v38, vcc, v39, v49, vcc
	v_mul_lo_u32 v44, v46, v47
	s_nop 0
	v_addc_co_u32_e32 v45, vcc, 0, v48, vcc
	v_mov_b32_e32 v39, v6
	v_lshl_add_u64 v[38:39], v[38:39], 0, v[44:45]
	v_add_co_u32_e32 v7, vcc, v7, v38
	v_ashrrev_i32_e32 v38, 31, v37
	s_nop 0
	v_addc_co_u32_e32 v48, vcc, v46, v39, vcc
	v_mov_b32_e32 v39, v38
	v_lshl_add_u64 v[44:45], v[36:37], 0, v[38:39]
	v_xor_b32_e32 v39, v44, v38
	v_xor_b32_e32 v37, v45, v38
	v_mad_u64_u32 v[44:45], s[0:1], v39, v48, 0
	v_mul_hi_u32 v46, v39, v7
	v_mov_b32_e32 v47, v6
	v_lshl_add_u64 v[44:45], v[46:47], 0, v[44:45]
	v_mad_u64_u32 v[46:47], s[0:1], v37, v48, 0
	v_mad_u64_u32 v[48:49], s[0:1], v37, v7, 0
	v_add_co_u32_e32 v7, vcc, v44, v48
	s_nop 1
	v_addc_co_u32_e32 v44, vcc, v45, v49, vcc
	v_mov_b32_e32 v45, v6
	s_nop 0
	v_addc_co_u32_e32 v47, vcc, 0, v47, vcc
	v_lshl_add_u64 v[44:45], v[44:45], 0, v[46:47]
	v_mul_lo_u32 v7, s43, v44
	v_mul_lo_u32 v48, s42, v45
	v_mad_u64_u32 v[46:47], s[0:1], s42, v44, 0
	v_add3_u32 v7, v47, v48, v7
	v_sub_u32_e32 v47, v37, v7
	v_mov_b32_e32 v48, s43
	v_sub_co_u32_e32 v39, vcc, v39, v46
	s_nop 1
	v_subb_co_u32_e64 v46, s[0:1], v47, v48, vcc
	v_subrev_co_u32_e64 v47, s[0:1], s42, v39
	v_subb_co_u32_e32 v7, vcc, v37, v7, vcc
	s_nop 0
	v_subbrev_co_u32_e64 v46, s[0:1], 0, v46, s[0:1]
	v_cmp_le_u32_e64 s[0:1], s43, v46
	v_cmp_le_u32_e32 vcc, s43, v7
	s_nop 0
	v_cndmask_b32_e64 v48, 0, -1, s[0:1]
	v_cmp_le_u32_e64 s[0:1], s42, v47
	v_cndmask_b32_e64 v37, 0, -1, vcc
	v_cmp_le_u32_e32 vcc, s42, v39
	v_cndmask_b32_e64 v47, 0, -1, s[0:1]
	v_cmp_eq_u32_e64 s[0:1], s43, v46
	v_cndmask_b32_e64 v39, 0, -1, vcc
	v_cmp_eq_u32_e32 vcc, s43, v7
	v_cndmask_b32_e64 v50, v48, v47, s[0:1]
	v_lshl_add_u64 v[46:47], v[44:45], 0, 2
	v_lshl_add_u64 v[48:49], v[44:45], 0, 1
	v_cmp_ne_u32_e64 s[0:1], 0, v50
	v_cndmask_b32_e32 v7, v37, v39, vcc
	v_cmp_ne_u32_e32 vcc, 0, v7
	v_cndmask_b32_e64 v37, v48, v46, s[0:1]
	v_cndmask_b32_e64 v47, v49, v47, s[0:1]
	v_cndmask_b32_e32 v37, v44, v37, vcc
	v_xor_b32_e32 v39, s40, v38
	v_cndmask_b32_e32 v7, v45, v47, vcc
	v_xor_b32_e32 v37, v37, v39
	v_xor_b32_e32 v7, v7, v39
	v_sub_co_u32_e32 v38, vcc, v37, v39
	s_nop 1
	v_subb_co_u32_e32 v39, vcc, v7, v39, vcc
.LBB59_16:                              ;   in Loop: Header=BB59_14 Depth=2
	s_andn2_saveexec_b64 s[0:1], s[38:39]
	s_cbranch_execz .LBB59_18
; %bb.17:                               ;   in Loop: Header=BB59_14 Depth=2
	v_cvt_f32_u32_e32 v7, s20
	s_sub_i32 s38, 0, s20
	v_rcp_iflag_f32_e32 v7, v7
	s_nop 0
	v_mul_f32_e32 v7, 0x4f7ffffe, v7
	v_cvt_u32_f32_e32 v7, v7
	v_mul_lo_u32 v37, s38, v7
	v_mul_hi_u32 v37, v7, v37
	v_add_u32_e32 v7, v7, v37
	v_mul_hi_u32 v7, v36, v7
	v_mul_lo_u32 v37, v7, s20
	v_sub_u32_e32 v37, v36, v37
	v_add_u32_e32 v38, 1, v7
	v_subrev_u32_e32 v39, s20, v37
	v_cmp_le_u32_e32 vcc, s20, v37
	s_nop 1
	v_cndmask_b32_e32 v37, v37, v39, vcc
	v_cndmask_b32_e32 v7, v7, v38, vcc
	v_add_u32_e32 v38, 1, v7
	v_cmp_le_u32_e32 vcc, s20, v37
	v_mov_b32_e32 v39, v6
	s_nop 0
	v_cndmask_b32_e32 v38, v7, v38, vcc
.LBB59_18:                              ;   in Loop: Header=BB59_14 Depth=2
	s_or_b64 exec, exec, s[0:1]
	v_cmp_eq_u64_e32 vcc, v[38:39], v[30:31]
	v_cmp_ne_u64_e64 s[0:1], v[38:39], v[30:31]
	s_and_saveexec_b64 s[38:39], s[0:1]
	s_xor_b64 s[38:39], exec, s[38:39]
; %bb.19:                               ;   in Loop: Header=BB59_14 Depth=2
	v_cmp_lt_i64_e64 s[0:1], v[38:39], v[28:29]
                                        ; implicit-def: $vgpr36_vgpr37
                                        ; implicit-def: $vgpr35
	s_nop 1
	v_cndmask_b32_e64 v29, v29, v39, s[0:1]
	v_cndmask_b32_e64 v28, v28, v38, s[0:1]
; %bb.20:                               ;   in Loop: Header=BB59_14 Depth=2
	s_or_saveexec_b64 s[0:1], s[38:39]
	v_mov_b32_e32 v7, v32
	s_xor_b64 exec, exec, s[0:1]
	s_cbranch_execz .LBB59_13
; %bb.21:                               ;   in Loop: Header=BB59_14 Depth=2
	v_lshl_add_u64 v[38:39], v[32:33], 2, s[24:25]
	global_load_dword v7, v[38:39], off
	v_sub_u32_e32 v33, v36, v34
	v_add_lshl_u32 v33, v41, v33, 2
	ds_write_b8 v40, v1 offset:8192
	s_waitcnt vmcnt(0)
	ds_write_b32 v33, v7
	v_mov_b32_e32 v7, v35
	s_branch .LBB59_13
.LBB59_22:                              ;   in Loop: Header=BB59_11 Depth=1
	s_or_b64 exec, exec, s[36:37]
.LBB59_23:                              ;   in Loop: Header=BB59_11 Depth=1
	s_or_b64 exec, exec, s[34:35]
	s_waitcnt lgkmcnt(0)
	ds_read_u8 v30, v40 offset:8192
	v_mov_b32_dpp v31, v7 row_shr:1 row_mask:0xf bank_mask:0xf
	v_min_i32_e32 v7, v31, v7
	ds_bpermute_b32 v34, v42, v7
	s_waitcnt lgkmcnt(1)
	v_and_b32_e32 v7, 1, v30
	v_cmp_eq_u32_e32 vcc, 1, v7
	v_mov_b32_e32 v7, 0
	s_and_saveexec_b64 s[34:35], vcc
	s_cbranch_execz .LBB59_10
; %bb.24:                               ;   in Loop: Header=BB59_11 Depth=1
	v_add_u32_e32 v30, s44, v5
	v_ashrrev_i32_e32 v5, 31, v4
	v_ashrrev_i32_e32 v31, 31, v30
	v_lshl_add_u64 v[32:33], v[4:5], 3, s[16:17]
	global_store_dwordx2 v[32:33], v[30:31], off
	v_mul_lo_u32 v7, s45, v4
	v_mul_lo_u32 v5, s46, v5
	v_mad_u64_u32 v[30:31], s[0:1], s46, v4, 0
	v_add3_u32 v31, v31, v5, v7
	v_lshlrev_b64 v[30:31], 2, v[30:31]
	v_lshl_add_u64 v[32:33], v[8:9], 0, v[30:31]
	v_lshl_add_u64 v[30:31], v[10:11], 0, v[30:31]
	s_and_saveexec_b64 s[0:1], s[28:29]
	s_cbranch_execz .LBB59_28
; %bb.25:                               ;   in Loop: Header=BB59_11 Depth=1
	s_and_b64 vcc, exec, s[26:27]
	s_cbranch_vccz .LBB59_55
; %bb.26:                               ;   in Loop: Header=BB59_11 Depth=1
	ds_read_b32 v5, v43
	v_lshl_add_u64 v[36:37], v[12:13], 2, v[32:33]
	s_waitcnt lgkmcnt(0)
	global_store_dword v[36:37], v5, off
	s_cbranch_execnz .LBB59_28
.LBB59_27:                              ;   in Loop: Header=BB59_11 Depth=1
	ds_read_b32 v5, v43
	v_lshlrev_b32_e32 v36, 2, v0
	v_mov_b32_e32 v37, v6
	v_lshl_add_u64 v[36:37], v[30:31], 0, v[36:37]
	s_waitcnt lgkmcnt(0)
	global_store_dword v[36:37], v5, off
.LBB59_28:                              ;   in Loop: Header=BB59_11 Depth=1
	s_or_b64 exec, exec, s[0:1]
	v_cndmask_b32_e64 v5, 0, 1, s[26:27]
	v_cmp_ne_u32_e64 s[0:1], 1, v5
	s_and_saveexec_b64 s[36:37], s[30:31]
	s_cbranch_execz .LBB59_32
; %bb.29:                               ;   in Loop: Header=BB59_11 Depth=1
	s_and_b64 vcc, exec, s[0:1]
	s_cbranch_vccnz .LBB59_56
; %bb.30:                               ;   in Loop: Header=BB59_11 Depth=1
	ds_read_b32 v5, v43 offset:8
	v_lshl_add_u64 v[36:37], v[14:15], 2, v[32:33]
	s_waitcnt lgkmcnt(0)
	global_store_dword v[36:37], v5, off
	s_cbranch_execnz .LBB59_32
.LBB59_31:                              ;   in Loop: Header=BB59_11 Depth=1
	ds_read_b32 v5, v43 offset:8
	v_lshlrev_b32_e32 v36, 2, v0
	v_mov_b32_e32 v37, v6
	v_lshl_add_u64 v[36:37], v[30:31], 0, v[36:37]
	s_waitcnt lgkmcnt(0)
	global_store_dword v[36:37], v5, off offset:8
.LBB59_32:                              ;   in Loop: Header=BB59_11 Depth=1
	s_or_b64 exec, exec, s[36:37]
	s_and_saveexec_b64 s[36:37], s[2:3]
	s_cbranch_execz .LBB59_36
; %bb.33:                               ;   in Loop: Header=BB59_11 Depth=1
	s_and_b64 vcc, exec, s[0:1]
	s_cbranch_vccnz .LBB59_57
; %bb.34:                               ;   in Loop: Header=BB59_11 Depth=1
	ds_read_b32 v5, v43 offset:16
	v_lshl_add_u64 v[36:37], v[16:17], 2, v[32:33]
	s_waitcnt lgkmcnt(0)
	global_store_dword v[36:37], v5, off
	s_cbranch_execnz .LBB59_36
.LBB59_35:                              ;   in Loop: Header=BB59_11 Depth=1
	ds_read_b32 v5, v43 offset:16
	v_lshlrev_b32_e32 v36, 2, v0
	v_mov_b32_e32 v37, v6
	v_lshl_add_u64 v[36:37], v[30:31], 0, v[36:37]
	s_waitcnt lgkmcnt(0)
	global_store_dword v[36:37], v5, off offset:16
.LBB59_36:                              ;   in Loop: Header=BB59_11 Depth=1
	s_or_b64 exec, exec, s[36:37]
	s_and_saveexec_b64 s[36:37], s[6:7]
	s_cbranch_execz .LBB59_40
; %bb.37:                               ;   in Loop: Header=BB59_11 Depth=1
	s_and_b64 vcc, exec, s[0:1]
	s_cbranch_vccnz .LBB59_58
; %bb.38:                               ;   in Loop: Header=BB59_11 Depth=1
	ds_read_b32 v5, v43 offset:24
	v_lshl_add_u64 v[36:37], v[18:19], 2, v[32:33]
	s_waitcnt lgkmcnt(0)
	global_store_dword v[36:37], v5, off
	s_cbranch_execnz .LBB59_40
.LBB59_39:                              ;   in Loop: Header=BB59_11 Depth=1
	ds_read_b32 v5, v43 offset:24
	v_lshlrev_b32_e32 v36, 2, v0
	v_mov_b32_e32 v37, v6
	v_lshl_add_u64 v[36:37], v[30:31], 0, v[36:37]
	s_waitcnt lgkmcnt(0)
	global_store_dword v[36:37], v5, off offset:24
.LBB59_40:                              ;   in Loop: Header=BB59_11 Depth=1
	s_or_b64 exec, exec, s[36:37]
	s_and_saveexec_b64 s[36:37], s[8:9]
	s_cbranch_execz .LBB59_44
; %bb.41:                               ;   in Loop: Header=BB59_11 Depth=1
	s_and_b64 vcc, exec, s[0:1]
	s_cbranch_vccnz .LBB59_59
; %bb.42:                               ;   in Loop: Header=BB59_11 Depth=1
	ds_read_b32 v5, v43 offset:32
	v_lshl_add_u64 v[36:37], v[20:21], 2, v[32:33]
	s_waitcnt lgkmcnt(0)
	global_store_dword v[36:37], v5, off
	s_cbranch_execnz .LBB59_44
.LBB59_43:                              ;   in Loop: Header=BB59_11 Depth=1
	ds_read_b32 v5, v43 offset:32
	v_lshlrev_b32_e32 v36, 2, v0
	v_mov_b32_e32 v37, v6
	v_lshl_add_u64 v[36:37], v[30:31], 0, v[36:37]
	s_waitcnt lgkmcnt(0)
	global_store_dword v[36:37], v5, off offset:32
.LBB59_44:                              ;   in Loop: Header=BB59_11 Depth=1
	s_or_b64 exec, exec, s[36:37]
	s_and_saveexec_b64 s[36:37], s[10:11]
	s_cbranch_execz .LBB59_48
; %bb.45:                               ;   in Loop: Header=BB59_11 Depth=1
	s_and_b64 vcc, exec, s[0:1]
	s_cbranch_vccnz .LBB59_60
; %bb.46:                               ;   in Loop: Header=BB59_11 Depth=1
	ds_read_b32 v5, v43 offset:40
	v_lshl_add_u64 v[36:37], v[22:23], 2, v[32:33]
	s_waitcnt lgkmcnt(0)
	global_store_dword v[36:37], v5, off
	s_cbranch_execnz .LBB59_48
.LBB59_47:                              ;   in Loop: Header=BB59_11 Depth=1
	ds_read_b32 v5, v43 offset:40
	v_lshlrev_b32_e32 v36, 2, v0
	v_mov_b32_e32 v37, v6
	v_lshl_add_u64 v[36:37], v[30:31], 0, v[36:37]
	s_waitcnt lgkmcnt(0)
	global_store_dword v[36:37], v5, off offset:40
.LBB59_48:                              ;   in Loop: Header=BB59_11 Depth=1
	s_or_b64 exec, exec, s[36:37]
	s_and_saveexec_b64 s[36:37], s[12:13]
	s_cbranch_execz .LBB59_52
; %bb.49:                               ;   in Loop: Header=BB59_11 Depth=1
	s_and_b64 vcc, exec, s[0:1]
	s_cbranch_vccnz .LBB59_61
; %bb.50:                               ;   in Loop: Header=BB59_11 Depth=1
	ds_read_b32 v5, v43 offset:48
	v_lshl_add_u64 v[36:37], v[24:25], 2, v[32:33]
	s_waitcnt lgkmcnt(0)
	global_store_dword v[36:37], v5, off
	s_cbranch_execnz .LBB59_52
.LBB59_51:                              ;   in Loop: Header=BB59_11 Depth=1
	ds_read_b32 v5, v43 offset:48
	v_lshlrev_b32_e32 v36, 2, v0
	v_mov_b32_e32 v37, v6
	v_lshl_add_u64 v[36:37], v[30:31], 0, v[36:37]
	s_waitcnt lgkmcnt(0)
	global_store_dword v[36:37], v5, off offset:48
.LBB59_52:                              ;   in Loop: Header=BB59_11 Depth=1
	s_or_b64 exec, exec, s[36:37]
	v_mov_b32_e32 v7, 1
	s_and_saveexec_b64 s[36:37], s[4:5]
	s_cbranch_execz .LBB59_9
; %bb.53:                               ;   in Loop: Header=BB59_11 Depth=1
	s_and_b64 vcc, exec, s[0:1]
	s_cbranch_vccnz .LBB59_62
; %bb.54:                               ;   in Loop: Header=BB59_11 Depth=1
	ds_read_b32 v5, v43 offset:56
	v_lshl_add_u64 v[32:33], v[26:27], 2, v[32:33]
	s_mov_b32 s38, 1
	s_waitcnt lgkmcnt(0)
	global_store_dword v[32:33], v5, off
	s_cbranch_execnz .LBB59_8
	s_branch .LBB59_63
.LBB59_55:                              ;   in Loop: Header=BB59_11 Depth=1
	s_branch .LBB59_27
.LBB59_56:                              ;   in Loop: Header=BB59_11 Depth=1
	s_branch .LBB59_31
.LBB59_57:                              ;   in Loop: Header=BB59_11 Depth=1
	s_branch .LBB59_35
.LBB59_58:                              ;   in Loop: Header=BB59_11 Depth=1
	s_branch .LBB59_39
.LBB59_59:                              ;   in Loop: Header=BB59_11 Depth=1
	s_branch .LBB59_43
.LBB59_60:                              ;   in Loop: Header=BB59_11 Depth=1
	s_branch .LBB59_47
.LBB59_61:                              ;   in Loop: Header=BB59_11 Depth=1
	s_branch .LBB59_51
.LBB59_62:                              ;   in Loop: Header=BB59_11 Depth=1
                                        ; implicit-def: $sgpr38
.LBB59_63:                              ;   in Loop: Header=BB59_11 Depth=1
	ds_read_b32 v5, v43 offset:56
	v_lshlrev_b32_e32 v32, 2, v0
	v_mov_b32_e32 v33, v6
	v_lshl_add_u64 v[30:31], v[30:31], 0, v[32:33]
	s_mov_b32 s38, 1
	s_waitcnt lgkmcnt(0)
	global_store_dword v[30:31], v5, off offset:56
	s_branch .LBB59_8
.LBB59_64:
	s_endpgm
	.section	.rodata,"a",@progbits
	.p2align	6, 0x0
	.amdhsa_kernel _ZN9rocsparseL42csr2bsr_wavefront_per_row_multipass_kernelILj256ELj32ELj16EfilEEv20rocsparse_direction_T4_S2_S2_S2_S2_21rocsparse_index_base_PKT2_PKT3_PKS2_S3_PS4_PS7_PS2_
		.amdhsa_group_segment_fixed_size 8200
		.amdhsa_private_segment_fixed_size 0
		.amdhsa_kernarg_size 112
		.amdhsa_user_sgpr_count 2
		.amdhsa_user_sgpr_dispatch_ptr 0
		.amdhsa_user_sgpr_queue_ptr 0
		.amdhsa_user_sgpr_kernarg_segment_ptr 1
		.amdhsa_user_sgpr_dispatch_id 0
		.amdhsa_user_sgpr_kernarg_preload_length 0
		.amdhsa_user_sgpr_kernarg_preload_offset 0
		.amdhsa_user_sgpr_private_segment_size 0
		.amdhsa_uses_dynamic_stack 0
		.amdhsa_enable_private_segment 0
		.amdhsa_system_sgpr_workgroup_id_x 1
		.amdhsa_system_sgpr_workgroup_id_y 0
		.amdhsa_system_sgpr_workgroup_id_z 0
		.amdhsa_system_sgpr_workgroup_info 0
		.amdhsa_system_vgpr_workitem_id 0
		.amdhsa_next_free_vgpr 51
		.amdhsa_next_free_sgpr 48
		.amdhsa_accum_offset 52
		.amdhsa_reserve_vcc 1
		.amdhsa_float_round_mode_32 0
		.amdhsa_float_round_mode_16_64 0
		.amdhsa_float_denorm_mode_32 3
		.amdhsa_float_denorm_mode_16_64 3
		.amdhsa_dx10_clamp 1
		.amdhsa_ieee_mode 1
		.amdhsa_fp16_overflow 0
		.amdhsa_tg_split 0
		.amdhsa_exception_fp_ieee_invalid_op 0
		.amdhsa_exception_fp_denorm_src 0
		.amdhsa_exception_fp_ieee_div_zero 0
		.amdhsa_exception_fp_ieee_overflow 0
		.amdhsa_exception_fp_ieee_underflow 0
		.amdhsa_exception_fp_ieee_inexact 0
		.amdhsa_exception_int_div_zero 0
	.end_amdhsa_kernel
	.section	.text._ZN9rocsparseL42csr2bsr_wavefront_per_row_multipass_kernelILj256ELj32ELj16EfilEEv20rocsparse_direction_T4_S2_S2_S2_S2_21rocsparse_index_base_PKT2_PKT3_PKS2_S3_PS4_PS7_PS2_,"axG",@progbits,_ZN9rocsparseL42csr2bsr_wavefront_per_row_multipass_kernelILj256ELj32ELj16EfilEEv20rocsparse_direction_T4_S2_S2_S2_S2_21rocsparse_index_base_PKT2_PKT3_PKS2_S3_PS4_PS7_PS2_,comdat
.Lfunc_end59:
	.size	_ZN9rocsparseL42csr2bsr_wavefront_per_row_multipass_kernelILj256ELj32ELj16EfilEEv20rocsparse_direction_T4_S2_S2_S2_S2_21rocsparse_index_base_PKT2_PKT3_PKS2_S3_PS4_PS7_PS2_, .Lfunc_end59-_ZN9rocsparseL42csr2bsr_wavefront_per_row_multipass_kernelILj256ELj32ELj16EfilEEv20rocsparse_direction_T4_S2_S2_S2_S2_21rocsparse_index_base_PKT2_PKT3_PKS2_S3_PS4_PS7_PS2_
                                        ; -- End function
	.section	.AMDGPU.csdata,"",@progbits
; Kernel info:
; codeLenInByte = 3136
; NumSgprs: 54
; NumVgprs: 51
; NumAgprs: 0
; TotalNumVgprs: 51
; ScratchSize: 0
; MemoryBound: 0
; FloatMode: 240
; IeeeMode: 1
; LDSByteSize: 8200 bytes/workgroup (compile time only)
; SGPRBlocks: 6
; VGPRBlocks: 6
; NumSGPRsForWavesPerEU: 54
; NumVGPRsForWavesPerEU: 51
; AccumOffset: 52
; Occupancy: 7
; WaveLimiterHint : 0
; COMPUTE_PGM_RSRC2:SCRATCH_EN: 0
; COMPUTE_PGM_RSRC2:USER_SGPR: 2
; COMPUTE_PGM_RSRC2:TRAP_HANDLER: 0
; COMPUTE_PGM_RSRC2:TGID_X_EN: 1
; COMPUTE_PGM_RSRC2:TGID_Y_EN: 0
; COMPUTE_PGM_RSRC2:TGID_Z_EN: 0
; COMPUTE_PGM_RSRC2:TIDIG_COMP_CNT: 0
; COMPUTE_PGM_RSRC3_GFX90A:ACCUM_OFFSET: 12
; COMPUTE_PGM_RSRC3_GFX90A:TG_SPLIT: 0
	.section	.text._ZN9rocsparseL38csr2bsr_block_per_row_multipass_kernelILj256ELj32EfilEEv20rocsparse_direction_T3_S2_S2_S2_S2_21rocsparse_index_base_PKT1_PKT2_PKS2_S3_PS4_PS7_PS2_,"axG",@progbits,_ZN9rocsparseL38csr2bsr_block_per_row_multipass_kernelILj256ELj32EfilEEv20rocsparse_direction_T3_S2_S2_S2_S2_21rocsparse_index_base_PKT1_PKT2_PKS2_S3_PS4_PS7_PS2_,comdat
	.globl	_ZN9rocsparseL38csr2bsr_block_per_row_multipass_kernelILj256ELj32EfilEEv20rocsparse_direction_T3_S2_S2_S2_S2_21rocsparse_index_base_PKT1_PKT2_PKS2_S3_PS4_PS7_PS2_ ; -- Begin function _ZN9rocsparseL38csr2bsr_block_per_row_multipass_kernelILj256ELj32EfilEEv20rocsparse_direction_T3_S2_S2_S2_S2_21rocsparse_index_base_PKT1_PKT2_PKS2_S3_PS4_PS7_PS2_
	.p2align	8
	.type	_ZN9rocsparseL38csr2bsr_block_per_row_multipass_kernelILj256ELj32EfilEEv20rocsparse_direction_T3_S2_S2_S2_S2_21rocsparse_index_base_PKT1_PKT2_PKS2_S3_PS4_PS7_PS2_,@function
_ZN9rocsparseL38csr2bsr_block_per_row_multipass_kernelILj256ELj32EfilEEv20rocsparse_direction_T3_S2_S2_S2_S2_21rocsparse_index_base_PKT1_PKT2_PKS2_S3_PS4_PS7_PS2_: ; @_ZN9rocsparseL38csr2bsr_block_per_row_multipass_kernelILj256ELj32EfilEEv20rocsparse_direction_T3_S2_S2_S2_S2_21rocsparse_index_base_PKT1_PKT2_PKS2_S3_PS4_PS7_PS2_
; %bb.0:
	s_load_dwordx2 s[6:7], s[0:1], 0x8
	s_load_dwordx4 s[20:23], s[0:1], 0x20
	s_load_dword s33, s[0:1], 0x30
	s_load_dwordx2 s[4:5], s[0:1], 0x40
	s_ashr_i32 s3, s2, 31
	v_lshrrev_b32_e32 v2, 3, v0
	v_mov_b32_e32 v3, 0
	s_waitcnt lgkmcnt(0)
	s_mul_i32 s8, s2, s23
	s_mul_i32 s9, s3, s22
	v_mov_b32_e32 v1, s22
	s_add_i32 s10, s8, s9
	v_mad_u64_u32 v[4:5], s[8:9], s2, v1, v[2:3]
	v_add_u32_e32 v5, s10, v5
	v_cmp_gt_i64_e32 vcc, s[6:7], v[4:5]
	v_cmp_gt_i64_e64 s[18:19], s[22:23], v[2:3]
	s_and_b64 s[6:7], s[18:19], vcc
	v_mov_b32_e32 v24, v3
	s_and_saveexec_b64 s[8:9], s[6:7]
	s_cbranch_execnz .LBB60_3
; %bb.1:
	s_or_b64 exec, exec, s[8:9]
	s_and_saveexec_b64 s[8:9], s[6:7]
	s_cbranch_execnz .LBB60_4
.LBB60_2:
	s_or_b64 exec, exec, s[8:9]
	v_cmp_lt_i64_e64 s[4:5], s[20:21], 1
	s_and_b64 vcc, exec, s[4:5]
	s_cbranch_vccz .LBB60_5
	s_branch .LBB60_45
.LBB60_3:
	v_lshl_add_u64 v[6:7], v[4:5], 2, s[4:5]
	global_load_dword v1, v[6:7], off
	s_waitcnt vmcnt(0)
	v_subrev_u32_e32 v24, s33, v1
	s_or_b64 exec, exec, s[8:9]
	s_and_saveexec_b64 s[8:9], s[6:7]
	s_cbranch_execz .LBB60_2
.LBB60_4:
	v_lshl_add_u64 v[4:5], v[4:5], 2, s[4:5]
	global_load_dword v1, v[4:5], off offset:4
	s_waitcnt vmcnt(0)
	v_subrev_u32_e32 v3, s33, v1
	s_or_b64 exec, exec, s[8:9]
	v_cmp_lt_i64_e64 s[4:5], s[20:21], 1
	s_and_b64 vcc, exec, s[4:5]
	s_cbranch_vccnz .LBB60_45
.LBB60_5:
	s_load_dwordx2 s[24:25], s[0:1], 0x68
	s_load_dwordx4 s[4:7], s[0:1], 0x58
	s_mul_i32 s8, s22, s23
	s_mul_hi_u32 s9, s22, s22
	s_add_i32 s9, s9, s8
	s_add_i32 s56, s9, s8
	s_lshl_b64 s[2:3], s[2:3], 2
	s_waitcnt lgkmcnt(0)
	s_add_u32 s2, s6, s2
	s_load_dword s59, s[0:1], 0x50
	s_addc_u32 s3, s7, s3
	s_load_dword s6, s[2:3], 0x0
	s_load_dwordx2 s[26:27], s[0:1], 0x48
	s_load_dwordx2 s[28:29], s[0:1], 0x38
	s_load_dword s7, s[0:1], 0x0
	v_mad_u64_u32 v[10:11], s[2:3], v2, s22, 0
	v_mov_b32_e32 v12, v11
	v_mov_b32_e32 v4, 0
	v_mad_u64_u32 v[12:13], s[2:3], v2, s23, v[12:13]
	v_lshlrev_b32_e32 v6, 2, v2
	v_mov_b32_e32 v7, v4
	v_and_b32_e32 v8, 7, v0
	s_waitcnt lgkmcnt(0)
	s_sub_i32 s30, s6, s59
	v_lshlrev_b32_e32 v28, 5, v2
	v_mbcnt_lo_u32_b32 v1, -1, 0
	v_mov_b32_e32 v11, v12
	s_movk_i32 s2, 0x80
	v_lshl_add_u64 v[6:7], s[4:5], 0, v[6:7]
	v_mbcnt_hi_u32_b32 v1, -1, v1
	s_cmp_eq_u32 s7, 0
	v_lshl_add_u64 v[10:11], v[10:11], 2, s[4:5]
	v_lshlrev_b32_e32 v2, 3, v0
	v_cmp_gt_u32_e64 s[2:3], s2, v0
	v_cmp_gt_u32_e64 s[4:5], 64, v0
	;; [unrolled: 1-line block ×7, first 2 shown]
	v_cmp_eq_u32_e64 s[16:17], 0, v0
	v_or_b32_e32 v0, v28, v8
	v_lshl_or_b32 v29, v1, 2, 28
	v_lshlrev_b32_e32 v12, 2, v8
	v_mov_b32_e32 v13, v4
	v_lshlrev_b32_e32 v30, 2, v0
	v_mad_u64_u32 v[0:1], s[36:37], v8, s22, 0
	v_lshl_add_u64 v[10:11], v[10:11], 0, v[12:13]
	v_mov_b32_e32 v12, v1
	v_mad_u64_u32 v[12:13], s[36:37], v8, s23, v[12:13]
	v_or_b32_e32 v14, 8, v8
	v_mov_b32_e32 v9, v4
	v_mov_b32_e32 v1, v12
	v_mad_u64_u32 v[12:13], s[38:39], v14, s22, 0
	v_cmp_gt_i64_e32 vcc, s[22:23], v[8:9]
	v_mov_b32_e32 v15, v4
	v_mov_b32_e32 v16, v13
	s_cselect_b64 s[0:1], -1, 0
	s_and_b64 s[34:35], s[18:19], vcc
	v_cmp_gt_i64_e32 vcc, s[22:23], v[14:15]
	v_mad_u64_u32 v[14:15], s[38:39], v14, s23, v[16:17]
	v_or_b32_e32 v16, 16, v8
	v_mov_b32_e32 v13, v14
	v_mad_u64_u32 v[14:15], s[40:41], v16, s22, 0
	v_mov_b32_e32 v17, v4
	v_mov_b32_e32 v18, v15
	s_and_b64 s[36:37], s[18:19], vcc
	v_cmp_gt_i64_e32 vcc, s[22:23], v[16:17]
	v_mad_u64_u32 v[16:17], s[40:41], v16, s23, v[18:19]
	v_or_b32_e32 v18, 24, v8
	v_mov_b32_e32 v19, v4
	s_and_b64 s[38:39], s[18:19], vcc
	v_cmp_gt_i64_e32 vcc, s[22:23], v[18:19]
	v_mov_b32_e32 v15, v16
	s_and_b64 s[40:41], s[18:19], vcc
	v_mad_u64_u32 v[16:17], s[18:19], v18, s22, 0
	v_mov_b32_e32 v20, v17
	v_mad_u64_u32 v[18:19], s[18:19], v18, s23, v[20:21]
	s_mul_i32 s57, s22, s22
	s_mov_b32 s58, 0
	v_mov_b32_e32 v17, v18
	s_mov_b64 s[44:45], 0
	s_mov_b64 s[42:43], 0x60
	v_mov_b32_e32 v9, 1
	v_mov_b32_e32 v20, 0
	s_branch .LBB60_7
.LBB60_6:                               ;   in Loop: Header=BB60_7 Depth=1
	s_or_b64 exec, exec, s[18:19]
	s_waitcnt lgkmcnt(0)
	s_barrier
	ds_read_b64 v[20:21], v4
	v_mov_b64_e32 v[18:19], s[20:21]
	s_add_i32 s30, s31, s30
	s_waitcnt lgkmcnt(0)
	s_barrier
	v_readfirstlane_b32 s18, v20
	v_readfirstlane_b32 s19, v21
	s_bfe_i64 s[44:45], s[18:19], 0x200000
	v_cmp_lt_i64_e32 vcc, s[44:45], v[18:19]
	s_cbranch_vccz .LBB60_45
.LBB60_7:                               ; =>This Loop Header: Depth=1
                                        ;     Child Loop BB60_10 Depth 2
	v_add_u32_e32 v22, v24, v8
	v_cmp_lt_i32_e32 vcc, v22, v3
	v_mov_b64_e32 v[18:19], s[20:21]
	v_mov_b32_e32 v5, v3
	ds_write_b8 v4, v4 offset:4096
	ds_write2_b32 v30, v4, v4 offset1:8
	ds_write2_b32 v30, v4, v4 offset0:16 offset1:24
	s_waitcnt lgkmcnt(0)
	s_barrier
	s_and_saveexec_b64 s[46:47], vcc
	s_cbranch_execz .LBB60_19
; %bb.8:                                ;   in Loop: Header=BB60_7 Depth=1
	s_mul_i32 s31, s44, s22
	s_mov_b64 s[48:49], 0
	v_mov_b64_e32 v[18:19], s[20:21]
	v_mov_b32_e32 v21, v3
	s_branch .LBB60_10
.LBB60_9:                               ;   in Loop: Header=BB60_10 Depth=2
	s_or_b64 exec, exec, s[18:19]
	v_add_u32_e32 v22, 8, v22
	v_cmp_ge_i32_e64 s[18:19], v22, v3
	s_xor_b64 s[50:51], vcc, -1
	s_or_b64 s[18:19], s[50:51], s[18:19]
	s_and_b64 s[18:19], exec, s[18:19]
	s_or_b64 s[48:49], s[18:19], s[48:49]
	v_mov_b32_e32 v21, v5
	s_andn2_b64 exec, exec, s[48:49]
	s_cbranch_execz .LBB60_18
.LBB60_10:                              ;   Parent Loop BB60_7 Depth=1
                                        ; =>  This Inner Loop Header: Depth=2
	v_ashrrev_i32_e32 v23, 31, v22
	v_lshl_add_u64 v[24:25], v[22:23], 3, s[26:27]
	global_load_dwordx2 v[24:25], v[24:25], off
	v_mov_b32_e32 v5, s58
                                        ; implicit-def: $vgpr26_vgpr27
	s_waitcnt vmcnt(0)
	v_subrev_co_u32_e32 v24, vcc, s33, v24
	s_nop 1
	v_subb_co_u32_e32 v25, vcc, v25, v5, vcc
	v_or_b32_e32 v5, s23, v25
	v_cmp_ne_u64_e32 vcc, 0, v[4:5]
	s_and_saveexec_b64 s[18:19], vcc
	s_xor_b64 s[50:51], exec, s[18:19]
	s_cbranch_execz .LBB60_12
; %bb.11:                               ;   in Loop: Header=BB60_10 Depth=2
	s_ashr_i32 s52, s23, 31
	s_add_u32 s18, s22, s52
	s_mov_b32 s53, s52
	s_addc_u32 s19, s23, s52
	s_xor_b64 s[54:55], s[18:19], s[52:53]
	v_cvt_f32_u32_e32 v5, s54
	v_cvt_f32_u32_e32 v26, s55
	s_sub_u32 s18, 0, s54
	s_subb_u32 s19, 0, s55
	v_mov_b32_e32 v33, v4
	v_fmac_f32_e32 v5, 0x4f800000, v26
	v_rcp_f32_e32 v5, v5
	s_nop 0
	v_mul_f32_e32 v5, 0x5f7ffffc, v5
	v_mul_f32_e32 v26, 0x2f800000, v5
	v_trunc_f32_e32 v26, v26
	v_fmac_f32_e32 v5, 0xcf800000, v26
	v_cvt_u32_f32_e32 v31, v26
	v_cvt_u32_f32_e32 v5, v5
	v_mul_lo_u32 v26, s18, v31
	v_mul_hi_u32 v32, s18, v5
	v_mul_lo_u32 v27, s19, v5
	v_add_u32_e32 v26, v32, v26
	v_mul_lo_u32 v34, s18, v5
	v_add_u32_e32 v35, v26, v27
	v_mul_hi_u32 v27, v5, v35
	v_mul_lo_u32 v26, v5, v35
	v_mul_hi_u32 v32, v5, v34
	v_lshl_add_u64 v[26:27], v[32:33], 0, v[26:27]
	v_mul_hi_u32 v33, v31, v34
	v_mul_lo_u32 v34, v31, v34
	v_add_co_u32_e32 v26, vcc, v26, v34
	v_mul_hi_u32 v32, v31, v35
	s_nop 0
	v_addc_co_u32_e32 v26, vcc, v27, v33, vcc
	v_mov_b32_e32 v27, v4
	s_nop 0
	v_addc_co_u32_e32 v33, vcc, 0, v32, vcc
	v_mul_lo_u32 v32, v31, v35
	v_lshl_add_u64 v[26:27], v[26:27], 0, v[32:33]
	v_add_co_u32_e32 v5, vcc, v5, v26
	v_mul_lo_u32 v32, s18, v5
	s_nop 0
	v_addc_co_u32_e32 v31, vcc, v31, v27, vcc
	v_mul_lo_u32 v26, s18, v31
	v_mul_hi_u32 v27, s18, v5
	v_add_u32_e32 v26, v27, v26
	v_mul_lo_u32 v27, s19, v5
	v_add_u32_e32 v34, v26, v27
	v_mul_hi_u32 v36, v31, v32
	v_mul_lo_u32 v37, v31, v32
	v_mul_hi_u32 v27, v5, v34
	v_mul_lo_u32 v26, v5, v34
	v_mul_hi_u32 v32, v5, v32
	v_mov_b32_e32 v33, v4
	v_lshl_add_u64 v[26:27], v[32:33], 0, v[26:27]
	v_add_co_u32_e32 v26, vcc, v26, v37
	v_mul_hi_u32 v35, v31, v34
	s_nop 0
	v_addc_co_u32_e32 v26, vcc, v27, v36, vcc
	v_mul_lo_u32 v32, v31, v34
	s_nop 0
	v_addc_co_u32_e32 v33, vcc, 0, v35, vcc
	v_mov_b32_e32 v27, v4
	v_lshl_add_u64 v[26:27], v[26:27], 0, v[32:33]
	v_add_co_u32_e32 v5, vcc, v5, v26
	v_ashrrev_i32_e32 v26, 31, v25
	s_nop 0
	v_addc_co_u32_e32 v31, vcc, v31, v27, vcc
	v_mov_b32_e32 v27, v26
	v_lshl_add_u64 v[32:33], v[24:25], 0, v[26:27]
	v_xor_b32_e32 v27, v32, v26
	v_xor_b32_e32 v25, v33, v26
	v_mad_u64_u32 v[32:33], s[18:19], v27, v31, 0
	v_mul_hi_u32 v34, v27, v5
	v_mov_b32_e32 v35, v4
	v_lshl_add_u64 v[32:33], v[34:35], 0, v[32:33]
	v_mad_u64_u32 v[36:37], s[18:19], v25, v5, 0
	v_add_co_u32_e32 v5, vcc, v32, v36
	v_mad_u64_u32 v[34:35], s[18:19], v25, v31, 0
	s_nop 0
	v_addc_co_u32_e32 v32, vcc, v33, v37, vcc
	v_mov_b32_e32 v33, v4
	s_nop 0
	v_addc_co_u32_e32 v35, vcc, 0, v35, vcc
	v_lshl_add_u64 v[32:33], v[32:33], 0, v[34:35]
	v_mul_lo_u32 v5, s55, v32
	v_mul_lo_u32 v31, s54, v33
	v_mad_u64_u32 v[34:35], s[18:19], s54, v32, 0
	v_add3_u32 v5, v35, v31, v5
	v_sub_u32_e32 v31, v25, v5
	v_mov_b32_e32 v35, s55
	v_sub_co_u32_e32 v27, vcc, v27, v34
	v_lshl_add_u64 v[36:37], v[32:33], 0, 1
	s_nop 0
	v_subb_co_u32_e64 v31, s[18:19], v31, v35, vcc
	v_subrev_co_u32_e64 v34, s[18:19], s54, v27
	v_subb_co_u32_e32 v5, vcc, v25, v5, vcc
	s_nop 0
	v_subbrev_co_u32_e64 v31, s[18:19], 0, v31, s[18:19]
	v_cmp_le_u32_e64 s[18:19], s55, v31
	v_cmp_le_u32_e32 vcc, s55, v5
	s_nop 0
	v_cndmask_b32_e64 v35, 0, -1, s[18:19]
	v_cmp_le_u32_e64 s[18:19], s54, v34
	v_cndmask_b32_e64 v25, 0, -1, vcc
	v_cmp_le_u32_e32 vcc, s54, v27
	v_cndmask_b32_e64 v34, 0, -1, s[18:19]
	v_cmp_eq_u32_e64 s[18:19], s55, v31
	v_cndmask_b32_e64 v27, 0, -1, vcc
	v_cmp_eq_u32_e32 vcc, s55, v5
	v_cndmask_b32_e64 v31, v35, v34, s[18:19]
	v_lshl_add_u64 v[34:35], v[32:33], 0, 2
	v_cmp_ne_u32_e64 s[18:19], 0, v31
	v_cndmask_b32_e32 v5, v25, v27, vcc
	v_cmp_ne_u32_e32 vcc, 0, v5
	v_cndmask_b32_e64 v25, v36, v34, s[18:19]
	v_cndmask_b32_e64 v31, v37, v35, s[18:19]
	v_cndmask_b32_e32 v25, v32, v25, vcc
	v_xor_b32_e32 v27, s52, v26
	v_cndmask_b32_e32 v5, v33, v31, vcc
	v_xor_b32_e32 v25, v25, v27
	v_xor_b32_e32 v5, v5, v27
	v_sub_co_u32_e32 v26, vcc, v25, v27
	s_nop 1
	v_subb_co_u32_e32 v27, vcc, v5, v27, vcc
.LBB60_12:                              ;   in Loop: Header=BB60_10 Depth=2
	s_andn2_saveexec_b64 s[18:19], s[50:51]
	s_cbranch_execz .LBB60_14
; %bb.13:                               ;   in Loop: Header=BB60_10 Depth=2
	v_cvt_f32_u32_e32 v5, s22
	s_sub_i32 s50, 0, s22
	v_rcp_iflag_f32_e32 v5, v5
	s_nop 0
	v_mul_f32_e32 v5, 0x4f7ffffe, v5
	v_cvt_u32_f32_e32 v5, v5
	v_mul_lo_u32 v25, s50, v5
	v_mul_hi_u32 v25, v5, v25
	v_add_u32_e32 v5, v5, v25
	v_mul_hi_u32 v5, v24, v5
	v_mul_lo_u32 v25, v5, s22
	v_sub_u32_e32 v25, v24, v25
	v_add_u32_e32 v26, 1, v5
	v_subrev_u32_e32 v27, s22, v25
	v_cmp_le_u32_e32 vcc, s22, v25
	s_nop 1
	v_cndmask_b32_e32 v25, v25, v27, vcc
	v_cndmask_b32_e32 v5, v5, v26, vcc
	v_add_u32_e32 v26, 1, v5
	v_cmp_le_u32_e32 vcc, s22, v25
	v_mov_b32_e32 v27, v4
	s_nop 0
	v_cndmask_b32_e32 v26, v5, v26, vcc
.LBB60_14:                              ;   in Loop: Header=BB60_10 Depth=2
	s_or_b64 exec, exec, s[18:19]
	v_cmp_eq_u64_e32 vcc, s[44:45], v[26:27]
	v_cmp_ne_u64_e64 s[18:19], s[44:45], v[26:27]
	s_and_saveexec_b64 s[50:51], s[18:19]
	s_xor_b64 s[50:51], exec, s[50:51]
; %bb.15:                               ;   in Loop: Header=BB60_10 Depth=2
	v_cmp_lt_i64_e64 s[18:19], v[26:27], v[18:19]
                                        ; implicit-def: $vgpr24_vgpr25
                                        ; implicit-def: $vgpr21
	s_nop 1
	v_cndmask_b32_e64 v19, v19, v27, s[18:19]
	v_cndmask_b32_e64 v18, v18, v26, s[18:19]
; %bb.16:                               ;   in Loop: Header=BB60_10 Depth=2
	s_or_saveexec_b64 s[18:19], s[50:51]
	v_mov_b32_e32 v5, v22
	s_xor_b64 exec, exec, s[18:19]
	s_cbranch_execz .LBB60_9
; %bb.17:                               ;   in Loop: Header=BB60_10 Depth=2
	v_lshl_add_u64 v[26:27], v[22:23], 2, s[28:29]
	global_load_dword v5, v[26:27], off
	v_subrev_u32_e32 v23, s31, v24
	v_add_lshl_u32 v23, v28, v23, 2
	ds_write_b8 v4, v9 offset:4096
	s_waitcnt vmcnt(0)
	ds_write_b32 v23, v5
	v_mov_b32_e32 v5, v21
	s_branch .LBB60_9
.LBB60_18:                              ;   in Loop: Header=BB60_7 Depth=1
	s_or_b64 exec, exec, s[48:49]
.LBB60_19:                              ;   in Loop: Header=BB60_7 Depth=1
	s_or_b64 exec, exec, s[46:47]
	v_mov_b32_dpp v21, v5 row_shr:1 row_mask:0xf bank_mask:0xf
	v_min_i32_e32 v5, v21, v5
	s_waitcnt lgkmcnt(0)
	s_barrier
	v_mov_b32_dpp v21, v5 row_shr:2 row_mask:0xf bank_mask:0xf
	v_min_i32_e32 v5, v21, v5
	ds_read_u8 v21, v4 offset:4096
	s_nop 0
	v_mov_b32_dpp v22, v5 row_shr:4 row_mask:0xf bank_mask:0xe
	v_min_i32_e32 v5, v22, v5
	ds_bpermute_b32 v24, v29, v5
	s_mov_b32 s31, 0
	s_waitcnt lgkmcnt(1)
	v_cmp_eq_u32_e32 vcc, 0, v21
	s_cbranch_vccnz .LBB60_26
; %bb.20:                               ;   in Loop: Header=BB60_7 Depth=1
	s_ashr_i32 s31, s30, 31
	s_lshl_b64 s[18:19], s[30:31], 3
	v_add_u32_e32 v20, s59, v20
	s_add_u32 s18, s24, s18
	v_ashrrev_i32_e32 v21, 31, v20
	s_addc_u32 s19, s25, s19
	global_store_dwordx2 v4, v[20:21], s[18:19]
	s_mul_hi_u32 s18, s57, s30
	s_mul_i32 s19, s57, s31
	s_add_i32 s18, s18, s19
	s_mul_i32 s19, s56, s30
	s_add_i32 s19, s18, s19
	s_mul_i32 s18, s57, s30
	s_lshl_b64 s[18:19], s[18:19], 2
	v_lshl_add_u64 v[20:21], v[6:7], 0, s[18:19]
	v_lshl_add_u64 v[22:23], v[10:11], 0, s[18:19]
	s_and_saveexec_b64 s[18:19], s[34:35]
	s_cbranch_execnz .LBB60_42
; %bb.21:                               ;   in Loop: Header=BB60_7 Depth=1
	s_or_b64 exec, exec, s[18:19]
	s_and_saveexec_b64 s[18:19], s[36:37]
	s_cbranch_execnz .LBB60_43
.LBB60_22:                              ;   in Loop: Header=BB60_7 Depth=1
	s_or_b64 exec, exec, s[18:19]
	s_and_saveexec_b64 s[18:19], s[38:39]
	s_cbranch_execnz .LBB60_44
.LBB60_23:                              ;   in Loop: Header=BB60_7 Depth=1
	s_or_b64 exec, exec, s[18:19]
	s_and_saveexec_b64 s[18:19], s[40:41]
	s_cbranch_execz .LBB60_25
.LBB60_24:                              ;   in Loop: Header=BB60_7 Depth=1
	ds_read_b32 v5, v30 offset:96
	v_lshl_add_u64 v[22:23], v[22:23], 0, s[42:43]
	v_lshl_add_u64 v[20:21], v[16:17], 2, v[20:21]
	v_cndmask_b32_e64 v21, v21, v23, s[0:1]
	v_cndmask_b32_e64 v20, v20, v22, s[0:1]
	s_waitcnt lgkmcnt(0)
	global_store_dword v[20:21], v5, off
.LBB60_25:                              ;   in Loop: Header=BB60_7 Depth=1
	s_or_b64 exec, exec, s[18:19]
	s_mov_b32 s31, 1
.LBB60_26:                              ;   in Loop: Header=BB60_7 Depth=1
	s_waitcnt lgkmcnt(0)
	s_barrier
	ds_write_b64 v2, v[18:19]
	s_waitcnt lgkmcnt(0)
	s_barrier
	s_and_saveexec_b64 s[18:19], s[2:3]
	s_cbranch_execz .LBB60_28
; %bb.27:                               ;   in Loop: Header=BB60_7 Depth=1
	ds_read2st64_b64 v[18:21], v2 offset1:2
	s_waitcnt lgkmcnt(0)
	v_cmp_lt_i64_e32 vcc, v[20:21], v[18:19]
	s_nop 1
	v_cndmask_b32_e32 v19, v19, v21, vcc
	v_cndmask_b32_e32 v18, v18, v20, vcc
	ds_write_b64 v2, v[18:19]
.LBB60_28:                              ;   in Loop: Header=BB60_7 Depth=1
	s_or_b64 exec, exec, s[18:19]
	s_waitcnt lgkmcnt(0)
	s_barrier
	s_and_saveexec_b64 s[18:19], s[4:5]
	s_cbranch_execz .LBB60_30
; %bb.29:                               ;   in Loop: Header=BB60_7 Depth=1
	ds_read2st64_b64 v[18:21], v2 offset1:1
	s_waitcnt lgkmcnt(0)
	v_cmp_lt_i64_e32 vcc, v[20:21], v[18:19]
	s_nop 1
	v_cndmask_b32_e32 v19, v19, v21, vcc
	v_cndmask_b32_e32 v18, v18, v20, vcc
	ds_write_b64 v2, v[18:19]
.LBB60_30:                              ;   in Loop: Header=BB60_7 Depth=1
	s_or_b64 exec, exec, s[18:19]
	s_waitcnt lgkmcnt(0)
	s_barrier
	s_and_saveexec_b64 s[18:19], s[6:7]
	s_cbranch_execz .LBB60_32
; %bb.31:                               ;   in Loop: Header=BB60_7 Depth=1
	ds_read2_b64 v[18:21], v2 offset1:32
	s_waitcnt lgkmcnt(0)
	v_cmp_lt_i64_e32 vcc, v[20:21], v[18:19]
	s_nop 1
	v_cndmask_b32_e32 v19, v19, v21, vcc
	v_cndmask_b32_e32 v18, v18, v20, vcc
	ds_write_b64 v2, v[18:19]
.LBB60_32:                              ;   in Loop: Header=BB60_7 Depth=1
	s_or_b64 exec, exec, s[18:19]
	s_waitcnt lgkmcnt(0)
	s_barrier
	s_and_saveexec_b64 s[18:19], s[8:9]
	s_cbranch_execz .LBB60_34
; %bb.33:                               ;   in Loop: Header=BB60_7 Depth=1
	ds_read2_b64 v[18:21], v2 offset1:16
	s_waitcnt lgkmcnt(0)
	v_cmp_lt_i64_e32 vcc, v[20:21], v[18:19]
	s_nop 1
	v_cndmask_b32_e32 v19, v19, v21, vcc
	v_cndmask_b32_e32 v18, v18, v20, vcc
	ds_write_b64 v2, v[18:19]
.LBB60_34:                              ;   in Loop: Header=BB60_7 Depth=1
	;; [unrolled: 14-line block ×5, first 2 shown]
	s_or_b64 exec, exec, s[18:19]
	s_waitcnt lgkmcnt(0)
	s_barrier
	s_and_saveexec_b64 s[18:19], s[16:17]
	s_cbranch_execz .LBB60_6
; %bb.41:                               ;   in Loop: Header=BB60_7 Depth=1
	ds_read_b128 v[18:21], v4
	s_waitcnt lgkmcnt(0)
	v_cmp_lt_i64_e32 vcc, v[20:21], v[18:19]
	s_nop 1
	v_cndmask_b32_e32 v19, v19, v21, vcc
	v_cndmask_b32_e32 v18, v18, v20, vcc
	ds_write_b64 v4, v[18:19]
	s_branch .LBB60_6
.LBB60_42:                              ;   in Loop: Header=BB60_7 Depth=1
	ds_read_b32 v5, v30
	v_lshl_add_u64 v[26:27], v[0:1], 2, v[20:21]
	v_cndmask_b32_e64 v27, v27, v23, s[0:1]
	v_cndmask_b32_e64 v26, v26, v22, s[0:1]
	s_waitcnt lgkmcnt(0)
	global_store_dword v[26:27], v5, off
	s_or_b64 exec, exec, s[18:19]
	s_and_saveexec_b64 s[18:19], s[36:37]
	s_cbranch_execz .LBB60_22
.LBB60_43:                              ;   in Loop: Header=BB60_7 Depth=1
	ds_read_b32 v5, v30 offset:32
	v_lshl_add_u64 v[26:27], v[22:23], 0, 32
	v_lshl_add_u64 v[32:33], v[12:13], 2, v[20:21]
	v_cndmask_b32_e64 v27, v33, v27, s[0:1]
	v_cndmask_b32_e64 v26, v32, v26, s[0:1]
	s_waitcnt lgkmcnt(0)
	global_store_dword v[26:27], v5, off
	s_or_b64 exec, exec, s[18:19]
	s_and_saveexec_b64 s[18:19], s[38:39]
	s_cbranch_execz .LBB60_23
.LBB60_44:                              ;   in Loop: Header=BB60_7 Depth=1
	ds_read_b32 v5, v30 offset:64
	v_lshl_add_u64 v[26:27], v[22:23], 0, 64
	v_lshl_add_u64 v[32:33], v[14:15], 2, v[20:21]
	v_cndmask_b32_e64 v27, v33, v27, s[0:1]
	v_cndmask_b32_e64 v26, v32, v26, s[0:1]
	s_waitcnt lgkmcnt(0)
	global_store_dword v[26:27], v5, off
	s_or_b64 exec, exec, s[18:19]
	s_and_saveexec_b64 s[18:19], s[40:41]
	s_cbranch_execnz .LBB60_24
	s_branch .LBB60_25
.LBB60_45:
	s_endpgm
	.section	.rodata,"a",@progbits
	.p2align	6, 0x0
	.amdhsa_kernel _ZN9rocsparseL38csr2bsr_block_per_row_multipass_kernelILj256ELj32EfilEEv20rocsparse_direction_T3_S2_S2_S2_S2_21rocsparse_index_base_PKT1_PKT2_PKS2_S3_PS4_PS7_PS2_
		.amdhsa_group_segment_fixed_size 4100
		.amdhsa_private_segment_fixed_size 0
		.amdhsa_kernarg_size 112
		.amdhsa_user_sgpr_count 2
		.amdhsa_user_sgpr_dispatch_ptr 0
		.amdhsa_user_sgpr_queue_ptr 0
		.amdhsa_user_sgpr_kernarg_segment_ptr 1
		.amdhsa_user_sgpr_dispatch_id 0
		.amdhsa_user_sgpr_kernarg_preload_length 0
		.amdhsa_user_sgpr_kernarg_preload_offset 0
		.amdhsa_user_sgpr_private_segment_size 0
		.amdhsa_uses_dynamic_stack 0
		.amdhsa_enable_private_segment 0
		.amdhsa_system_sgpr_workgroup_id_x 1
		.amdhsa_system_sgpr_workgroup_id_y 0
		.amdhsa_system_sgpr_workgroup_id_z 0
		.amdhsa_system_sgpr_workgroup_info 0
		.amdhsa_system_vgpr_workitem_id 0
		.amdhsa_next_free_vgpr 38
		.amdhsa_next_free_sgpr 60
		.amdhsa_accum_offset 40
		.amdhsa_reserve_vcc 1
		.amdhsa_float_round_mode_32 0
		.amdhsa_float_round_mode_16_64 0
		.amdhsa_float_denorm_mode_32 3
		.amdhsa_float_denorm_mode_16_64 3
		.amdhsa_dx10_clamp 1
		.amdhsa_ieee_mode 1
		.amdhsa_fp16_overflow 0
		.amdhsa_tg_split 0
		.amdhsa_exception_fp_ieee_invalid_op 0
		.amdhsa_exception_fp_denorm_src 0
		.amdhsa_exception_fp_ieee_div_zero 0
		.amdhsa_exception_fp_ieee_overflow 0
		.amdhsa_exception_fp_ieee_underflow 0
		.amdhsa_exception_fp_ieee_inexact 0
		.amdhsa_exception_int_div_zero 0
	.end_amdhsa_kernel
	.section	.text._ZN9rocsparseL38csr2bsr_block_per_row_multipass_kernelILj256ELj32EfilEEv20rocsparse_direction_T3_S2_S2_S2_S2_21rocsparse_index_base_PKT1_PKT2_PKS2_S3_PS4_PS7_PS2_,"axG",@progbits,_ZN9rocsparseL38csr2bsr_block_per_row_multipass_kernelILj256ELj32EfilEEv20rocsparse_direction_T3_S2_S2_S2_S2_21rocsparse_index_base_PKT1_PKT2_PKS2_S3_PS4_PS7_PS2_,comdat
.Lfunc_end60:
	.size	_ZN9rocsparseL38csr2bsr_block_per_row_multipass_kernelILj256ELj32EfilEEv20rocsparse_direction_T3_S2_S2_S2_S2_21rocsparse_index_base_PKT1_PKT2_PKS2_S3_PS4_PS7_PS2_, .Lfunc_end60-_ZN9rocsparseL38csr2bsr_block_per_row_multipass_kernelILj256ELj32EfilEEv20rocsparse_direction_T3_S2_S2_S2_S2_21rocsparse_index_base_PKT1_PKT2_PKS2_S3_PS4_PS7_PS2_
                                        ; -- End function
	.section	.AMDGPU.csdata,"",@progbits
; Kernel info:
; codeLenInByte = 2832
; NumSgprs: 66
; NumVgprs: 38
; NumAgprs: 0
; TotalNumVgprs: 38
; ScratchSize: 0
; MemoryBound: 0
; FloatMode: 240
; IeeeMode: 1
; LDSByteSize: 4100 bytes/workgroup (compile time only)
; SGPRBlocks: 8
; VGPRBlocks: 4
; NumSGPRsForWavesPerEU: 66
; NumVGPRsForWavesPerEU: 38
; AccumOffset: 40
; Occupancy: 8
; WaveLimiterHint : 1
; COMPUTE_PGM_RSRC2:SCRATCH_EN: 0
; COMPUTE_PGM_RSRC2:USER_SGPR: 2
; COMPUTE_PGM_RSRC2:TRAP_HANDLER: 0
; COMPUTE_PGM_RSRC2:TGID_X_EN: 1
; COMPUTE_PGM_RSRC2:TGID_Y_EN: 0
; COMPUTE_PGM_RSRC2:TGID_Z_EN: 0
; COMPUTE_PGM_RSRC2:TIDIG_COMP_CNT: 0
; COMPUTE_PGM_RSRC3_GFX90A:ACCUM_OFFSET: 9
; COMPUTE_PGM_RSRC3_GFX90A:TG_SPLIT: 0
	.section	.text._ZN9rocsparseL38csr2bsr_block_per_row_multipass_kernelILj256ELj64EfilEEv20rocsparse_direction_T3_S2_S2_S2_S2_21rocsparse_index_base_PKT1_PKT2_PKS2_S3_PS4_PS7_PS2_,"axG",@progbits,_ZN9rocsparseL38csr2bsr_block_per_row_multipass_kernelILj256ELj64EfilEEv20rocsparse_direction_T3_S2_S2_S2_S2_21rocsparse_index_base_PKT1_PKT2_PKS2_S3_PS4_PS7_PS2_,comdat
	.globl	_ZN9rocsparseL38csr2bsr_block_per_row_multipass_kernelILj256ELj64EfilEEv20rocsparse_direction_T3_S2_S2_S2_S2_21rocsparse_index_base_PKT1_PKT2_PKS2_S3_PS4_PS7_PS2_ ; -- Begin function _ZN9rocsparseL38csr2bsr_block_per_row_multipass_kernelILj256ELj64EfilEEv20rocsparse_direction_T3_S2_S2_S2_S2_21rocsparse_index_base_PKT1_PKT2_PKS2_S3_PS4_PS7_PS2_
	.p2align	8
	.type	_ZN9rocsparseL38csr2bsr_block_per_row_multipass_kernelILj256ELj64EfilEEv20rocsparse_direction_T3_S2_S2_S2_S2_21rocsparse_index_base_PKT1_PKT2_PKS2_S3_PS4_PS7_PS2_,@function
_ZN9rocsparseL38csr2bsr_block_per_row_multipass_kernelILj256ELj64EfilEEv20rocsparse_direction_T3_S2_S2_S2_S2_21rocsparse_index_base_PKT1_PKT2_PKS2_S3_PS4_PS7_PS2_: ; @_ZN9rocsparseL38csr2bsr_block_per_row_multipass_kernelILj256ELj64EfilEEv20rocsparse_direction_T3_S2_S2_S2_S2_21rocsparse_index_base_PKT1_PKT2_PKS2_S3_PS4_PS7_PS2_
; %bb.0:
	s_load_dwordx2 s[6:7], s[0:1], 0x8
	s_load_dwordx4 s[20:23], s[0:1], 0x20
	s_load_dword s33, s[0:1], 0x30
	s_load_dwordx2 s[4:5], s[0:1], 0x40
	s_ashr_i32 s3, s2, 31
	v_lshrrev_b32_e32 v2, 2, v0
	v_mov_b32_e32 v3, 0
	s_waitcnt lgkmcnt(0)
	s_mul_i32 s8, s2, s23
	s_mul_i32 s9, s3, s22
	v_mov_b32_e32 v1, s22
	s_add_i32 s10, s8, s9
	v_mad_u64_u32 v[4:5], s[8:9], s2, v1, v[2:3]
	v_add_u32_e32 v5, s10, v5
	v_cmp_gt_i64_e32 vcc, s[6:7], v[4:5]
	v_cmp_gt_i64_e64 s[18:19], s[22:23], v[2:3]
	s_and_b64 s[6:7], s[18:19], vcc
	v_mov_b32_e32 v48, v3
	s_and_saveexec_b64 s[8:9], s[6:7]
	s_cbranch_execnz .LBB61_3
; %bb.1:
	s_or_b64 exec, exec, s[8:9]
	s_and_saveexec_b64 s[8:9], s[6:7]
	s_cbranch_execnz .LBB61_4
.LBB61_2:
	s_or_b64 exec, exec, s[8:9]
	v_cmp_lt_i64_e64 s[4:5], s[20:21], 1
	s_and_b64 vcc, exec, s[4:5]
	s_cbranch_vccz .LBB61_5
	s_branch .LBB61_69
.LBB61_3:
	v_lshl_add_u64 v[6:7], v[4:5], 2, s[4:5]
	global_load_dword v1, v[6:7], off
	s_waitcnt vmcnt(0)
	v_subrev_u32_e32 v48, s33, v1
	s_or_b64 exec, exec, s[8:9]
	s_and_saveexec_b64 s[8:9], s[6:7]
	s_cbranch_execz .LBB61_2
.LBB61_4:
	v_lshl_add_u64 v[4:5], v[4:5], 2, s[4:5]
	global_load_dword v1, v[4:5], off offset:4
	s_waitcnt vmcnt(0)
	v_subrev_u32_e32 v3, s33, v1
	s_or_b64 exec, exec, s[8:9]
	v_cmp_lt_i64_e64 s[4:5], s[20:21], 1
	s_and_b64 vcc, exec, s[4:5]
	s_cbranch_vccnz .LBB61_69
.LBB61_5:
	s_load_dwordx2 s[24:25], s[0:1], 0x68
	s_load_dwordx4 s[4:7], s[0:1], 0x58
	s_mul_i32 s8, s22, s23
	s_mul_hi_u32 s9, s22, s22
	s_add_i32 s9, s9, s8
	s_add_i32 s66, s9, s8
	s_lshl_b64 s[2:3], s[2:3], 2
	s_waitcnt lgkmcnt(0)
	s_add_u32 s2, s6, s2
	s_load_dword s69, s[0:1], 0x50
	s_addc_u32 s3, s7, s3
	s_load_dword s6, s[2:3], 0x0
	s_load_dwordx2 s[26:27], s[0:1], 0x48
	s_load_dwordx2 s[28:29], s[0:1], 0x38
	s_load_dword s7, s[0:1], 0x0
	v_mad_u64_u32 v[10:11], s[2:3], v2, s22, 0
	v_mov_b32_e32 v12, v11
	v_mov_b32_e32 v4, 0
	v_mad_u64_u32 v[12:13], s[2:3], v2, s23, v[12:13]
	v_lshlrev_b32_e32 v6, 2, v2
	v_mov_b32_e32 v7, v4
	v_and_b32_e32 v8, 3, v0
	s_waitcnt lgkmcnt(0)
	s_sub_i32 s30, s6, s69
	v_lshlrev_b32_e32 v52, 6, v2
	v_mbcnt_lo_u32_b32 v1, -1, 0
	v_mov_b32_e32 v11, v12
	s_movk_i32 s2, 0x80
	v_lshl_add_u64 v[6:7], s[4:5], 0, v[6:7]
	v_mbcnt_hi_u32_b32 v1, -1, v1
	s_cmp_eq_u32 s7, 0
	v_lshl_add_u64 v[10:11], v[10:11], 2, s[4:5]
	v_lshlrev_b32_e32 v2, 3, v0
	v_cmp_gt_u32_e64 s[2:3], s2, v0
	v_cmp_gt_u32_e64 s[4:5], 64, v0
	;; [unrolled: 1-line block ×7, first 2 shown]
	v_cmp_eq_u32_e64 s[16:17], 0, v0
	v_or_b32_e32 v0, v52, v8
	v_lshl_or_b32 v53, v1, 2, 12
	v_lshlrev_b32_e32 v12, 2, v8
	v_mov_b32_e32 v13, v4
	v_lshlrev_b32_e32 v54, 2, v0
	v_mad_u64_u32 v[0:1], s[36:37], v8, s22, 0
	v_lshl_add_u64 v[10:11], v[10:11], 0, v[12:13]
	v_mov_b32_e32 v12, v1
	v_mad_u64_u32 v[12:13], s[36:37], v8, s23, v[12:13]
	v_or_b32_e32 v14, 4, v8
	v_mov_b32_e32 v9, v4
	v_mov_b32_e32 v1, v12
	v_mad_u64_u32 v[12:13], s[38:39], v14, s22, 0
	v_cmp_gt_i64_e32 vcc, s[22:23], v[8:9]
	v_mov_b32_e32 v15, v4
	v_mov_b32_e32 v16, v13
	s_cselect_b64 s[0:1], -1, 0
	s_and_b64 s[34:35], s[18:19], vcc
	v_cmp_gt_i64_e32 vcc, s[22:23], v[14:15]
	v_mad_u64_u32 v[14:15], s[38:39], v14, s23, v[16:17]
	v_or_b32_e32 v16, 8, v8
	v_mov_b32_e32 v13, v14
	v_mad_u64_u32 v[14:15], s[40:41], v16, s22, 0
	v_mov_b32_e32 v17, v4
	v_mov_b32_e32 v18, v15
	s_and_b64 s[36:37], s[18:19], vcc
	v_cmp_gt_i64_e32 vcc, s[22:23], v[16:17]
	v_mad_u64_u32 v[16:17], s[40:41], v16, s23, v[18:19]
	v_or_b32_e32 v18, 12, v8
	v_mov_b32_e32 v15, v16
	v_mad_u64_u32 v[16:17], s[42:43], v18, s22, 0
	v_mov_b32_e32 v19, v4
	v_mov_b32_e32 v20, v17
	;; [unrolled: 8-line block ×13, first 2 shown]
	s_and_b64 s[60:61], s[18:19], vcc
	v_cmp_gt_i64_e32 vcc, s[22:23], v[40:41]
	v_mad_u64_u32 v[40:41], s[64:65], v40, s23, v[42:43]
	v_or_b32_e32 v42, 60, v8
	v_mov_b32_e32 v43, v4
	s_and_b64 s[62:63], s[18:19], vcc
	v_cmp_gt_i64_e32 vcc, s[22:23], v[42:43]
	v_mov_b32_e32 v39, v40
	s_and_b64 s[64:65], s[18:19], vcc
	v_mad_u64_u32 v[40:41], s[18:19], v42, s22, 0
	v_mov_b32_e32 v44, v41
	v_mad_u64_u32 v[42:43], s[18:19], v42, s23, v[44:45]
	s_mul_i32 s67, s22, s22
	s_mov_b32 s68, 0
	v_mov_b32_e32 v41, v42
	s_mov_b64 s[88:89], 0
	s_mov_b64 s[70:71], 0x70
	;; [unrolled: 1-line block ×10, first 2 shown]
	v_mov_b32_e32 v9, 1
	v_mov_b32_e32 v44, 0
	s_branch .LBB61_7
.LBB61_6:                               ;   in Loop: Header=BB61_7 Depth=1
	s_or_b64 exec, exec, s[18:19]
	s_waitcnt lgkmcnt(0)
	s_barrier
	ds_read_b64 v[44:45], v4
	v_mov_b64_e32 v[42:43], s[20:21]
	s_add_i32 s30, s31, s30
	s_waitcnt lgkmcnt(0)
	s_barrier
	v_readfirstlane_b32 s18, v44
	v_readfirstlane_b32 s19, v45
	s_bfe_i64 s[88:89], s[18:19], 0x200000
	v_cmp_lt_i64_e32 vcc, s[88:89], v[42:43]
	s_cbranch_vccz .LBB61_69
.LBB61_7:                               ; =>This Loop Header: Depth=1
                                        ;     Child Loop BB61_10 Depth 2
	v_add_u32_e32 v46, v48, v8
	v_cmp_lt_i32_e32 vcc, v46, v3
	v_mov_b64_e32 v[42:43], s[20:21]
	v_mov_b32_e32 v5, v3
	ds_write_b8 v4, v4 offset:16384
	ds_write2_b32 v54, v4, v4 offset1:4
	ds_write2_b32 v54, v4, v4 offset0:8 offset1:12
	ds_write2_b32 v54, v4, v4 offset0:16 offset1:20
	;; [unrolled: 1-line block ×7, first 2 shown]
	s_waitcnt lgkmcnt(0)
	s_barrier
	s_and_saveexec_b64 s[90:91], vcc
	s_cbranch_execz .LBB61_19
; %bb.8:                                ;   in Loop: Header=BB61_7 Depth=1
	s_mul_i32 s31, s88, s22
	s_mov_b64 s[92:93], 0
	v_mov_b64_e32 v[42:43], s[20:21]
	v_mov_b32_e32 v45, v3
	s_branch .LBB61_10
.LBB61_9:                               ;   in Loop: Header=BB61_10 Depth=2
	s_or_b64 exec, exec, s[18:19]
	v_add_u32_e32 v46, 4, v46
	v_cmp_ge_i32_e64 s[18:19], v46, v3
	s_xor_b64 s[94:95], vcc, -1
	s_or_b64 s[18:19], s[94:95], s[18:19]
	s_and_b64 s[18:19], exec, s[18:19]
	s_or_b64 s[92:93], s[18:19], s[92:93]
	v_mov_b32_e32 v45, v5
	s_andn2_b64 exec, exec, s[92:93]
	s_cbranch_execz .LBB61_18
.LBB61_10:                              ;   Parent Loop BB61_7 Depth=1
                                        ; =>  This Inner Loop Header: Depth=2
	v_ashrrev_i32_e32 v47, 31, v46
	v_lshl_add_u64 v[48:49], v[46:47], 3, s[26:27]
	global_load_dwordx2 v[48:49], v[48:49], off
	v_mov_b32_e32 v5, s68
                                        ; implicit-def: $vgpr50_vgpr51
	s_waitcnt vmcnt(0)
	v_subrev_co_u32_e32 v48, vcc, s33, v48
	s_nop 1
	v_subb_co_u32_e32 v49, vcc, v49, v5, vcc
	v_or_b32_e32 v5, s23, v49
	v_cmp_ne_u64_e32 vcc, 0, v[4:5]
	s_and_saveexec_b64 s[18:19], vcc
	s_xor_b64 s[94:95], exec, s[18:19]
	s_cbranch_execz .LBB61_12
; %bb.11:                               ;   in Loop: Header=BB61_10 Depth=2
	s_ashr_i32 s96, s23, 31
	s_add_u32 s18, s22, s96
	s_mov_b32 s97, s96
	s_addc_u32 s19, s23, s96
	s_xor_b64 s[98:99], s[18:19], s[96:97]
	v_cvt_f32_u32_e32 v5, s98
	v_cvt_f32_u32_e32 v50, s99
	s_sub_u32 s18, 0, s98
	s_subb_u32 s19, 0, s99
	v_mov_b32_e32 v57, v4
	v_fmac_f32_e32 v5, 0x4f800000, v50
	v_rcp_f32_e32 v5, v5
	s_nop 0
	v_mul_f32_e32 v5, 0x5f7ffffc, v5
	v_mul_f32_e32 v50, 0x2f800000, v5
	v_trunc_f32_e32 v50, v50
	v_fmac_f32_e32 v5, 0xcf800000, v50
	v_cvt_u32_f32_e32 v55, v50
	v_cvt_u32_f32_e32 v5, v5
	v_mul_lo_u32 v50, s18, v55
	v_mul_hi_u32 v56, s18, v5
	v_mul_lo_u32 v51, s19, v5
	v_add_u32_e32 v50, v56, v50
	v_mul_lo_u32 v58, s18, v5
	v_add_u32_e32 v59, v50, v51
	v_mul_hi_u32 v51, v5, v59
	v_mul_lo_u32 v50, v5, v59
	v_mul_hi_u32 v56, v5, v58
	v_lshl_add_u64 v[50:51], v[56:57], 0, v[50:51]
	v_mul_hi_u32 v57, v55, v58
	v_mul_lo_u32 v58, v55, v58
	v_add_co_u32_e32 v50, vcc, v50, v58
	v_mul_hi_u32 v56, v55, v59
	s_nop 0
	v_addc_co_u32_e32 v50, vcc, v51, v57, vcc
	v_mov_b32_e32 v51, v4
	s_nop 0
	v_addc_co_u32_e32 v57, vcc, 0, v56, vcc
	v_mul_lo_u32 v56, v55, v59
	v_lshl_add_u64 v[50:51], v[50:51], 0, v[56:57]
	v_add_co_u32_e32 v5, vcc, v5, v50
	v_mul_lo_u32 v56, s18, v5
	s_nop 0
	v_addc_co_u32_e32 v55, vcc, v55, v51, vcc
	v_mul_lo_u32 v50, s18, v55
	v_mul_hi_u32 v51, s18, v5
	v_add_u32_e32 v50, v51, v50
	v_mul_lo_u32 v51, s19, v5
	v_add_u32_e32 v58, v50, v51
	v_mul_hi_u32 v60, v55, v56
	v_mul_lo_u32 v61, v55, v56
	v_mul_hi_u32 v51, v5, v58
	v_mul_lo_u32 v50, v5, v58
	v_mul_hi_u32 v56, v5, v56
	v_mov_b32_e32 v57, v4
	v_lshl_add_u64 v[50:51], v[56:57], 0, v[50:51]
	v_add_co_u32_e32 v50, vcc, v50, v61
	v_mul_hi_u32 v59, v55, v58
	s_nop 0
	v_addc_co_u32_e32 v50, vcc, v51, v60, vcc
	v_mul_lo_u32 v56, v55, v58
	s_nop 0
	v_addc_co_u32_e32 v57, vcc, 0, v59, vcc
	v_mov_b32_e32 v51, v4
	v_lshl_add_u64 v[50:51], v[50:51], 0, v[56:57]
	v_add_co_u32_e32 v5, vcc, v5, v50
	v_ashrrev_i32_e32 v50, 31, v49
	s_nop 0
	v_addc_co_u32_e32 v55, vcc, v55, v51, vcc
	v_mov_b32_e32 v51, v50
	v_lshl_add_u64 v[56:57], v[48:49], 0, v[50:51]
	v_xor_b32_e32 v51, v56, v50
	v_xor_b32_e32 v49, v57, v50
	v_mad_u64_u32 v[56:57], s[18:19], v51, v55, 0
	v_mul_hi_u32 v58, v51, v5
	v_mov_b32_e32 v59, v4
	v_lshl_add_u64 v[56:57], v[58:59], 0, v[56:57]
	v_mad_u64_u32 v[60:61], s[18:19], v49, v5, 0
	v_add_co_u32_e32 v5, vcc, v56, v60
	v_mad_u64_u32 v[58:59], s[18:19], v49, v55, 0
	s_nop 0
	v_addc_co_u32_e32 v56, vcc, v57, v61, vcc
	v_mov_b32_e32 v57, v4
	s_nop 0
	v_addc_co_u32_e32 v59, vcc, 0, v59, vcc
	v_lshl_add_u64 v[56:57], v[56:57], 0, v[58:59]
	v_mul_lo_u32 v5, s99, v56
	v_mul_lo_u32 v55, s98, v57
	v_mad_u64_u32 v[58:59], s[18:19], s98, v56, 0
	v_add3_u32 v5, v59, v55, v5
	v_sub_u32_e32 v55, v49, v5
	v_mov_b32_e32 v59, s99
	v_sub_co_u32_e32 v51, vcc, v51, v58
	v_lshl_add_u64 v[60:61], v[56:57], 0, 1
	s_nop 0
	v_subb_co_u32_e64 v55, s[18:19], v55, v59, vcc
	v_subrev_co_u32_e64 v58, s[18:19], s98, v51
	v_subb_co_u32_e32 v5, vcc, v49, v5, vcc
	s_nop 0
	v_subbrev_co_u32_e64 v55, s[18:19], 0, v55, s[18:19]
	v_cmp_le_u32_e64 s[18:19], s99, v55
	v_cmp_le_u32_e32 vcc, s99, v5
	s_nop 0
	v_cndmask_b32_e64 v59, 0, -1, s[18:19]
	v_cmp_le_u32_e64 s[18:19], s98, v58
	v_cndmask_b32_e64 v49, 0, -1, vcc
	v_cmp_le_u32_e32 vcc, s98, v51
	v_cndmask_b32_e64 v58, 0, -1, s[18:19]
	v_cmp_eq_u32_e64 s[18:19], s99, v55
	v_cndmask_b32_e64 v51, 0, -1, vcc
	v_cmp_eq_u32_e32 vcc, s99, v5
	v_cndmask_b32_e64 v55, v59, v58, s[18:19]
	v_lshl_add_u64 v[58:59], v[56:57], 0, 2
	v_cmp_ne_u32_e64 s[18:19], 0, v55
	v_cndmask_b32_e32 v5, v49, v51, vcc
	v_cmp_ne_u32_e32 vcc, 0, v5
	v_cndmask_b32_e64 v49, v60, v58, s[18:19]
	v_cndmask_b32_e64 v55, v61, v59, s[18:19]
	v_cndmask_b32_e32 v49, v56, v49, vcc
	v_xor_b32_e32 v51, s96, v50
	v_cndmask_b32_e32 v5, v57, v55, vcc
	v_xor_b32_e32 v49, v49, v51
	v_xor_b32_e32 v5, v5, v51
	v_sub_co_u32_e32 v50, vcc, v49, v51
	s_nop 1
	v_subb_co_u32_e32 v51, vcc, v5, v51, vcc
.LBB61_12:                              ;   in Loop: Header=BB61_10 Depth=2
	s_andn2_saveexec_b64 s[18:19], s[94:95]
	s_cbranch_execz .LBB61_14
; %bb.13:                               ;   in Loop: Header=BB61_10 Depth=2
	v_cvt_f32_u32_e32 v5, s22
	s_sub_i32 s94, 0, s22
	v_rcp_iflag_f32_e32 v5, v5
	s_nop 0
	v_mul_f32_e32 v5, 0x4f7ffffe, v5
	v_cvt_u32_f32_e32 v5, v5
	v_mul_lo_u32 v49, s94, v5
	v_mul_hi_u32 v49, v5, v49
	v_add_u32_e32 v5, v5, v49
	v_mul_hi_u32 v5, v48, v5
	v_mul_lo_u32 v49, v5, s22
	v_sub_u32_e32 v49, v48, v49
	v_add_u32_e32 v50, 1, v5
	v_subrev_u32_e32 v51, s22, v49
	v_cmp_le_u32_e32 vcc, s22, v49
	s_nop 1
	v_cndmask_b32_e32 v49, v49, v51, vcc
	v_cndmask_b32_e32 v5, v5, v50, vcc
	v_add_u32_e32 v50, 1, v5
	v_cmp_le_u32_e32 vcc, s22, v49
	v_mov_b32_e32 v51, v4
	s_nop 0
	v_cndmask_b32_e32 v50, v5, v50, vcc
.LBB61_14:                              ;   in Loop: Header=BB61_10 Depth=2
	s_or_b64 exec, exec, s[18:19]
	v_cmp_eq_u64_e32 vcc, s[88:89], v[50:51]
	v_cmp_ne_u64_e64 s[18:19], s[88:89], v[50:51]
	s_and_saveexec_b64 s[94:95], s[18:19]
	s_xor_b64 s[94:95], exec, s[94:95]
; %bb.15:                               ;   in Loop: Header=BB61_10 Depth=2
	v_cmp_lt_i64_e64 s[18:19], v[50:51], v[42:43]
                                        ; implicit-def: $vgpr48_vgpr49
                                        ; implicit-def: $vgpr45
	s_nop 1
	v_cndmask_b32_e64 v43, v43, v51, s[18:19]
	v_cndmask_b32_e64 v42, v42, v50, s[18:19]
; %bb.16:                               ;   in Loop: Header=BB61_10 Depth=2
	s_or_saveexec_b64 s[18:19], s[94:95]
	v_mov_b32_e32 v5, v46
	s_xor_b64 exec, exec, s[18:19]
	s_cbranch_execz .LBB61_9
; %bb.17:                               ;   in Loop: Header=BB61_10 Depth=2
	v_lshl_add_u64 v[50:51], v[46:47], 2, s[28:29]
	global_load_dword v5, v[50:51], off
	v_subrev_u32_e32 v47, s31, v48
	v_add_lshl_u32 v47, v52, v47, 2
	ds_write_b8 v4, v9 offset:16384
	s_waitcnt vmcnt(0)
	ds_write_b32 v47, v5
	v_mov_b32_e32 v5, v45
	s_branch .LBB61_9
.LBB61_18:                              ;   in Loop: Header=BB61_7 Depth=1
	s_or_b64 exec, exec, s[92:93]
.LBB61_19:                              ;   in Loop: Header=BB61_7 Depth=1
	s_or_b64 exec, exec, s[90:91]
	v_mov_b32_dpp v45, v5 row_shr:1 row_mask:0xf bank_mask:0xf
	v_min_i32_e32 v5, v45, v5
	s_waitcnt lgkmcnt(0)
	s_barrier
	ds_read_u8 v45, v4 offset:16384
	v_mov_b32_dpp v46, v5 row_shr:2 row_mask:0xf bank_mask:0xf
	v_min_i32_e32 v5, v46, v5
	ds_bpermute_b32 v48, v53, v5
	s_mov_b32 s31, 0
	s_waitcnt lgkmcnt(1)
	v_cmp_eq_u32_e32 vcc, 0, v45
	s_cbranch_vccnz .LBB61_38
; %bb.20:                               ;   in Loop: Header=BB61_7 Depth=1
	s_ashr_i32 s31, s30, 31
	s_lshl_b64 s[18:19], s[30:31], 3
	v_add_u32_e32 v44, s69, v44
	s_add_u32 s18, s24, s18
	v_ashrrev_i32_e32 v45, 31, v44
	s_addc_u32 s19, s25, s19
	global_store_dwordx2 v4, v[44:45], s[18:19]
	s_mul_hi_u32 s18, s67, s30
	s_mul_i32 s19, s67, s31
	s_add_i32 s18, s18, s19
	s_mul_i32 s19, s66, s30
	s_add_i32 s19, s18, s19
	s_mul_i32 s18, s67, s30
	s_lshl_b64 s[18:19], s[18:19], 2
	v_lshl_add_u64 v[44:45], v[6:7], 0, s[18:19]
	v_lshl_add_u64 v[46:47], v[10:11], 0, s[18:19]
	s_and_saveexec_b64 s[18:19], s[34:35]
	s_cbranch_execnz .LBB61_54
; %bb.21:                               ;   in Loop: Header=BB61_7 Depth=1
	s_or_b64 exec, exec, s[18:19]
	s_and_saveexec_b64 s[18:19], s[36:37]
	s_cbranch_execnz .LBB61_55
.LBB61_22:                              ;   in Loop: Header=BB61_7 Depth=1
	s_or_b64 exec, exec, s[18:19]
	s_and_saveexec_b64 s[18:19], s[38:39]
	s_cbranch_execnz .LBB61_56
.LBB61_23:                              ;   in Loop: Header=BB61_7 Depth=1
	s_or_b64 exec, exec, s[18:19]
	s_and_saveexec_b64 s[18:19], s[40:41]
	s_cbranch_execnz .LBB61_57
.LBB61_24:                              ;   in Loop: Header=BB61_7 Depth=1
	s_or_b64 exec, exec, s[18:19]
	s_and_saveexec_b64 s[18:19], s[42:43]
	s_cbranch_execnz .LBB61_58
.LBB61_25:                              ;   in Loop: Header=BB61_7 Depth=1
	s_or_b64 exec, exec, s[18:19]
	s_and_saveexec_b64 s[18:19], s[44:45]
	s_cbranch_execnz .LBB61_59
.LBB61_26:                              ;   in Loop: Header=BB61_7 Depth=1
	s_or_b64 exec, exec, s[18:19]
	s_and_saveexec_b64 s[18:19], s[46:47]
	s_cbranch_execnz .LBB61_60
.LBB61_27:                              ;   in Loop: Header=BB61_7 Depth=1
	s_or_b64 exec, exec, s[18:19]
	s_and_saveexec_b64 s[18:19], s[48:49]
	s_cbranch_execnz .LBB61_61
.LBB61_28:                              ;   in Loop: Header=BB61_7 Depth=1
	s_or_b64 exec, exec, s[18:19]
	s_and_saveexec_b64 s[18:19], s[50:51]
	s_cbranch_execnz .LBB61_62
.LBB61_29:                              ;   in Loop: Header=BB61_7 Depth=1
	s_or_b64 exec, exec, s[18:19]
	s_and_saveexec_b64 s[18:19], s[52:53]
	s_cbranch_execnz .LBB61_63
.LBB61_30:                              ;   in Loop: Header=BB61_7 Depth=1
	s_or_b64 exec, exec, s[18:19]
	s_and_saveexec_b64 s[18:19], s[54:55]
	s_cbranch_execnz .LBB61_64
.LBB61_31:                              ;   in Loop: Header=BB61_7 Depth=1
	s_or_b64 exec, exec, s[18:19]
	s_and_saveexec_b64 s[18:19], s[56:57]
	s_cbranch_execnz .LBB61_65
.LBB61_32:                              ;   in Loop: Header=BB61_7 Depth=1
	s_or_b64 exec, exec, s[18:19]
	s_and_saveexec_b64 s[18:19], s[58:59]
	s_cbranch_execnz .LBB61_66
.LBB61_33:                              ;   in Loop: Header=BB61_7 Depth=1
	s_or_b64 exec, exec, s[18:19]
	s_and_saveexec_b64 s[18:19], s[60:61]
	s_cbranch_execnz .LBB61_67
.LBB61_34:                              ;   in Loop: Header=BB61_7 Depth=1
	s_or_b64 exec, exec, s[18:19]
	s_and_saveexec_b64 s[18:19], s[62:63]
	s_cbranch_execnz .LBB61_68
.LBB61_35:                              ;   in Loop: Header=BB61_7 Depth=1
	s_or_b64 exec, exec, s[18:19]
	s_and_saveexec_b64 s[18:19], s[64:65]
	s_cbranch_execz .LBB61_37
.LBB61_36:                              ;   in Loop: Header=BB61_7 Depth=1
	ds_read_b32 v5, v54 offset:240
	v_lshl_add_u64 v[46:47], v[46:47], 0, s[86:87]
	v_lshl_add_u64 v[44:45], v[40:41], 2, v[44:45]
	v_cndmask_b32_e64 v45, v45, v47, s[0:1]
	v_cndmask_b32_e64 v44, v44, v46, s[0:1]
	s_waitcnt lgkmcnt(0)
	global_store_dword v[44:45], v5, off
.LBB61_37:                              ;   in Loop: Header=BB61_7 Depth=1
	s_or_b64 exec, exec, s[18:19]
	s_mov_b32 s31, 1
.LBB61_38:                              ;   in Loop: Header=BB61_7 Depth=1
	s_waitcnt lgkmcnt(0)
	s_barrier
	ds_write_b64 v2, v[42:43]
	s_waitcnt lgkmcnt(0)
	s_barrier
	s_and_saveexec_b64 s[18:19], s[2:3]
	s_cbranch_execz .LBB61_40
; %bb.39:                               ;   in Loop: Header=BB61_7 Depth=1
	ds_read2st64_b64 v[42:45], v2 offset1:2
	s_waitcnt lgkmcnt(0)
	v_cmp_lt_i64_e32 vcc, v[44:45], v[42:43]
	s_nop 1
	v_cndmask_b32_e32 v43, v43, v45, vcc
	v_cndmask_b32_e32 v42, v42, v44, vcc
	ds_write_b64 v2, v[42:43]
.LBB61_40:                              ;   in Loop: Header=BB61_7 Depth=1
	s_or_b64 exec, exec, s[18:19]
	s_waitcnt lgkmcnt(0)
	s_barrier
	s_and_saveexec_b64 s[18:19], s[4:5]
	s_cbranch_execz .LBB61_42
; %bb.41:                               ;   in Loop: Header=BB61_7 Depth=1
	ds_read2st64_b64 v[42:45], v2 offset1:1
	s_waitcnt lgkmcnt(0)
	v_cmp_lt_i64_e32 vcc, v[44:45], v[42:43]
	s_nop 1
	v_cndmask_b32_e32 v43, v43, v45, vcc
	v_cndmask_b32_e32 v42, v42, v44, vcc
	ds_write_b64 v2, v[42:43]
.LBB61_42:                              ;   in Loop: Header=BB61_7 Depth=1
	s_or_b64 exec, exec, s[18:19]
	s_waitcnt lgkmcnt(0)
	s_barrier
	s_and_saveexec_b64 s[18:19], s[6:7]
	s_cbranch_execz .LBB61_44
; %bb.43:                               ;   in Loop: Header=BB61_7 Depth=1
	ds_read2_b64 v[42:45], v2 offset1:32
	s_waitcnt lgkmcnt(0)
	v_cmp_lt_i64_e32 vcc, v[44:45], v[42:43]
	s_nop 1
	v_cndmask_b32_e32 v43, v43, v45, vcc
	v_cndmask_b32_e32 v42, v42, v44, vcc
	ds_write_b64 v2, v[42:43]
.LBB61_44:                              ;   in Loop: Header=BB61_7 Depth=1
	s_or_b64 exec, exec, s[18:19]
	s_waitcnt lgkmcnt(0)
	s_barrier
	s_and_saveexec_b64 s[18:19], s[8:9]
	s_cbranch_execz .LBB61_46
; %bb.45:                               ;   in Loop: Header=BB61_7 Depth=1
	ds_read2_b64 v[42:45], v2 offset1:16
	s_waitcnt lgkmcnt(0)
	v_cmp_lt_i64_e32 vcc, v[44:45], v[42:43]
	s_nop 1
	v_cndmask_b32_e32 v43, v43, v45, vcc
	v_cndmask_b32_e32 v42, v42, v44, vcc
	ds_write_b64 v2, v[42:43]
.LBB61_46:                              ;   in Loop: Header=BB61_7 Depth=1
	;; [unrolled: 14-line block ×5, first 2 shown]
	s_or_b64 exec, exec, s[18:19]
	s_waitcnt lgkmcnt(0)
	s_barrier
	s_and_saveexec_b64 s[18:19], s[16:17]
	s_cbranch_execz .LBB61_6
; %bb.53:                               ;   in Loop: Header=BB61_7 Depth=1
	ds_read_b128 v[42:45], v4
	s_waitcnt lgkmcnt(0)
	v_cmp_lt_i64_e32 vcc, v[44:45], v[42:43]
	s_nop 1
	v_cndmask_b32_e32 v43, v43, v45, vcc
	v_cndmask_b32_e32 v42, v42, v44, vcc
	ds_write_b64 v4, v[42:43]
	s_branch .LBB61_6
.LBB61_54:                              ;   in Loop: Header=BB61_7 Depth=1
	ds_read_b32 v5, v54
	v_lshl_add_u64 v[50:51], v[0:1], 2, v[44:45]
	v_cndmask_b32_e64 v51, v51, v47, s[0:1]
	v_cndmask_b32_e64 v50, v50, v46, s[0:1]
	s_waitcnt lgkmcnt(0)
	global_store_dword v[50:51], v5, off
	s_or_b64 exec, exec, s[18:19]
	s_and_saveexec_b64 s[18:19], s[36:37]
	s_cbranch_execz .LBB61_22
.LBB61_55:                              ;   in Loop: Header=BB61_7 Depth=1
	ds_read_b32 v5, v54 offset:16
	v_lshl_add_u64 v[50:51], v[46:47], 0, 16
	v_lshl_add_u64 v[56:57], v[12:13], 2, v[44:45]
	v_cndmask_b32_e64 v51, v57, v51, s[0:1]
	v_cndmask_b32_e64 v50, v56, v50, s[0:1]
	s_waitcnt lgkmcnt(0)
	global_store_dword v[50:51], v5, off
	s_or_b64 exec, exec, s[18:19]
	s_and_saveexec_b64 s[18:19], s[38:39]
	s_cbranch_execz .LBB61_23
.LBB61_56:                              ;   in Loop: Header=BB61_7 Depth=1
	ds_read_b32 v5, v54 offset:32
	v_lshl_add_u64 v[50:51], v[46:47], 0, 32
	v_lshl_add_u64 v[56:57], v[14:15], 2, v[44:45]
	v_cndmask_b32_e64 v51, v57, v51, s[0:1]
	v_cndmask_b32_e64 v50, v56, v50, s[0:1]
	s_waitcnt lgkmcnt(0)
	global_store_dword v[50:51], v5, off
	s_or_b64 exec, exec, s[18:19]
	s_and_saveexec_b64 s[18:19], s[40:41]
	s_cbranch_execz .LBB61_24
.LBB61_57:                              ;   in Loop: Header=BB61_7 Depth=1
	ds_read_b32 v5, v54 offset:48
	v_lshl_add_u64 v[50:51], v[46:47], 0, 48
	v_lshl_add_u64 v[56:57], v[16:17], 2, v[44:45]
	v_cndmask_b32_e64 v51, v57, v51, s[0:1]
	v_cndmask_b32_e64 v50, v56, v50, s[0:1]
	s_waitcnt lgkmcnt(0)
	global_store_dword v[50:51], v5, off
	s_or_b64 exec, exec, s[18:19]
	s_and_saveexec_b64 s[18:19], s[42:43]
	s_cbranch_execz .LBB61_25
.LBB61_58:                              ;   in Loop: Header=BB61_7 Depth=1
	ds_read_b32 v5, v54 offset:64
	v_lshl_add_u64 v[50:51], v[46:47], 0, 64
	v_lshl_add_u64 v[56:57], v[18:19], 2, v[44:45]
	v_cndmask_b32_e64 v51, v57, v51, s[0:1]
	v_cndmask_b32_e64 v50, v56, v50, s[0:1]
	s_waitcnt lgkmcnt(0)
	global_store_dword v[50:51], v5, off
	s_or_b64 exec, exec, s[18:19]
	s_and_saveexec_b64 s[18:19], s[44:45]
	s_cbranch_execz .LBB61_26
.LBB61_59:                              ;   in Loop: Header=BB61_7 Depth=1
	ds_read_b32 v5, v54 offset:80
	s_mov_b64 s[88:89], 0x50
	v_lshl_add_u64 v[50:51], v[46:47], 0, s[88:89]
	v_lshl_add_u64 v[56:57], v[20:21], 2, v[44:45]
	v_cndmask_b32_e64 v51, v57, v51, s[0:1]
	v_cndmask_b32_e64 v50, v56, v50, s[0:1]
	s_waitcnt lgkmcnt(0)
	global_store_dword v[50:51], v5, off
	s_or_b64 exec, exec, s[18:19]
	s_and_saveexec_b64 s[18:19], s[46:47]
	s_cbranch_execz .LBB61_27
.LBB61_60:                              ;   in Loop: Header=BB61_7 Depth=1
	ds_read_b32 v5, v54 offset:96
	s_mov_b64 s[88:89], 0x60
	v_lshl_add_u64 v[50:51], v[46:47], 0, s[88:89]
	v_lshl_add_u64 v[56:57], v[22:23], 2, v[44:45]
	v_cndmask_b32_e64 v51, v57, v51, s[0:1]
	v_cndmask_b32_e64 v50, v56, v50, s[0:1]
	s_waitcnt lgkmcnt(0)
	global_store_dword v[50:51], v5, off
	s_or_b64 exec, exec, s[18:19]
	s_and_saveexec_b64 s[18:19], s[48:49]
	s_cbranch_execz .LBB61_28
.LBB61_61:                              ;   in Loop: Header=BB61_7 Depth=1
	ds_read_b32 v5, v54 offset:112
	v_lshl_add_u64 v[50:51], v[46:47], 0, s[70:71]
	v_lshl_add_u64 v[56:57], v[24:25], 2, v[44:45]
	v_cndmask_b32_e64 v51, v57, v51, s[0:1]
	v_cndmask_b32_e64 v50, v56, v50, s[0:1]
	s_waitcnt lgkmcnt(0)
	global_store_dword v[50:51], v5, off
	s_or_b64 exec, exec, s[18:19]
	s_and_saveexec_b64 s[18:19], s[50:51]
	s_cbranch_execz .LBB61_29
.LBB61_62:                              ;   in Loop: Header=BB61_7 Depth=1
	ds_read_b32 v5, v54 offset:128
	v_lshl_add_u64 v[50:51], v[46:47], 0, s[72:73]
	v_lshl_add_u64 v[56:57], v[26:27], 2, v[44:45]
	v_cndmask_b32_e64 v51, v57, v51, s[0:1]
	v_cndmask_b32_e64 v50, v56, v50, s[0:1]
	s_waitcnt lgkmcnt(0)
	global_store_dword v[50:51], v5, off
	s_or_b64 exec, exec, s[18:19]
	s_and_saveexec_b64 s[18:19], s[52:53]
	s_cbranch_execz .LBB61_30
.LBB61_63:                              ;   in Loop: Header=BB61_7 Depth=1
	ds_read_b32 v5, v54 offset:144
	v_lshl_add_u64 v[50:51], v[46:47], 0, s[74:75]
	v_lshl_add_u64 v[56:57], v[28:29], 2, v[44:45]
	v_cndmask_b32_e64 v51, v57, v51, s[0:1]
	v_cndmask_b32_e64 v50, v56, v50, s[0:1]
	s_waitcnt lgkmcnt(0)
	global_store_dword v[50:51], v5, off
	s_or_b64 exec, exec, s[18:19]
	s_and_saveexec_b64 s[18:19], s[54:55]
	s_cbranch_execz .LBB61_31
.LBB61_64:                              ;   in Loop: Header=BB61_7 Depth=1
	ds_read_b32 v5, v54 offset:160
	v_lshl_add_u64 v[50:51], v[46:47], 0, s[76:77]
	v_lshl_add_u64 v[56:57], v[30:31], 2, v[44:45]
	v_cndmask_b32_e64 v51, v57, v51, s[0:1]
	v_cndmask_b32_e64 v50, v56, v50, s[0:1]
	s_waitcnt lgkmcnt(0)
	global_store_dword v[50:51], v5, off
	s_or_b64 exec, exec, s[18:19]
	s_and_saveexec_b64 s[18:19], s[56:57]
	s_cbranch_execz .LBB61_32
.LBB61_65:                              ;   in Loop: Header=BB61_7 Depth=1
	ds_read_b32 v5, v54 offset:176
	v_lshl_add_u64 v[50:51], v[46:47], 0, s[78:79]
	v_lshl_add_u64 v[56:57], v[32:33], 2, v[44:45]
	v_cndmask_b32_e64 v51, v57, v51, s[0:1]
	v_cndmask_b32_e64 v50, v56, v50, s[0:1]
	s_waitcnt lgkmcnt(0)
	global_store_dword v[50:51], v5, off
	s_or_b64 exec, exec, s[18:19]
	s_and_saveexec_b64 s[18:19], s[58:59]
	s_cbranch_execz .LBB61_33
.LBB61_66:                              ;   in Loop: Header=BB61_7 Depth=1
	ds_read_b32 v5, v54 offset:192
	v_lshl_add_u64 v[50:51], v[46:47], 0, s[80:81]
	v_lshl_add_u64 v[56:57], v[34:35], 2, v[44:45]
	v_cndmask_b32_e64 v51, v57, v51, s[0:1]
	v_cndmask_b32_e64 v50, v56, v50, s[0:1]
	s_waitcnt lgkmcnt(0)
	global_store_dword v[50:51], v5, off
	s_or_b64 exec, exec, s[18:19]
	s_and_saveexec_b64 s[18:19], s[60:61]
	s_cbranch_execz .LBB61_34
.LBB61_67:                              ;   in Loop: Header=BB61_7 Depth=1
	ds_read_b32 v5, v54 offset:208
	v_lshl_add_u64 v[50:51], v[46:47], 0, s[82:83]
	v_lshl_add_u64 v[56:57], v[36:37], 2, v[44:45]
	v_cndmask_b32_e64 v51, v57, v51, s[0:1]
	v_cndmask_b32_e64 v50, v56, v50, s[0:1]
	s_waitcnt lgkmcnt(0)
	global_store_dword v[50:51], v5, off
	s_or_b64 exec, exec, s[18:19]
	s_and_saveexec_b64 s[18:19], s[62:63]
	s_cbranch_execz .LBB61_35
.LBB61_68:                              ;   in Loop: Header=BB61_7 Depth=1
	ds_read_b32 v5, v54 offset:224
	v_lshl_add_u64 v[50:51], v[46:47], 0, s[84:85]
	v_lshl_add_u64 v[56:57], v[38:39], 2, v[44:45]
	v_cndmask_b32_e64 v51, v57, v51, s[0:1]
	v_cndmask_b32_e64 v50, v56, v50, s[0:1]
	s_waitcnt lgkmcnt(0)
	global_store_dword v[50:51], v5, off
	s_or_b64 exec, exec, s[18:19]
	s_and_saveexec_b64 s[18:19], s[64:65]
	s_cbranch_execnz .LBB61_36
	s_branch .LBB61_37
.LBB61_69:
	s_endpgm
	.section	.rodata,"a",@progbits
	.p2align	6, 0x0
	.amdhsa_kernel _ZN9rocsparseL38csr2bsr_block_per_row_multipass_kernelILj256ELj64EfilEEv20rocsparse_direction_T3_S2_S2_S2_S2_21rocsparse_index_base_PKT1_PKT2_PKS2_S3_PS4_PS7_PS2_
		.amdhsa_group_segment_fixed_size 16388
		.amdhsa_private_segment_fixed_size 0
		.amdhsa_kernarg_size 112
		.amdhsa_user_sgpr_count 2
		.amdhsa_user_sgpr_dispatch_ptr 0
		.amdhsa_user_sgpr_queue_ptr 0
		.amdhsa_user_sgpr_kernarg_segment_ptr 1
		.amdhsa_user_sgpr_dispatch_id 0
		.amdhsa_user_sgpr_kernarg_preload_length 0
		.amdhsa_user_sgpr_kernarg_preload_offset 0
		.amdhsa_user_sgpr_private_segment_size 0
		.amdhsa_uses_dynamic_stack 0
		.amdhsa_enable_private_segment 0
		.amdhsa_system_sgpr_workgroup_id_x 1
		.amdhsa_system_sgpr_workgroup_id_y 0
		.amdhsa_system_sgpr_workgroup_id_z 0
		.amdhsa_system_sgpr_workgroup_info 0
		.amdhsa_system_vgpr_workitem_id 0
		.amdhsa_next_free_vgpr 62
		.amdhsa_next_free_sgpr 100
		.amdhsa_accum_offset 64
		.amdhsa_reserve_vcc 1
		.amdhsa_float_round_mode_32 0
		.amdhsa_float_round_mode_16_64 0
		.amdhsa_float_denorm_mode_32 3
		.amdhsa_float_denorm_mode_16_64 3
		.amdhsa_dx10_clamp 1
		.amdhsa_ieee_mode 1
		.amdhsa_fp16_overflow 0
		.amdhsa_tg_split 0
		.amdhsa_exception_fp_ieee_invalid_op 0
		.amdhsa_exception_fp_denorm_src 0
		.amdhsa_exception_fp_ieee_div_zero 0
		.amdhsa_exception_fp_ieee_overflow 0
		.amdhsa_exception_fp_ieee_underflow 0
		.amdhsa_exception_fp_ieee_inexact 0
		.amdhsa_exception_int_div_zero 0
	.end_amdhsa_kernel
	.section	.text._ZN9rocsparseL38csr2bsr_block_per_row_multipass_kernelILj256ELj64EfilEEv20rocsparse_direction_T3_S2_S2_S2_S2_21rocsparse_index_base_PKT1_PKT2_PKS2_S3_PS4_PS7_PS2_,"axG",@progbits,_ZN9rocsparseL38csr2bsr_block_per_row_multipass_kernelILj256ELj64EfilEEv20rocsparse_direction_T3_S2_S2_S2_S2_21rocsparse_index_base_PKT1_PKT2_PKS2_S3_PS4_PS7_PS2_,comdat
.Lfunc_end61:
	.size	_ZN9rocsparseL38csr2bsr_block_per_row_multipass_kernelILj256ELj64EfilEEv20rocsparse_direction_T3_S2_S2_S2_S2_21rocsparse_index_base_PKT1_PKT2_PKS2_S3_PS4_PS7_PS2_, .Lfunc_end61-_ZN9rocsparseL38csr2bsr_block_per_row_multipass_kernelILj256ELj64EfilEEv20rocsparse_direction_T3_S2_S2_S2_S2_21rocsparse_index_base_PKT1_PKT2_PKS2_S3_PS4_PS7_PS2_
                                        ; -- End function
	.section	.AMDGPU.csdata,"",@progbits
; Kernel info:
; codeLenInByte = 4336
; NumSgprs: 106
; NumVgprs: 62
; NumAgprs: 0
; TotalNumVgprs: 62
; ScratchSize: 0
; MemoryBound: 0
; FloatMode: 240
; IeeeMode: 1
; LDSByteSize: 16388 bytes/workgroup (compile time only)
; SGPRBlocks: 13
; VGPRBlocks: 7
; NumSGPRsForWavesPerEU: 106
; NumVGPRsForWavesPerEU: 62
; AccumOffset: 64
; Occupancy: 3
; WaveLimiterHint : 1
; COMPUTE_PGM_RSRC2:SCRATCH_EN: 0
; COMPUTE_PGM_RSRC2:USER_SGPR: 2
; COMPUTE_PGM_RSRC2:TRAP_HANDLER: 0
; COMPUTE_PGM_RSRC2:TGID_X_EN: 1
; COMPUTE_PGM_RSRC2:TGID_Y_EN: 0
; COMPUTE_PGM_RSRC2:TGID_Z_EN: 0
; COMPUTE_PGM_RSRC2:TIDIG_COMP_CNT: 0
; COMPUTE_PGM_RSRC3_GFX90A:ACCUM_OFFSET: 15
; COMPUTE_PGM_RSRC3_GFX90A:TG_SPLIT: 0
	.section	.text._ZN9rocsparseL21csr2bsr_65_inf_kernelILj32EfilEEv20rocsparse_direction_T2_S2_S2_S2_S2_S2_21rocsparse_index_base_PKT0_PKT1_PKS2_S3_PS4_PS7_PS2_SD_SE_SC_,"axG",@progbits,_ZN9rocsparseL21csr2bsr_65_inf_kernelILj32EfilEEv20rocsparse_direction_T2_S2_S2_S2_S2_S2_21rocsparse_index_base_PKT0_PKT1_PKS2_S3_PS4_PS7_PS2_SD_SE_SC_,comdat
	.globl	_ZN9rocsparseL21csr2bsr_65_inf_kernelILj32EfilEEv20rocsparse_direction_T2_S2_S2_S2_S2_S2_21rocsparse_index_base_PKT0_PKT1_PKS2_S3_PS4_PS7_PS2_SD_SE_SC_ ; -- Begin function _ZN9rocsparseL21csr2bsr_65_inf_kernelILj32EfilEEv20rocsparse_direction_T2_S2_S2_S2_S2_S2_21rocsparse_index_base_PKT0_PKT1_PKS2_S3_PS4_PS7_PS2_SD_SE_SC_
	.p2align	8
	.type	_ZN9rocsparseL21csr2bsr_65_inf_kernelILj32EfilEEv20rocsparse_direction_T2_S2_S2_S2_S2_S2_21rocsparse_index_base_PKT0_PKT1_PKS2_S3_PS4_PS7_PS2_SD_SE_SC_,@function
_ZN9rocsparseL21csr2bsr_65_inf_kernelILj32EfilEEv20rocsparse_direction_T2_S2_S2_S2_S2_S2_21rocsparse_index_base_PKT0_PKT1_PKS2_S3_PS4_PS7_PS2_SD_SE_SC_: ; @_ZN9rocsparseL21csr2bsr_65_inf_kernelILj32EfilEEv20rocsparse_direction_T2_S2_S2_S2_S2_S2_21rocsparse_index_base_PKT0_PKT1_PKS2_S3_PS4_PS7_PS2_SD_SE_SC_
; %bb.0:
	s_load_dwordx2 s[4:5], s[0:1], 0x18
	s_load_dwordx4 s[8:11], s[0:1], 0x8
	s_mov_b32 s3, 0
	s_mov_b64 s[6:7], 0
	s_waitcnt lgkmcnt(0)
	v_mov_b32_e32 v2, s4
	v_mov_b32_e32 v3, s5
	s_load_dwordx2 s[4:5], s[0:1], 0x78
	s_load_dword s16, s[0:1], 0x58
	v_cmp_ge_i64_e32 vcc, s[2:3], v[2:3]
	s_cbranch_vccnz .LBB62_2
; %bb.1:
	s_load_dwordx2 s[6:7], s[0:1], 0x68
	s_lshl_b64 s[12:13], s[2:3], 2
	s_waitcnt lgkmcnt(0)
	s_add_u32 s6, s6, s12
	s_addc_u32 s7, s7, s13
	s_load_dword s3, s[6:7], 0x0
	s_waitcnt lgkmcnt(0)
	s_sub_i32 s6, s3, s16
	s_ashr_i32 s7, s6, 31
.LBB62_2:
	s_load_dwordx4 s[12:15], s[0:1], 0x28
	s_load_dword s33, s[0:1], 0x38
	v_mov_b32_e32 v1, 0
	s_waitcnt lgkmcnt(0)
	s_mul_i32 s3, s2, s15
	s_mul_hi_u32 s17, s2, s14
	s_mul_i32 s18, s2, s14
	s_add_i32 s19, s17, s3
	s_lshl_b64 s[18:19], s[18:19], 8
	s_add_u32 s4, s4, s18
	s_addc_u32 s5, s5, s19
	v_mad_u64_u32 v[8:9], s[18:19], v0, s14, 0
	v_mov_b32_e32 v2, v9
	v_mad_u64_u32 v[2:3], s[18:19], v0, s15, v[2:3]
	v_mov_b32_e32 v9, v2
	v_lshlrev_b64 v[4:5], 2, v[8:9]
	s_lshl_b64 s[18:19], s[14:15], 7
	v_lshl_add_u64 v[2:3], s[4:5], 0, v[4:5]
	s_add_u32 s4, s4, s18
	s_addc_u32 s5, s5, s19
	v_lshl_add_u64 v[4:5], s[4:5], 0, v[4:5]
	v_cmp_lt_i64_e64 s[4:5], s[14:15], 1
	v_cmp_gt_i64_e64 s[36:37], s[14:15], 0
	s_and_b64 vcc, exec, s[4:5]
	s_cbranch_vccnz .LBB62_7
; %bb.3:
	s_load_dwordx2 s[4:5], s[0:1], 0x48
	v_mov_b32_e32 v6, s12
	s_mul_i32 s3, s2, s13
	v_mad_u64_u32 v[6:7], s[20:21], s2, v6, v[0:1]
	v_add_u32_e32 v7, s3, v7
	s_mul_hi_u32 s17, s2, s12
	s_waitcnt lgkmcnt(0)
	v_lshl_add_u64 v[6:7], v[6:7], 2, s[4:5]
	s_add_i32 s19, s17, s3
	s_mul_i32 s18, s2, s12
	v_lshl_add_u64 v[6:7], v[6:7], 0, 4
	s_mov_b64 s[20:21], 0x80
	v_mov_b64_e32 v[10:11], v[4:5]
	v_mov_b64_e32 v[12:13], v[2:3]
	;; [unrolled: 1-line block ×3, first 2 shown]
	s_mov_b64 s[22:23], s[14:15]
	s_branch .LBB62_5
.LBB62_4:                               ;   in Loop: Header=BB62_5 Depth=1
	s_or_b64 exec, exec, s[4:5]
	s_add_u32 s22, s22, -1
	s_addc_u32 s23, s23, -1
	v_lshl_add_u64 v[14:15], v[14:15], 0, 32
	v_lshl_add_u64 v[12:13], v[12:13], 0, 4
	v_lshl_add_u64 v[6:7], v[6:7], 0, s[20:21]
	s_cmp_eq_u64 s[22:23], 0
	v_lshl_add_u64 v[10:11], v[10:11], 0, 4
	s_cbranch_scc1 .LBB62_7
.LBB62_5:                               ; =>This Inner Loop Header: Depth=1
	v_lshl_add_u64 v[16:17], s[18:19], 0, v[14:15]
	v_cmp_gt_i64_e32 vcc, s[8:9], v[16:17]
	v_cmp_gt_i64_e64 s[4:5], s[12:13], v[14:15]
	s_and_b64 s[24:25], vcc, s[4:5]
	global_store_dword v[12:13], v1, off
	global_store_dword v[10:11], v1, off
	s_and_saveexec_b64 s[4:5], s[24:25]
	s_cbranch_execz .LBB62_4
; %bb.6:                                ;   in Loop: Header=BB62_5 Depth=1
	global_load_dwordx2 v[16:17], v[6:7], off offset:-4
	s_waitcnt vmcnt(0)
	v_subrev_u32_e32 v16, s33, v16
	v_subrev_u32_e32 v17, s33, v17
	global_store_dword v[12:13], v16, off
	global_store_dword v[10:11], v17, off
	s_branch .LBB62_4
.LBB62_7:
	v_cmp_lt_i64_e64 s[4:5], s[10:11], 1
	s_and_b64 vcc, exec, s[4:5]
	s_cbranch_vccnz .LBB62_52
; %bb.8:
	s_load_dwordx4 s[20:23], s[0:1], 0x80
	s_load_dwordx2 s[4:5], s[0:1], 0x70
	s_lshl_b64 s[8:9], s[14:15], 5
	s_mul_i32 s3, s9, s2
	s_mul_hi_u32 s9, s8, s2
	s_add_i32 s3, s9, s3
	s_mul_i32 s2, s8, s2
	s_lshl_b64 s[8:9], s[2:3], 3
	s_waitcnt lgkmcnt(0)
	s_add_u32 s8, s20, s8
	s_addc_u32 s9, s21, s9
	s_lshl_b64 s[2:3], s[2:3], 2
	v_lshl_add_u64 v[6:7], v[8:9], 3, s[8:9]
	s_add_u32 s2, s22, s2
	s_load_dwordx2 s[8:9], s[0:1], 0x60
	s_load_dwordx2 s[18:19], s[0:1], 0x50
	;; [unrolled: 1-line block ×3, first 2 shown]
	s_load_dword s24, s[0:1], 0x0
	s_addc_u32 s3, s23, s3
	v_lshl_add_u64 v[8:9], v[8:9], 2, s[2:3]
	s_lshl_b64 s[2:3], s[6:7], 3
	s_add_u32 s22, s4, s2
	s_addc_u32 s23, s5, s3
	v_mbcnt_lo_u32_b32 v11, -1, 0
	v_mov_b32_e32 v10, 0
	v_mbcnt_hi_u32_b32 v11, -1, v11
	v_mov_b32_e32 v12, 0x7c
	s_waitcnt lgkmcnt(0)
	s_cmp_lg_u32 s24, 0
	s_mov_b32 s48, 0
	v_lshl_or_b32 v36, v11, 2, v12
	s_cselect_b64 s[24:25], -1, 0
	s_add_u32 s26, s6, -1
	v_lshlrev_b32_e32 v12, 2, v0
	v_mov_b32_e32 v13, v10
	v_mov_b64_e32 v[18:19], 0
	v_cndmask_b32_e64 v11, 0, 1, s[36:37]
	v_cmp_eq_u32_e64 s[0:1], 31, v0
	s_mov_b32 s17, s48
	s_addc_u32 s27, s7, -1
	s_lshl_b64 s[28:29], s[12:13], 2
	s_lshl_b64 s[30:31], s[12:13], 7
	v_lshl_add_u64 v[12:13], s[8:9], 0, v[12:13]
	s_mov_b64 s[34:35], 0
	v_cmp_ne_u32_e64 s[2:3], 1, v11
	s_mov_b64 s[36:37], 0x80
	v_mov_b64_e32 v[16:17], v[18:19]
	v_mov_b64_e32 v[14:15], v[18:19]
	s_branch .LBB62_10
.LBB62_9:                               ;   in Loop: Header=BB62_10 Depth=1
	s_waitcnt lgkmcnt(2)
	v_lshl_add_u64 v[18:19], v[18:19], 0, 1
	v_cmp_le_i64_e32 vcc, s[10:11], v[18:19]
	s_or_b64 s[34:35], vcc, s[34:35]
	s_andn2_b64 exec, exec, s[34:35]
	s_cbranch_execz .LBB62_52
.LBB62_10:                              ; =>This Loop Header: Depth=1
                                        ;     Child Loop BB62_14 Depth 2
                                        ;       Child Loop BB62_17 Depth 3
                                        ;     Child Loop BB62_33 Depth 2
	s_and_b64 vcc, exec, s[2:3]
	v_mov_b64_e32 v[20:21], s[10:11]
	s_cbranch_vccnz .LBB62_23
; %bb.11:                               ;   in Loop: Header=BB62_10 Depth=1
	s_mov_b64 s[4:5], 0
	v_mov_b64_e32 v[20:21], s[10:11]
	s_branch .LBB62_14
.LBB62_12:                              ;   in Loop: Header=BB62_14 Depth=2
	s_or_b64 exec, exec, s[38:39]
.LBB62_13:                              ;   in Loop: Header=BB62_14 Depth=2
	s_or_b64 exec, exec, s[6:7]
	s_add_u32 s4, s4, 1
	s_addc_u32 s5, s5, 0
	s_cmp_eq_u64 s[4:5], s[14:15]
	s_cbranch_scc1 .LBB62_23
.LBB62_14:                              ;   Parent Loop BB62_10 Depth=1
                                        ; =>  This Loop Header: Depth=2
                                        ;       Child Loop BB62_17 Depth 3
	s_lshl_b64 s[6:7], s[4:5], 2
	v_lshl_add_u64 v[22:23], v[2:3], 0, s[6:7]
	v_lshl_add_u64 v[24:25], v[4:5], 0, s[6:7]
	global_load_dword v32, v[22:23], off
	global_load_dword v11, v[24:25], off
	v_lshl_add_u64 v[24:25], v[8:9], 0, s[6:7]
	v_lshl_add_u64 v[26:27], s[4:5], 3, v[6:7]
	v_mov_b64_e32 v[28:29], s[10:11]
	global_store_dword v[24:25], v10, off
	global_store_dwordx2 v[26:27], v[28:29], off
	s_waitcnt vmcnt(2)
	v_cmp_lt_i32_e32 vcc, v32, v11
	s_and_saveexec_b64 s[6:7], vcc
	s_cbranch_execz .LBB62_13
; %bb.15:                               ;   in Loop: Header=BB62_14 Depth=2
	v_ashrrev_i32_e32 v33, 31, v32
	v_lshl_add_u64 v[34:35], v[32:33], 3, s[18:19]
	s_mov_b64 s[38:39], 0
                                        ; implicit-def: $sgpr40_sgpr41
                                        ; implicit-def: $sgpr44_sgpr45
                                        ; implicit-def: $sgpr42_sgpr43
	s_branch .LBB62_17
.LBB62_16:                              ;   in Loop: Header=BB62_17 Depth=3
	s_or_b64 exec, exec, s[46:47]
	s_and_b64 s[46:47], exec, s[44:45]
	s_or_b64 s[38:39], s[46:47], s[38:39]
	s_andn2_b64 s[40:41], s[40:41], exec
	s_and_b64 s[46:47], s[42:43], exec
	s_or_b64 s[40:41], s[40:41], s[46:47]
	s_andn2_b64 exec, exec, s[38:39]
	s_cbranch_execz .LBB62_19
.LBB62_17:                              ;   Parent Loop BB62_10 Depth=1
                                        ;     Parent Loop BB62_14 Depth=2
                                        ; =>    This Inner Loop Header: Depth=3
	global_load_dwordx2 v[30:31], v[34:35], off
	v_mov_b64_e32 v[28:29], v[32:33]
	v_mov_b32_e32 v32, s48
	s_or_b64 s[42:43], s[42:43], exec
	s_or_b64 s[44:45], s[44:45], exec
	s_waitcnt vmcnt(0)
	v_subrev_co_u32_e32 v30, vcc, s33, v30
	s_nop 1
	v_subb_co_u32_e32 v31, vcc, v31, v32, vcc
	v_cmp_lt_i64_e32 vcc, v[30:31], v[18:19]
                                        ; implicit-def: $vgpr32_vgpr33
	s_and_saveexec_b64 s[46:47], vcc
	s_cbranch_execz .LBB62_16
; %bb.18:                               ;   in Loop: Header=BB62_17 Depth=3
	v_lshl_add_u64 v[32:33], v[28:29], 0, 1
	v_cmp_ge_i32_e32 vcc, v32, v11
	s_andn2_b64 s[44:45], s[44:45], exec
	s_and_b64 s[50:51], vcc, exec
	v_lshl_add_u64 v[34:35], v[34:35], 0, 8
	s_andn2_b64 s[42:43], s[42:43], exec
	s_or_b64 s[44:45], s[44:45], s[50:51]
	s_branch .LBB62_16
.LBB62_19:                              ;   in Loop: Header=BB62_14 Depth=2
	s_or_b64 exec, exec, s[38:39]
	s_xor_b64 s[38:39], s[40:41], -1
	v_lshl_add_u64 v[32:33], v[28:29], 2, s[20:21]
	s_and_saveexec_b64 s[40:41], s[38:39]
	s_xor_b64 s[38:39], exec, s[40:41]
	s_cbranch_execz .LBB62_21
; %bb.20:                               ;   in Loop: Header=BB62_14 Depth=2
	global_load_dword v11, v[32:33], off
                                        ; implicit-def: $vgpr32_vgpr33
                                        ; implicit-def: $vgpr22_vgpr23
	s_waitcnt vmcnt(0)
	global_store_dword v[24:25], v11, off
	global_store_dwordx2 v[26:27], v[30:31], off
                                        ; implicit-def: $vgpr24_vgpr25
                                        ; implicit-def: $vgpr26_vgpr27
.LBB62_21:                              ;   in Loop: Header=BB62_14 Depth=2
	s_andn2_saveexec_b64 s[38:39], s[38:39]
	s_cbranch_execz .LBB62_12
; %bb.22:                               ;   in Loop: Header=BB62_14 Depth=2
	global_load_dword v11, v[32:33], off
	v_cmp_lt_i64_e32 vcc, v[30:31], v[20:21]
	global_store_dwordx2 v[26:27], v[30:31], off
	s_waitcnt vmcnt(1)
	global_store_dword v[24:25], v11, off
	global_store_dword v[22:23], v28, off
	v_cndmask_b32_e32 v21, v21, v31, vcc
	v_cndmask_b32_e32 v20, v20, v30, vcc
	s_branch .LBB62_12
.LBB62_23:                              ;   in Loop: Header=BB62_10 Depth=1
	s_nop 0
	v_mov_b32_dpp v18, v20 row_shr:1 row_mask:0xf bank_mask:0xf
	v_mov_b32_dpp v19, v21 row_shr:1 row_mask:0xf bank_mask:0xf
	v_cmp_lt_i64_e32 vcc, v[18:19], v[20:21]
	s_nop 1
	v_cndmask_b32_e32 v19, v21, v19, vcc
	v_cndmask_b32_e32 v18, v20, v18, vcc
	s_nop 0
	v_mov_b32_dpp v21, v19 row_shr:2 row_mask:0xf bank_mask:0xf
	v_mov_b32_dpp v20, v18 row_shr:2 row_mask:0xf bank_mask:0xf
	v_cmp_lt_i64_e32 vcc, v[20:21], v[18:19]
	s_nop 1
	v_cndmask_b32_e32 v19, v19, v21, vcc
	v_cndmask_b32_e32 v18, v18, v20, vcc
	;; [unrolled: 7-line block ×4, first 2 shown]
	s_nop 0
	v_mov_b32_dpp v21, v19 row_bcast:15 row_mask:0xa bank_mask:0xf
	v_mov_b32_dpp v20, v18 row_bcast:15 row_mask:0xa bank_mask:0xf
	v_cmp_lt_i64_e32 vcc, v[20:21], v[18:19]
	s_nop 1
	v_cndmask_b32_e32 v19, v19, v21, vcc
	v_cndmask_b32_e32 v18, v18, v20, vcc
	v_cmp_gt_i64_e32 vcc, s[10:11], v[18:19]
	s_and_b64 s[4:5], s[0:1], vcc
	s_and_saveexec_b64 s[6:7], s[4:5]
	s_cbranch_execz .LBB62_29
; %bb.24:                               ;   in Loop: Header=BB62_10 Depth=1
	v_or_b32_e32 v11, s13, v19
	v_cmp_ne_u64_e32 vcc, 0, v[10:11]
                                        ; implicit-def: $vgpr20_vgpr21
	s_and_saveexec_b64 s[4:5], vcc
	s_xor_b64 s[38:39], exec, s[4:5]
	s_cbranch_execnz .LBB62_50
; %bb.25:                               ;   in Loop: Header=BB62_10 Depth=1
	s_andn2_saveexec_b64 s[4:5], s[38:39]
	s_cbranch_execnz .LBB62_51
.LBB62_26:                              ;   in Loop: Header=BB62_10 Depth=1
	s_or_b64 exec, exec, s[4:5]
	v_cmp_ge_i64_e32 vcc, v[20:21], v[16:17]
	s_and_saveexec_b64 s[4:5], vcc
	s_cbranch_execz .LBB62_28
.LBB62_27:                              ;   in Loop: Header=BB62_10 Depth=1
	v_lshl_add_u64 v[16:17], v[20:21], 0, s[16:17]
	s_waitcnt lgkmcnt(0)
	v_lshl_add_u64 v[22:23], v[14:15], 3, s[22:23]
	global_store_dwordx2 v[22:23], v[16:17], off
	v_lshl_add_u64 v[14:15], v[14:15], 0, 1
	v_lshl_add_u64 v[16:17], v[20:21], 0, 1
.LBB62_28:                              ;   in Loop: Header=BB62_10 Depth=1
	s_or_b64 exec, exec, s[4:5]
.LBB62_29:                              ;   in Loop: Header=BB62_10 Depth=1
	s_or_b64 exec, exec, s[6:7]
	ds_bpermute_b32 v18, v36, v18
	ds_bpermute_b32 v19, v36, v19
	s_waitcnt lgkmcnt(3)
	ds_bpermute_b32 v14, v36, v14
	s_waitcnt lgkmcnt(3)
	ds_bpermute_b32 v15, v36, v15
	s_and_b64 vcc, exec, s[2:3]
	s_cbranch_vccnz .LBB62_9
; %bb.30:                               ;   in Loop: Header=BB62_10 Depth=1
	s_waitcnt lgkmcnt(0)
	v_lshl_add_u64 v[20:21], s[26:27], 0, v[14:15]
	v_mov_b32_e32 v11, v15
	v_mul_lo_u32 v24, v21, s12
	v_mul_lo_u32 v25, v20, s13
	v_mad_u64_u32 v[20:21], s[4:5], v20, s12, 0
	v_mov_b32_e32 v22, v14
	v_mov_b32_e32 v23, v10
	v_add3_u32 v21, v21, v25, v24
	v_lshl_add_u64 v[24:25], s[26:27], 0, v[10:11]
	v_lshl_add_u64 v[22:23], v[24:25], 0, v[22:23]
	v_mul_lo_u32 v11, s12, v23
	v_mul_lo_u32 v24, s13, v22
	v_mad_u64_u32 v[22:23], s[4:5], s12, v22, v[0:1]
	v_add3_u32 v11, v24, v23, v11
	v_mov_b64_e32 v[24:25], s[8:9]
	v_mul_lo_u32 v11, s28, v11
	v_mul_lo_u32 v26, s29, v22
	v_mad_u64_u32 v[22:23], s[4:5], s28, v22, v[24:25]
	v_add3_u32 v23, v26, v23, v11
	v_mov_b64_e32 v[24:25], v[6:7]
	v_mov_b64_e32 v[26:27], v[8:9]
	;; [unrolled: 1-line block ×3, first 2 shown]
	s_mov_b64 s[38:39], s[14:15]
	s_branch .LBB62_33
.LBB62_31:                              ;   in Loop: Header=BB62_33 Depth=2
	s_or_b64 exec, exec, s[4:5]
	global_load_dword v11, v[26:27], off
	v_lshl_add_u64 v[30:31], v[32:33], 2, v[22:23]
	s_waitcnt vmcnt(0)
	global_store_dword v[30:31], v11, off
.LBB62_32:                              ;   in Loop: Header=BB62_33 Depth=2
	s_or_b64 exec, exec, s[40:41]
	s_add_u32 s38, s38, -1
	s_addc_u32 s39, s39, -1
	v_lshl_add_u64 v[22:23], v[22:23], 0, s[30:31]
	v_lshl_add_u64 v[28:29], v[28:29], 0, s[36:37]
	;; [unrolled: 1-line block ×3, first 2 shown]
	s_cmp_eq_u64 s[38:39], 0
	v_lshl_add_u64 v[24:25], v[24:25], 0, 8
	s_cbranch_scc1 .LBB62_9
.LBB62_33:                              ;   Parent Loop BB62_10 Depth=1
                                        ; =>  This Inner Loop Header: Depth=2
	global_load_dwordx2 v[30:31], v[24:25], off
	s_waitcnt vmcnt(0)
	v_cmp_gt_i64_e32 vcc, s[10:11], v[30:31]
	s_and_saveexec_b64 s[40:41], vcc
	s_cbranch_execz .LBB62_32
; %bb.34:                               ;   in Loop: Header=BB62_33 Depth=2
	v_or_b32_e32 v37, s13, v31
	v_mov_b32_e32 v11, v37
	v_cmp_ne_u64_e32 vcc, 0, v[10:11]
                                        ; implicit-def: $vgpr32_vgpr33
	s_and_saveexec_b64 s[4:5], vcc
	s_xor_b64 s[6:7], exec, s[4:5]
	s_cbranch_execz .LBB62_36
; %bb.35:                               ;   in Loop: Header=BB62_33 Depth=2
	s_ashr_i32 s42, s13, 31
	s_add_u32 s4, s12, s42
	s_mov_b32 s43, s42
	s_addc_u32 s5, s13, s42
	s_xor_b64 s[44:45], s[4:5], s[42:43]
	v_cvt_f32_u32_e32 v11, s44
	v_cvt_f32_u32_e32 v32, s45
	s_sub_u32 s4, 0, s44
	s_subb_u32 s5, 0, s45
	v_mov_b32_e32 v35, v10
	v_fmac_f32_e32 v11, 0x4f800000, v32
	v_rcp_f32_e32 v11, v11
	s_nop 0
	v_mul_f32_e32 v11, 0x5f7ffffc, v11
	v_mul_f32_e32 v32, 0x2f800000, v11
	v_trunc_f32_e32 v32, v32
	v_fmac_f32_e32 v11, 0xcf800000, v32
	v_cvt_u32_f32_e32 v38, v32
	v_cvt_u32_f32_e32 v11, v11
	v_mul_lo_u32 v32, s4, v38
	v_mul_hi_u32 v34, s4, v11
	v_mul_lo_u32 v33, s5, v11
	v_add_u32_e32 v32, v34, v32
	v_mul_lo_u32 v39, s4, v11
	v_add_u32_e32 v40, v32, v33
	v_mul_hi_u32 v33, v11, v40
	v_mul_lo_u32 v32, v11, v40
	v_mul_hi_u32 v34, v11, v39
	v_lshl_add_u64 v[32:33], v[34:35], 0, v[32:33]
	v_mul_hi_u32 v35, v38, v39
	v_mul_lo_u32 v39, v38, v39
	v_add_co_u32_e32 v32, vcc, v32, v39
	v_mul_hi_u32 v34, v38, v40
	s_nop 0
	v_addc_co_u32_e32 v32, vcc, v33, v35, vcc
	v_mov_b32_e32 v33, v10
	s_nop 0
	v_addc_co_u32_e32 v35, vcc, 0, v34, vcc
	v_mul_lo_u32 v34, v38, v40
	v_lshl_add_u64 v[32:33], v[32:33], 0, v[34:35]
	v_add_co_u32_e32 v11, vcc, v11, v32
	v_mul_lo_u32 v34, s4, v11
	s_nop 0
	v_addc_co_u32_e32 v38, vcc, v38, v33, vcc
	v_mul_lo_u32 v32, s4, v38
	v_mul_hi_u32 v33, s4, v11
	v_add_u32_e32 v32, v33, v32
	v_mul_lo_u32 v33, s5, v11
	v_add_u32_e32 v39, v32, v33
	v_mul_hi_u32 v41, v38, v34
	v_mul_lo_u32 v42, v38, v34
	v_mul_hi_u32 v33, v11, v39
	v_mul_lo_u32 v32, v11, v39
	v_mul_hi_u32 v34, v11, v34
	v_mov_b32_e32 v35, v10
	v_lshl_add_u64 v[32:33], v[34:35], 0, v[32:33]
	v_add_co_u32_e32 v32, vcc, v32, v42
	v_mul_hi_u32 v40, v38, v39
	s_nop 0
	v_addc_co_u32_e32 v32, vcc, v33, v41, vcc
	v_mul_lo_u32 v34, v38, v39
	s_nop 0
	v_addc_co_u32_e32 v35, vcc, 0, v40, vcc
	v_mov_b32_e32 v33, v10
	v_lshl_add_u64 v[32:33], v[32:33], 0, v[34:35]
	v_add_co_u32_e32 v11, vcc, v11, v32
	v_ashrrev_i32_e32 v32, 31, v31
	s_nop 0
	v_addc_co_u32_e32 v40, vcc, v38, v33, vcc
	v_mov_b32_e32 v33, v32
	v_lshl_add_u64 v[34:35], v[30:31], 0, v[32:33]
	v_xor_b32_e32 v42, v34, v32
	v_xor_b32_e32 v33, v35, v32
	v_mad_u64_u32 v[34:35], s[4:5], v42, v40, 0
	v_mul_hi_u32 v38, v42, v11
	v_mov_b32_e32 v39, v10
	v_lshl_add_u64 v[34:35], v[38:39], 0, v[34:35]
	v_mad_u64_u32 v[38:39], s[4:5], v33, v40, 0
	v_mad_u64_u32 v[40:41], s[4:5], v33, v11, 0
	v_add_co_u32_e32 v11, vcc, v34, v40
	s_nop 1
	v_addc_co_u32_e32 v34, vcc, v35, v41, vcc
	v_mov_b32_e32 v35, v10
	s_nop 0
	v_addc_co_u32_e32 v39, vcc, 0, v39, vcc
	v_lshl_add_u64 v[34:35], v[34:35], 0, v[38:39]
	v_mul_lo_u32 v11, s45, v34
	v_mul_lo_u32 v40, s44, v35
	v_mad_u64_u32 v[38:39], s[4:5], s44, v34, 0
	v_add3_u32 v11, v39, v40, v11
	v_sub_u32_e32 v39, v33, v11
	v_mov_b32_e32 v40, s45
	v_sub_co_u32_e32 v42, vcc, v42, v38
	s_nop 1
	v_subb_co_u32_e64 v38, s[4:5], v39, v40, vcc
	v_subrev_co_u32_e64 v39, s[4:5], s44, v42
	v_subb_co_u32_e32 v11, vcc, v33, v11, vcc
	s_nop 0
	v_subbrev_co_u32_e64 v38, s[4:5], 0, v38, s[4:5]
	v_cmp_le_u32_e64 s[4:5], s45, v38
	v_cmp_le_u32_e32 vcc, s45, v11
	s_nop 0
	v_cndmask_b32_e64 v40, 0, -1, s[4:5]
	v_cmp_le_u32_e64 s[4:5], s44, v39
	v_cndmask_b32_e64 v33, 0, -1, vcc
	v_cmp_le_u32_e32 vcc, s44, v42
	v_cndmask_b32_e64 v39, 0, -1, s[4:5]
	v_cmp_eq_u32_e64 s[4:5], s45, v38
	s_nop 1
	v_cndmask_b32_e64 v43, v40, v39, s[4:5]
	v_lshl_add_u64 v[38:39], v[34:35], 0, 2
	v_lshl_add_u64 v[40:41], v[34:35], 0, 1
	v_cmp_ne_u32_e64 s[4:5], 0, v43
	s_nop 1
	v_cndmask_b32_e64 v39, v41, v39, s[4:5]
	v_cndmask_b32_e64 v41, 0, -1, vcc
	v_cmp_eq_u32_e32 vcc, s45, v11
	s_nop 1
	v_cndmask_b32_e32 v11, v33, v41, vcc
	v_cmp_ne_u32_e32 vcc, 0, v11
	v_cndmask_b32_e64 v33, v40, v38, s[4:5]
	s_nop 0
	v_cndmask_b32_e32 v33, v34, v33, vcc
	v_xor_b32_e32 v34, s42, v32
	v_cndmask_b32_e32 v11, v35, v39, vcc
	v_xor_b32_e32 v32, v33, v34
	v_xor_b32_e32 v11, v11, v34
	v_sub_co_u32_e32 v32, vcc, v32, v34
	s_nop 1
	v_subb_co_u32_e32 v33, vcc, v11, v34, vcc
.LBB62_36:                              ;   in Loop: Header=BB62_33 Depth=2
	s_andn2_saveexec_b64 s[4:5], s[6:7]
	s_cbranch_execz .LBB62_38
; %bb.37:                               ;   in Loop: Header=BB62_33 Depth=2
	v_cvt_f32_u32_e32 v11, s12
	s_sub_i32 s6, 0, s12
	v_rcp_iflag_f32_e32 v11, v11
	s_nop 0
	v_mul_f32_e32 v11, 0x4f7ffffe, v11
	v_cvt_u32_f32_e32 v11, v11
	v_mul_lo_u32 v32, s6, v11
	v_mul_hi_u32 v32, v11, v32
	v_add_u32_e32 v11, v11, v32
	v_mul_hi_u32 v11, v30, v11
	v_mul_lo_u32 v32, v11, s12
	v_sub_u32_e32 v32, v30, v32
	v_add_u32_e32 v33, 1, v11
	v_subrev_u32_e32 v34, s12, v32
	v_cmp_le_u32_e32 vcc, s12, v32
	s_nop 1
	v_cndmask_b32_e32 v32, v32, v34, vcc
	v_cndmask_b32_e32 v11, v11, v33, vcc
	v_add_u32_e32 v33, 1, v11
	v_cmp_le_u32_e32 vcc, s12, v32
	s_nop 1
	v_cndmask_b32_e32 v32, v11, v33, vcc
	v_mov_b32_e32 v33, v10
.LBB62_38:                              ;   in Loop: Header=BB62_33 Depth=2
	s_or_b64 exec, exec, s[4:5]
	v_or_b32_e32 v11, s13, v19
	v_cmp_ne_u64_e32 vcc, 0, v[10:11]
                                        ; implicit-def: $vgpr34_vgpr35
	s_and_saveexec_b64 s[4:5], vcc
	s_xor_b64 s[6:7], exec, s[4:5]
	s_cbranch_execnz .LBB62_41
; %bb.39:                               ;   in Loop: Header=BB62_33 Depth=2
	s_andn2_saveexec_b64 s[4:5], s[6:7]
	s_cbranch_execnz .LBB62_42
.LBB62_40:                              ;   in Loop: Header=BB62_33 Depth=2
	s_or_b64 exec, exec, s[4:5]
	v_cmp_eq_u64_e32 vcc, v[32:33], v[34:35]
	s_and_b64 exec, exec, vcc
	s_cbranch_execz .LBB62_32
	s_branch .LBB62_43
.LBB62_41:                              ;   in Loop: Header=BB62_33 Depth=2
	s_ashr_i32 s42, s13, 31
	s_add_u32 s4, s12, s42
	s_mov_b32 s43, s42
	s_addc_u32 s5, s13, s42
	s_xor_b64 s[44:45], s[4:5], s[42:43]
	v_cvt_f32_u32_e32 v11, s44
	v_cvt_f32_u32_e32 v34, s45
	s_sub_u32 s4, 0, s44
	s_subb_u32 s5, 0, s45
	v_mov_b32_e32 v39, v10
	v_fmac_f32_e32 v11, 0x4f800000, v34
	v_rcp_f32_e32 v11, v11
	s_nop 0
	v_mul_f32_e32 v11, 0x5f7ffffc, v11
	v_mul_f32_e32 v34, 0x2f800000, v11
	v_trunc_f32_e32 v34, v34
	v_fmac_f32_e32 v11, 0xcf800000, v34
	v_cvt_u32_f32_e32 v40, v34
	v_cvt_u32_f32_e32 v11, v11
	v_mul_lo_u32 v34, s4, v40
	v_mul_hi_u32 v38, s4, v11
	v_mul_lo_u32 v35, s5, v11
	v_add_u32_e32 v34, v38, v34
	v_mul_lo_u32 v41, s4, v11
	v_add_u32_e32 v42, v34, v35
	v_mul_hi_u32 v35, v11, v42
	v_mul_lo_u32 v34, v11, v42
	v_mul_hi_u32 v38, v11, v41
	v_lshl_add_u64 v[34:35], v[38:39], 0, v[34:35]
	v_mul_hi_u32 v39, v40, v41
	v_mul_lo_u32 v41, v40, v41
	v_add_co_u32_e32 v34, vcc, v34, v41
	v_mul_hi_u32 v38, v40, v42
	s_nop 0
	v_addc_co_u32_e32 v34, vcc, v35, v39, vcc
	v_mov_b32_e32 v35, v10
	s_nop 0
	v_addc_co_u32_e32 v39, vcc, 0, v38, vcc
	v_mul_lo_u32 v38, v40, v42
	v_lshl_add_u64 v[34:35], v[34:35], 0, v[38:39]
	v_add_co_u32_e32 v11, vcc, v11, v34
	v_mul_lo_u32 v38, s4, v11
	s_nop 0
	v_addc_co_u32_e32 v40, vcc, v40, v35, vcc
	v_mul_lo_u32 v34, s4, v40
	v_mul_hi_u32 v35, s4, v11
	v_add_u32_e32 v34, v35, v34
	v_mul_lo_u32 v35, s5, v11
	v_add_u32_e32 v41, v34, v35
	v_mul_hi_u32 v43, v40, v38
	v_mul_lo_u32 v44, v40, v38
	v_mul_hi_u32 v35, v11, v41
	v_mul_lo_u32 v34, v11, v41
	v_mul_hi_u32 v38, v11, v38
	v_mov_b32_e32 v39, v10
	v_lshl_add_u64 v[34:35], v[38:39], 0, v[34:35]
	v_add_co_u32_e32 v34, vcc, v34, v44
	v_mul_hi_u32 v42, v40, v41
	s_nop 0
	v_addc_co_u32_e32 v34, vcc, v35, v43, vcc
	v_mul_lo_u32 v38, v40, v41
	s_nop 0
	v_addc_co_u32_e32 v39, vcc, 0, v42, vcc
	v_mov_b32_e32 v35, v10
	v_lshl_add_u64 v[34:35], v[34:35], 0, v[38:39]
	v_add_co_u32_e32 v11, vcc, v11, v34
	v_ashrrev_i32_e32 v34, 31, v19
	s_nop 0
	v_addc_co_u32_e32 v42, vcc, v40, v35, vcc
	v_mov_b32_e32 v35, v34
	v_lshl_add_u64 v[38:39], v[18:19], 0, v[34:35]
	v_xor_b32_e32 v44, v38, v34
	v_xor_b32_e32 v35, v39, v34
	v_mad_u64_u32 v[38:39], s[4:5], v44, v42, 0
	v_mul_hi_u32 v40, v44, v11
	v_mov_b32_e32 v41, v10
	v_lshl_add_u64 v[38:39], v[40:41], 0, v[38:39]
	v_mad_u64_u32 v[40:41], s[4:5], v35, v42, 0
	v_mad_u64_u32 v[42:43], s[4:5], v35, v11, 0
	v_add_co_u32_e32 v11, vcc, v38, v42
	s_nop 1
	v_addc_co_u32_e32 v38, vcc, v39, v43, vcc
	v_mov_b32_e32 v39, v10
	s_nop 0
	v_addc_co_u32_e32 v41, vcc, 0, v41, vcc
	v_lshl_add_u64 v[38:39], v[38:39], 0, v[40:41]
	v_mul_lo_u32 v11, s45, v38
	v_mul_lo_u32 v42, s44, v39
	v_mad_u64_u32 v[40:41], s[4:5], s44, v38, 0
	v_add3_u32 v11, v41, v42, v11
	v_sub_u32_e32 v41, v35, v11
	v_mov_b32_e32 v42, s45
	v_sub_co_u32_e32 v44, vcc, v44, v40
	s_nop 1
	v_subb_co_u32_e64 v40, s[4:5], v41, v42, vcc
	v_subrev_co_u32_e64 v41, s[4:5], s44, v44
	v_subb_co_u32_e32 v11, vcc, v35, v11, vcc
	s_nop 0
	v_subbrev_co_u32_e64 v40, s[4:5], 0, v40, s[4:5]
	v_cmp_le_u32_e64 s[4:5], s45, v40
	v_cmp_le_u32_e32 vcc, s45, v11
	s_nop 0
	v_cndmask_b32_e64 v42, 0, -1, s[4:5]
	v_cmp_le_u32_e64 s[4:5], s44, v41
	v_cndmask_b32_e64 v35, 0, -1, vcc
	v_cmp_le_u32_e32 vcc, s44, v44
	v_cndmask_b32_e64 v41, 0, -1, s[4:5]
	v_cmp_eq_u32_e64 s[4:5], s45, v40
	s_nop 1
	v_cndmask_b32_e64 v45, v42, v41, s[4:5]
	v_lshl_add_u64 v[40:41], v[38:39], 0, 2
	v_lshl_add_u64 v[42:43], v[38:39], 0, 1
	v_cmp_ne_u32_e64 s[4:5], 0, v45
	s_nop 1
	v_cndmask_b32_e64 v41, v43, v41, s[4:5]
	v_cndmask_b32_e64 v43, 0, -1, vcc
	v_cmp_eq_u32_e32 vcc, s45, v11
	s_nop 1
	v_cndmask_b32_e32 v11, v35, v43, vcc
	v_cmp_ne_u32_e32 vcc, 0, v11
	v_cndmask_b32_e64 v35, v42, v40, s[4:5]
	s_nop 0
	v_cndmask_b32_e32 v35, v38, v35, vcc
	v_xor_b32_e32 v38, s42, v34
	v_cndmask_b32_e32 v11, v39, v41, vcc
	v_xor_b32_e32 v34, v35, v38
	v_xor_b32_e32 v11, v11, v38
	v_sub_co_u32_e32 v34, vcc, v34, v38
	s_nop 1
	v_subb_co_u32_e32 v35, vcc, v11, v38, vcc
	s_andn2_saveexec_b64 s[4:5], s[6:7]
	s_cbranch_execz .LBB62_40
.LBB62_42:                              ;   in Loop: Header=BB62_33 Depth=2
	v_cvt_f32_u32_e32 v11, s12
	s_sub_i32 s6, 0, s12
	v_rcp_iflag_f32_e32 v11, v11
	s_nop 0
	v_mul_f32_e32 v11, 0x4f7ffffe, v11
	v_cvt_u32_f32_e32 v11, v11
	v_mul_lo_u32 v34, s6, v11
	v_mul_hi_u32 v34, v11, v34
	v_add_u32_e32 v11, v11, v34
	v_mul_hi_u32 v11, v18, v11
	v_mul_lo_u32 v34, v11, s12
	v_sub_u32_e32 v34, v18, v34
	v_add_u32_e32 v35, 1, v11
	v_subrev_u32_e32 v38, s12, v34
	v_cmp_le_u32_e32 vcc, s12, v34
	s_nop 1
	v_cndmask_b32_e32 v34, v34, v38, vcc
	v_cndmask_b32_e32 v11, v11, v35, vcc
	v_add_u32_e32 v35, 1, v11
	v_cmp_le_u32_e32 vcc, s12, v34
	s_nop 1
	v_cndmask_b32_e32 v34, v11, v35, vcc
	v_mov_b32_e32 v35, v10
	s_or_b64 exec, exec, s[4:5]
	v_cmp_eq_u64_e32 vcc, v[32:33], v[34:35]
	s_and_b64 exec, exec, vcc
	s_cbranch_execz .LBB62_32
.LBB62_43:                              ;   in Loop: Header=BB62_33 Depth=2
	s_and_b64 vcc, exec, s[24:25]
	s_cbranch_vccz .LBB62_45
; %bb.44:                               ;   in Loop: Header=BB62_33 Depth=2
	global_load_dword v11, v[26:27], off
	v_mul_lo_u32 v34, v33, s12
	v_mul_lo_u32 v35, v32, s13
	v_mad_u64_u32 v[32:33], s[4:5], v32, s12, 0
	v_add3_u32 v33, v33, v35, v34
	v_sub_co_u32_e32 v32, vcc, v30, v32
	s_nop 1
	v_subb_co_u32_e32 v33, vcc, v31, v33, vcc
	v_lshl_add_u64 v[32:33], v[32:33], 0, v[20:21]
	v_mul_lo_u32 v34, s28, v33
	v_mul_lo_u32 v35, s29, v32
	v_mad_u64_u32 v[32:33], s[4:5], s28, v32, v[28:29]
	v_add3_u32 v33, v35, v33, v34
	s_waitcnt vmcnt(0)
	global_store_dword v[32:33], v11, off
	s_cbranch_execnz .LBB62_32
	s_branch .LBB62_46
.LBB62_45:                              ;   in Loop: Header=BB62_33 Depth=2
.LBB62_46:                              ;   in Loop: Header=BB62_33 Depth=2
	v_mov_b32_e32 v11, v37
	v_cmp_ne_u64_e32 vcc, 0, v[10:11]
                                        ; implicit-def: $vgpr32_vgpr33
	s_and_saveexec_b64 s[4:5], vcc
	s_xor_b64 s[42:43], exec, s[4:5]
	s_cbranch_execz .LBB62_48
; %bb.47:                               ;   in Loop: Header=BB62_33 Depth=2
	s_ashr_i32 s4, s13, 31
	s_add_u32 s6, s12, s4
	s_mov_b32 s5, s4
	s_addc_u32 s7, s13, s4
	s_xor_b64 s[44:45], s[6:7], s[4:5]
	v_cvt_f32_u32_e32 v11, s44
	v_cvt_f32_u32_e32 v32, s45
	s_sub_u32 s4, 0, s44
	s_subb_u32 s5, 0, s45
	v_mov_b32_e32 v35, v10
	v_fmac_f32_e32 v11, 0x4f800000, v32
	v_rcp_f32_e32 v11, v11
	s_nop 0
	v_mul_f32_e32 v11, 0x5f7ffffc, v11
	v_mul_f32_e32 v32, 0x2f800000, v11
	v_trunc_f32_e32 v32, v32
	v_fmac_f32_e32 v11, 0xcf800000, v32
	v_cvt_u32_f32_e32 v37, v32
	v_cvt_u32_f32_e32 v11, v11
	v_mul_lo_u32 v32, s4, v37
	v_mul_hi_u32 v34, s4, v11
	v_mul_lo_u32 v33, s5, v11
	v_add_u32_e32 v32, v34, v32
	v_mul_lo_u32 v38, s4, v11
	v_add_u32_e32 v39, v32, v33
	v_mul_hi_u32 v33, v11, v39
	v_mul_lo_u32 v32, v11, v39
	v_mul_hi_u32 v34, v11, v38
	v_lshl_add_u64 v[32:33], v[34:35], 0, v[32:33]
	v_mul_hi_u32 v35, v37, v38
	v_mul_lo_u32 v38, v37, v38
	v_add_co_u32_e32 v32, vcc, v32, v38
	v_mul_hi_u32 v34, v37, v39
	s_nop 0
	v_addc_co_u32_e32 v32, vcc, v33, v35, vcc
	v_mov_b32_e32 v33, v10
	s_nop 0
	v_addc_co_u32_e32 v35, vcc, 0, v34, vcc
	v_mul_lo_u32 v34, v37, v39
	v_lshl_add_u64 v[32:33], v[32:33], 0, v[34:35]
	v_add_co_u32_e32 v11, vcc, v11, v32
	v_mul_lo_u32 v34, s4, v11
	s_nop 0
	v_addc_co_u32_e32 v37, vcc, v37, v33, vcc
	v_mul_lo_u32 v32, s4, v37
	v_mul_hi_u32 v33, s4, v11
	v_add_u32_e32 v32, v33, v32
	v_mul_lo_u32 v33, s5, v11
	v_add_u32_e32 v38, v32, v33
	v_mul_hi_u32 v40, v37, v34
	v_mul_lo_u32 v41, v37, v34
	v_mul_hi_u32 v33, v11, v38
	v_mul_lo_u32 v32, v11, v38
	v_mul_hi_u32 v34, v11, v34
	v_mov_b32_e32 v35, v10
	v_lshl_add_u64 v[32:33], v[34:35], 0, v[32:33]
	v_add_co_u32_e32 v32, vcc, v32, v41
	v_mul_hi_u32 v39, v37, v38
	s_nop 0
	v_addc_co_u32_e32 v32, vcc, v33, v40, vcc
	v_mul_lo_u32 v34, v37, v38
	s_nop 0
	v_addc_co_u32_e32 v35, vcc, 0, v39, vcc
	v_mov_b32_e32 v33, v10
	v_lshl_add_u64 v[32:33], v[32:33], 0, v[34:35]
	v_ashrrev_i32_e32 v34, 31, v31
	v_mov_b32_e32 v35, v34
	v_add_co_u32_e32 v11, vcc, v11, v32
	v_lshl_add_u64 v[30:31], v[30:31], 0, v[34:35]
	s_nop 0
	v_addc_co_u32_e32 v37, vcc, v37, v33, vcc
	v_xor_b32_e32 v40, v30, v34
	v_xor_b32_e32 v35, v31, v34
	v_mad_u64_u32 v[30:31], s[4:5], v40, v37, 0
	v_mul_hi_u32 v32, v40, v11
	v_mov_b32_e32 v33, v10
	v_lshl_add_u64 v[30:31], v[32:33], 0, v[30:31]
	v_mad_u64_u32 v[38:39], s[4:5], v35, v11, 0
	v_add_co_u32_e32 v11, vcc, v30, v38
	v_mad_u64_u32 v[32:33], s[4:5], v35, v37, 0
	s_nop 0
	v_addc_co_u32_e32 v30, vcc, v31, v39, vcc
	v_mov_b32_e32 v31, v10
	s_nop 0
	v_addc_co_u32_e32 v33, vcc, 0, v33, vcc
	v_lshl_add_u64 v[30:31], v[30:31], 0, v[32:33]
	v_mul_lo_u32 v11, s45, v30
	v_mul_lo_u32 v32, s44, v31
	v_mad_u64_u32 v[30:31], s[4:5], s44, v30, 0
	v_add3_u32 v11, v31, v32, v11
	v_sub_u32_e32 v31, v35, v11
	v_mov_b32_e32 v32, s45
	v_sub_co_u32_e32 v30, vcc, v40, v30
	s_nop 1
	v_subb_co_u32_e64 v31, s[4:5], v31, v32, vcc
	v_subrev_co_u32_e64 v33, s[4:5], s44, v30
	v_subb_co_u32_e32 v11, vcc, v35, v11, vcc
	s_nop 0
	v_subbrev_co_u32_e64 v37, s[6:7], 0, v31, s[4:5]
	v_cmp_le_u32_e64 s[6:7], s45, v37
	v_subb_co_u32_e64 v31, s[4:5], v31, v32, s[4:5]
	s_nop 0
	v_cndmask_b32_e64 v38, 0, -1, s[6:7]
	v_cmp_le_u32_e64 s[6:7], s44, v33
	v_subrev_co_u32_e64 v32, s[4:5], s44, v33
	s_nop 0
	v_cndmask_b32_e64 v39, 0, -1, s[6:7]
	v_cmp_eq_u32_e64 s[6:7], s45, v37
	v_subbrev_co_u32_e64 v31, s[4:5], 0, v31, s[4:5]
	s_nop 0
	v_cndmask_b32_e64 v38, v38, v39, s[6:7]
	v_cmp_le_u32_e32 vcc, s45, v11
	v_cmp_ne_u32_e64 s[4:5], 0, v38
	s_nop 0
	v_cndmask_b32_e64 v35, 0, -1, vcc
	v_cmp_le_u32_e32 vcc, s44, v30
	v_cndmask_b32_e64 v31, v37, v31, s[4:5]
	s_nop 0
	v_cndmask_b32_e64 v37, 0, -1, vcc
	v_cmp_eq_u32_e32 vcc, s45, v11
	s_nop 1
	v_cndmask_b32_e32 v35, v35, v37, vcc
	v_cmp_ne_u32_e32 vcc, 0, v35
	s_nop 1
	v_cndmask_b32_e32 v11, v11, v31, vcc
	v_cndmask_b32_e64 v31, v33, v32, s[4:5]
	v_cndmask_b32_e32 v30, v30, v31, vcc
	v_xor_b32_e32 v30, v30, v34
	v_xor_b32_e32 v11, v11, v34
	v_sub_co_u32_e32 v32, vcc, v30, v34
                                        ; implicit-def: $vgpr30_vgpr31
	s_nop 1
	v_subb_co_u32_e32 v33, vcc, v11, v34, vcc
.LBB62_48:                              ;   in Loop: Header=BB62_33 Depth=2
	s_andn2_saveexec_b64 s[4:5], s[42:43]
	s_cbranch_execz .LBB62_31
; %bb.49:                               ;   in Loop: Header=BB62_33 Depth=2
	v_cvt_f32_u32_e32 v11, s12
	s_sub_i32 s6, 0, s12
	v_mov_b32_e32 v33, v10
	v_rcp_iflag_f32_e32 v11, v11
	s_nop 0
	v_mul_f32_e32 v11, 0x4f7ffffe, v11
	v_cvt_u32_f32_e32 v11, v11
	v_mul_lo_u32 v31, s6, v11
	v_mul_hi_u32 v31, v11, v31
	v_add_u32_e32 v11, v11, v31
	v_mul_hi_u32 v11, v30, v11
	v_mul_lo_u32 v11, v11, s12
	v_sub_u32_e32 v11, v30, v11
	v_subrev_u32_e32 v30, s12, v11
	v_cmp_le_u32_e32 vcc, s12, v11
	s_nop 1
	v_cndmask_b32_e32 v11, v11, v30, vcc
	v_subrev_u32_e32 v30, s12, v11
	v_cmp_le_u32_e32 vcc, s12, v11
	s_nop 1
	v_cndmask_b32_e32 v32, v11, v30, vcc
	s_branch .LBB62_31
.LBB62_50:                              ;   in Loop: Header=BB62_10 Depth=1
	s_ashr_i32 s40, s13, 31
	s_add_u32 s4, s12, s40
	s_mov_b32 s41, s40
	s_addc_u32 s5, s13, s40
	s_xor_b64 s[42:43], s[4:5], s[40:41]
	v_cvt_f32_u32_e32 v11, s42
	v_cvt_f32_u32_e32 v20, s43
	s_sub_u32 s4, 0, s42
	s_subb_u32 s5, 0, s43
	v_mov_b32_e32 v23, v10
	v_fmac_f32_e32 v11, 0x4f800000, v20
	v_rcp_f32_e32 v11, v11
	s_nop 0
	v_mul_f32_e32 v11, 0x5f7ffffc, v11
	v_mul_f32_e32 v20, 0x2f800000, v11
	v_trunc_f32_e32 v20, v20
	v_fmac_f32_e32 v11, 0xcf800000, v20
	v_cvt_u32_f32_e32 v24, v20
	v_cvt_u32_f32_e32 v11, v11
	v_mul_lo_u32 v20, s4, v24
	v_mul_hi_u32 v22, s4, v11
	v_mul_lo_u32 v21, s5, v11
	v_add_u32_e32 v20, v22, v20
	v_mul_lo_u32 v25, s4, v11
	v_add_u32_e32 v26, v20, v21
	v_mul_hi_u32 v21, v11, v26
	v_mul_lo_u32 v20, v11, v26
	v_mul_hi_u32 v22, v11, v25
	v_lshl_add_u64 v[20:21], v[22:23], 0, v[20:21]
	v_mul_hi_u32 v23, v24, v25
	v_mul_lo_u32 v25, v24, v25
	v_add_co_u32_e32 v20, vcc, v20, v25
	v_mul_hi_u32 v22, v24, v26
	s_nop 0
	v_addc_co_u32_e32 v20, vcc, v21, v23, vcc
	v_mov_b32_e32 v21, v10
	s_nop 0
	v_addc_co_u32_e32 v23, vcc, 0, v22, vcc
	v_mul_lo_u32 v22, v24, v26
	v_lshl_add_u64 v[20:21], v[20:21], 0, v[22:23]
	v_add_co_u32_e32 v11, vcc, v11, v20
	v_mul_lo_u32 v22, s4, v11
	s_nop 0
	v_addc_co_u32_e32 v24, vcc, v24, v21, vcc
	v_mul_lo_u32 v20, s4, v24
	v_mul_hi_u32 v21, s4, v11
	v_add_u32_e32 v20, v21, v20
	v_mul_lo_u32 v21, s5, v11
	v_add_u32_e32 v25, v20, v21
	v_mul_hi_u32 v27, v24, v22
	v_mul_lo_u32 v28, v24, v22
	v_mul_hi_u32 v21, v11, v25
	v_mul_lo_u32 v20, v11, v25
	v_mul_hi_u32 v22, v11, v22
	v_mov_b32_e32 v23, v10
	v_lshl_add_u64 v[20:21], v[22:23], 0, v[20:21]
	v_add_co_u32_e32 v20, vcc, v20, v28
	v_mul_hi_u32 v26, v24, v25
	s_nop 0
	v_addc_co_u32_e32 v20, vcc, v21, v27, vcc
	v_mul_lo_u32 v22, v24, v25
	s_nop 0
	v_addc_co_u32_e32 v23, vcc, 0, v26, vcc
	v_mov_b32_e32 v21, v10
	v_lshl_add_u64 v[20:21], v[20:21], 0, v[22:23]
	v_add_co_u32_e32 v11, vcc, v11, v20
	v_ashrrev_i32_e32 v20, 31, v19
	s_nop 0
	v_addc_co_u32_e32 v26, vcc, v24, v21, vcc
	v_mov_b32_e32 v21, v20
	v_lshl_add_u64 v[22:23], v[18:19], 0, v[20:21]
	v_xor_b32_e32 v28, v22, v20
	v_xor_b32_e32 v21, v23, v20
	v_mad_u64_u32 v[22:23], s[4:5], v28, v26, 0
	v_mul_hi_u32 v24, v28, v11
	v_mov_b32_e32 v25, v10
	v_lshl_add_u64 v[22:23], v[24:25], 0, v[22:23]
	v_mad_u64_u32 v[24:25], s[4:5], v21, v26, 0
	v_mad_u64_u32 v[26:27], s[4:5], v21, v11, 0
	v_add_co_u32_e32 v11, vcc, v22, v26
	s_nop 1
	v_addc_co_u32_e32 v22, vcc, v23, v27, vcc
	v_mov_b32_e32 v23, v10
	s_nop 0
	v_addc_co_u32_e32 v25, vcc, 0, v25, vcc
	v_lshl_add_u64 v[22:23], v[22:23], 0, v[24:25]
	v_mul_lo_u32 v11, s43, v22
	v_mul_lo_u32 v26, s42, v23
	v_mad_u64_u32 v[24:25], s[4:5], s42, v22, 0
	v_add3_u32 v11, v25, v26, v11
	v_sub_u32_e32 v25, v21, v11
	v_mov_b32_e32 v26, s43
	v_sub_co_u32_e32 v28, vcc, v28, v24
	s_nop 1
	v_subb_co_u32_e64 v24, s[4:5], v25, v26, vcc
	v_subrev_co_u32_e64 v25, s[4:5], s42, v28
	v_subb_co_u32_e32 v11, vcc, v21, v11, vcc
	s_nop 0
	v_subbrev_co_u32_e64 v24, s[4:5], 0, v24, s[4:5]
	v_cmp_le_u32_e64 s[4:5], s43, v24
	v_cmp_le_u32_e32 vcc, s43, v11
	s_nop 0
	v_cndmask_b32_e64 v26, 0, -1, s[4:5]
	v_cmp_le_u32_e64 s[4:5], s42, v25
	v_cndmask_b32_e64 v21, 0, -1, vcc
	v_cmp_le_u32_e32 vcc, s42, v28
	v_cndmask_b32_e64 v25, 0, -1, s[4:5]
	v_cmp_eq_u32_e64 s[4:5], s43, v24
	s_nop 1
	v_cndmask_b32_e64 v29, v26, v25, s[4:5]
	v_lshl_add_u64 v[24:25], v[22:23], 0, 2
	v_lshl_add_u64 v[26:27], v[22:23], 0, 1
	v_cmp_ne_u32_e64 s[4:5], 0, v29
	s_nop 1
	v_cndmask_b32_e64 v25, v27, v25, s[4:5]
	v_cndmask_b32_e64 v27, 0, -1, vcc
	v_cmp_eq_u32_e32 vcc, s43, v11
	s_nop 1
	v_cndmask_b32_e32 v11, v21, v27, vcc
	v_cmp_ne_u32_e32 vcc, 0, v11
	v_cndmask_b32_e64 v21, v26, v24, s[4:5]
	s_nop 0
	v_cndmask_b32_e32 v21, v22, v21, vcc
	v_xor_b32_e32 v22, s40, v20
	v_cndmask_b32_e32 v11, v23, v25, vcc
	v_xor_b32_e32 v20, v21, v22
	v_xor_b32_e32 v11, v11, v22
	v_sub_co_u32_e32 v20, vcc, v20, v22
	s_nop 1
	v_subb_co_u32_e32 v21, vcc, v11, v22, vcc
	s_andn2_saveexec_b64 s[4:5], s[38:39]
	s_cbranch_execz .LBB62_26
.LBB62_51:                              ;   in Loop: Header=BB62_10 Depth=1
	v_cvt_f32_u32_e32 v11, s12
	s_sub_i32 s38, 0, s12
	v_rcp_iflag_f32_e32 v11, v11
	s_nop 0
	v_mul_f32_e32 v11, 0x4f7ffffe, v11
	v_cvt_u32_f32_e32 v11, v11
	v_mul_lo_u32 v20, s38, v11
	v_mul_hi_u32 v20, v11, v20
	v_add_u32_e32 v11, v11, v20
	v_mul_hi_u32 v11, v18, v11
	v_mul_lo_u32 v20, v11, s12
	v_sub_u32_e32 v20, v18, v20
	v_add_u32_e32 v21, 1, v11
	v_subrev_u32_e32 v22, s12, v20
	v_cmp_le_u32_e32 vcc, s12, v20
	s_nop 1
	v_cndmask_b32_e32 v20, v20, v22, vcc
	v_cndmask_b32_e32 v11, v11, v21, vcc
	v_add_u32_e32 v21, 1, v11
	v_cmp_le_u32_e32 vcc, s12, v20
	s_nop 1
	v_cndmask_b32_e32 v20, v11, v21, vcc
	v_mov_b32_e32 v21, v10
	s_or_b64 exec, exec, s[4:5]
	v_cmp_ge_i64_e32 vcc, v[20:21], v[16:17]
	s_and_saveexec_b64 s[4:5], vcc
	s_cbranch_execnz .LBB62_27
	s_branch .LBB62_28
.LBB62_52:
	s_endpgm
	.section	.rodata,"a",@progbits
	.p2align	6, 0x0
	.amdhsa_kernel _ZN9rocsparseL21csr2bsr_65_inf_kernelILj32EfilEEv20rocsparse_direction_T2_S2_S2_S2_S2_S2_21rocsparse_index_base_PKT0_PKT1_PKS2_S3_PS4_PS7_PS2_SD_SE_SC_
		.amdhsa_group_segment_fixed_size 0
		.amdhsa_private_segment_fixed_size 0
		.amdhsa_kernarg_size 144
		.amdhsa_user_sgpr_count 2
		.amdhsa_user_sgpr_dispatch_ptr 0
		.amdhsa_user_sgpr_queue_ptr 0
		.amdhsa_user_sgpr_kernarg_segment_ptr 1
		.amdhsa_user_sgpr_dispatch_id 0
		.amdhsa_user_sgpr_kernarg_preload_length 0
		.amdhsa_user_sgpr_kernarg_preload_offset 0
		.amdhsa_user_sgpr_private_segment_size 0
		.amdhsa_uses_dynamic_stack 0
		.amdhsa_enable_private_segment 0
		.amdhsa_system_sgpr_workgroup_id_x 1
		.amdhsa_system_sgpr_workgroup_id_y 0
		.amdhsa_system_sgpr_workgroup_id_z 0
		.amdhsa_system_sgpr_workgroup_info 0
		.amdhsa_system_vgpr_workitem_id 0
		.amdhsa_next_free_vgpr 46
		.amdhsa_next_free_sgpr 52
		.amdhsa_accum_offset 48
		.amdhsa_reserve_vcc 1
		.amdhsa_float_round_mode_32 0
		.amdhsa_float_round_mode_16_64 0
		.amdhsa_float_denorm_mode_32 3
		.amdhsa_float_denorm_mode_16_64 3
		.amdhsa_dx10_clamp 1
		.amdhsa_ieee_mode 1
		.amdhsa_fp16_overflow 0
		.amdhsa_tg_split 0
		.amdhsa_exception_fp_ieee_invalid_op 0
		.amdhsa_exception_fp_denorm_src 0
		.amdhsa_exception_fp_ieee_div_zero 0
		.amdhsa_exception_fp_ieee_overflow 0
		.amdhsa_exception_fp_ieee_underflow 0
		.amdhsa_exception_fp_ieee_inexact 0
		.amdhsa_exception_int_div_zero 0
	.end_amdhsa_kernel
	.section	.text._ZN9rocsparseL21csr2bsr_65_inf_kernelILj32EfilEEv20rocsparse_direction_T2_S2_S2_S2_S2_S2_21rocsparse_index_base_PKT0_PKT1_PKS2_S3_PS4_PS7_PS2_SD_SE_SC_,"axG",@progbits,_ZN9rocsparseL21csr2bsr_65_inf_kernelILj32EfilEEv20rocsparse_direction_T2_S2_S2_S2_S2_S2_21rocsparse_index_base_PKT0_PKT1_PKS2_S3_PS4_PS7_PS2_SD_SE_SC_,comdat
.Lfunc_end62:
	.size	_ZN9rocsparseL21csr2bsr_65_inf_kernelILj32EfilEEv20rocsparse_direction_T2_S2_S2_S2_S2_S2_21rocsparse_index_base_PKT0_PKT1_PKS2_S3_PS4_PS7_PS2_SD_SE_SC_, .Lfunc_end62-_ZN9rocsparseL21csr2bsr_65_inf_kernelILj32EfilEEv20rocsparse_direction_T2_S2_S2_S2_S2_S2_21rocsparse_index_base_PKT0_PKT1_PKS2_S3_PS4_PS7_PS2_SD_SE_SC_
                                        ; -- End function
	.section	.AMDGPU.csdata,"",@progbits
; Kernel info:
; codeLenInByte = 5516
; NumSgprs: 58
; NumVgprs: 46
; NumAgprs: 0
; TotalNumVgprs: 46
; ScratchSize: 0
; MemoryBound: 0
; FloatMode: 240
; IeeeMode: 1
; LDSByteSize: 0 bytes/workgroup (compile time only)
; SGPRBlocks: 7
; VGPRBlocks: 5
; NumSGPRsForWavesPerEU: 58
; NumVGPRsForWavesPerEU: 46
; AccumOffset: 48
; Occupancy: 8
; WaveLimiterHint : 1
; COMPUTE_PGM_RSRC2:SCRATCH_EN: 0
; COMPUTE_PGM_RSRC2:USER_SGPR: 2
; COMPUTE_PGM_RSRC2:TRAP_HANDLER: 0
; COMPUTE_PGM_RSRC2:TGID_X_EN: 1
; COMPUTE_PGM_RSRC2:TGID_Y_EN: 0
; COMPUTE_PGM_RSRC2:TGID_Z_EN: 0
; COMPUTE_PGM_RSRC2:TIDIG_COMP_CNT: 0
; COMPUTE_PGM_RSRC3_GFX90A:ACCUM_OFFSET: 11
; COMPUTE_PGM_RSRC3_GFX90A:TG_SPLIT: 0
	.section	.text._ZN9rocsparseL35csr2bsr_block_dim_equals_one_kernelILj256EfllEEvT2_S1_S1_S1_21rocsparse_index_base_PKT0_PKT1_PKS1_S2_PS3_PS6_PS1_,"axG",@progbits,_ZN9rocsparseL35csr2bsr_block_dim_equals_one_kernelILj256EfllEEvT2_S1_S1_S1_21rocsparse_index_base_PKT0_PKT1_PKS1_S2_PS3_PS6_PS1_,comdat
	.globl	_ZN9rocsparseL35csr2bsr_block_dim_equals_one_kernelILj256EfllEEvT2_S1_S1_S1_21rocsparse_index_base_PKT0_PKT1_PKS1_S2_PS3_PS6_PS1_ ; -- Begin function _ZN9rocsparseL35csr2bsr_block_dim_equals_one_kernelILj256EfllEEvT2_S1_S1_S1_21rocsparse_index_base_PKT0_PKT1_PKS1_S2_PS3_PS6_PS1_
	.p2align	8
	.type	_ZN9rocsparseL35csr2bsr_block_dim_equals_one_kernelILj256EfllEEvT2_S1_S1_S1_21rocsparse_index_base_PKT0_PKT1_PKS1_S2_PS3_PS6_PS1_,@function
_ZN9rocsparseL35csr2bsr_block_dim_equals_one_kernelILj256EfllEEvT2_S1_S1_S1_21rocsparse_index_base_PKT0_PKT1_PKS1_S2_PS3_PS6_PS1_: ; @_ZN9rocsparseL35csr2bsr_block_dim_equals_one_kernelILj256EfllEEvT2_S1_S1_S1_21rocsparse_index_base_PKT0_PKT1_PKS1_S2_PS3_PS6_PS1_
; %bb.0:
	s_load_dwordx2 s[8:9], s[0:1], 0x0
	s_load_dwordx4 s[4:7], s[0:1], 0x28
	v_lshl_or_b32 v0, s2, 8, v0
	v_mov_b32_e32 v1, 0
	s_waitcnt lgkmcnt(0)
	s_lshl_b64 s[8:9], s[8:9], 3
	s_add_u32 s8, s6, s8
	s_addc_u32 s9, s7, s9
	s_load_dwordx2 s[10:11], s[8:9], 0x0
	s_load_dwordx2 s[12:13], s[6:7], 0x0
	s_waitcnt lgkmcnt(0)
	s_sub_u32 s2, s10, s12
	s_subb_u32 s3, s11, s13
	v_cmp_gt_i64_e32 vcc, s[2:3], v[0:1]
	s_and_saveexec_b64 s[6:7], vcc
	s_cbranch_execz .LBB63_3
; %bb.1:
	s_load_dword s12, s[0:1], 0x40
	s_load_dwordx2 s[6:7], s[0:1], 0x48
	s_load_dword s13, s[0:1], 0x20
	s_load_dwordx2 s[8:9], s[0:1], 0x38
	;; [unrolled: 2-line block ×3, first 2 shown]
	s_mov_b32 s1, 0
	s_waitcnt lgkmcnt(0)
	s_sub_u32 s12, s12, s13
	s_subb_u32 s13, 0, 0
	s_lshl_b32 s0, s14, 8
	v_lshlrev_b64 v[2:3], 2, v[0:1]
	s_lshl_b64 s[14:15], s[0:1], 2
	v_lshlrev_b64 v[4:5], 3, v[0:1]
	s_lshl_b64 s[16:17], s[0:1], 3
	s_mov_b64 s[18:19], 0
.LBB63_2:                               ; =>This Inner Loop Header: Depth=1
	v_lshl_add_u64 v[6:7], s[8:9], 0, v[4:5]
	v_lshl_add_u64 v[8:9], s[4:5], 0, v[2:3]
	global_load_dwordx2 v[10:11], v[6:7], off
	global_load_dword v12, v[8:9], off
	v_lshl_add_u64 v[0:1], v[0:1], 0, s[0:1]
	v_cmp_le_i64_e32 vcc, s[2:3], v[0:1]
	v_lshl_add_u64 v[6:7], s[10:11], 0, v[4:5]
	v_lshl_add_u64 v[8:9], s[6:7], 0, v[2:3]
	;; [unrolled: 1-line block ×4, first 2 shown]
	s_or_b64 s[18:19], vcc, s[18:19]
	s_waitcnt vmcnt(1)
	v_lshl_add_u64 v[10:11], s[12:13], 0, v[10:11]
	s_waitcnt vmcnt(0)
	global_store_dword v[8:9], v12, off
	global_store_dwordx2 v[6:7], v[10:11], off
	s_andn2_b64 exec, exec, s[18:19]
	s_cbranch_execnz .LBB63_2
.LBB63_3:
	s_endpgm
	.section	.rodata,"a",@progbits
	.p2align	6, 0x0
	.amdhsa_kernel _ZN9rocsparseL35csr2bsr_block_dim_equals_one_kernelILj256EfllEEvT2_S1_S1_S1_21rocsparse_index_base_PKT0_PKT1_PKS1_S2_PS3_PS6_PS1_
		.amdhsa_group_segment_fixed_size 0
		.amdhsa_private_segment_fixed_size 0
		.amdhsa_kernarg_size 352
		.amdhsa_user_sgpr_count 2
		.amdhsa_user_sgpr_dispatch_ptr 0
		.amdhsa_user_sgpr_queue_ptr 0
		.amdhsa_user_sgpr_kernarg_segment_ptr 1
		.amdhsa_user_sgpr_dispatch_id 0
		.amdhsa_user_sgpr_kernarg_preload_length 0
		.amdhsa_user_sgpr_kernarg_preload_offset 0
		.amdhsa_user_sgpr_private_segment_size 0
		.amdhsa_uses_dynamic_stack 0
		.amdhsa_enable_private_segment 0
		.amdhsa_system_sgpr_workgroup_id_x 1
		.amdhsa_system_sgpr_workgroup_id_y 0
		.amdhsa_system_sgpr_workgroup_id_z 0
		.amdhsa_system_sgpr_workgroup_info 0
		.amdhsa_system_vgpr_workitem_id 0
		.amdhsa_next_free_vgpr 13
		.amdhsa_next_free_sgpr 20
		.amdhsa_accum_offset 16
		.amdhsa_reserve_vcc 1
		.amdhsa_float_round_mode_32 0
		.amdhsa_float_round_mode_16_64 0
		.amdhsa_float_denorm_mode_32 3
		.amdhsa_float_denorm_mode_16_64 3
		.amdhsa_dx10_clamp 1
		.amdhsa_ieee_mode 1
		.amdhsa_fp16_overflow 0
		.amdhsa_tg_split 0
		.amdhsa_exception_fp_ieee_invalid_op 0
		.amdhsa_exception_fp_denorm_src 0
		.amdhsa_exception_fp_ieee_div_zero 0
		.amdhsa_exception_fp_ieee_overflow 0
		.amdhsa_exception_fp_ieee_underflow 0
		.amdhsa_exception_fp_ieee_inexact 0
		.amdhsa_exception_int_div_zero 0
	.end_amdhsa_kernel
	.section	.text._ZN9rocsparseL35csr2bsr_block_dim_equals_one_kernelILj256EfllEEvT2_S1_S1_S1_21rocsparse_index_base_PKT0_PKT1_PKS1_S2_PS3_PS6_PS1_,"axG",@progbits,_ZN9rocsparseL35csr2bsr_block_dim_equals_one_kernelILj256EfllEEvT2_S1_S1_S1_21rocsparse_index_base_PKT0_PKT1_PKS1_S2_PS3_PS6_PS1_,comdat
.Lfunc_end63:
	.size	_ZN9rocsparseL35csr2bsr_block_dim_equals_one_kernelILj256EfllEEvT2_S1_S1_S1_21rocsparse_index_base_PKT0_PKT1_PKS1_S2_PS3_PS6_PS1_, .Lfunc_end63-_ZN9rocsparseL35csr2bsr_block_dim_equals_one_kernelILj256EfllEEvT2_S1_S1_S1_21rocsparse_index_base_PKT0_PKT1_PKS1_S2_PS3_PS6_PS1_
                                        ; -- End function
	.section	.AMDGPU.csdata,"",@progbits
; Kernel info:
; codeLenInByte = 304
; NumSgprs: 26
; NumVgprs: 13
; NumAgprs: 0
; TotalNumVgprs: 13
; ScratchSize: 0
; MemoryBound: 0
; FloatMode: 240
; IeeeMode: 1
; LDSByteSize: 0 bytes/workgroup (compile time only)
; SGPRBlocks: 3
; VGPRBlocks: 1
; NumSGPRsForWavesPerEU: 26
; NumVGPRsForWavesPerEU: 13
; AccumOffset: 16
; Occupancy: 8
; WaveLimiterHint : 0
; COMPUTE_PGM_RSRC2:SCRATCH_EN: 0
; COMPUTE_PGM_RSRC2:USER_SGPR: 2
; COMPUTE_PGM_RSRC2:TRAP_HANDLER: 0
; COMPUTE_PGM_RSRC2:TGID_X_EN: 1
; COMPUTE_PGM_RSRC2:TGID_Y_EN: 0
; COMPUTE_PGM_RSRC2:TGID_Z_EN: 0
; COMPUTE_PGM_RSRC2:TIDIG_COMP_CNT: 0
; COMPUTE_PGM_RSRC3_GFX90A:ACCUM_OFFSET: 3
; COMPUTE_PGM_RSRC3_GFX90A:TG_SPLIT: 0
	.section	.text._ZN9rocsparseL42csr2bsr_wavefront_per_row_multipass_kernelILj256ELj16ELj4EfllEEv20rocsparse_direction_T4_S2_S2_S2_S2_21rocsparse_index_base_PKT2_PKT3_PKS2_S3_PS4_PS7_PS2_,"axG",@progbits,_ZN9rocsparseL42csr2bsr_wavefront_per_row_multipass_kernelILj256ELj16ELj4EfllEEv20rocsparse_direction_T4_S2_S2_S2_S2_21rocsparse_index_base_PKT2_PKT3_PKS2_S3_PS4_PS7_PS2_,comdat
	.globl	_ZN9rocsparseL42csr2bsr_wavefront_per_row_multipass_kernelILj256ELj16ELj4EfllEEv20rocsparse_direction_T4_S2_S2_S2_S2_21rocsparse_index_base_PKT2_PKT3_PKS2_S3_PS4_PS7_PS2_ ; -- Begin function _ZN9rocsparseL42csr2bsr_wavefront_per_row_multipass_kernelILj256ELj16ELj4EfllEEv20rocsparse_direction_T4_S2_S2_S2_S2_21rocsparse_index_base_PKT2_PKT3_PKS2_S3_PS4_PS7_PS2_
	.p2align	8
	.type	_ZN9rocsparseL42csr2bsr_wavefront_per_row_multipass_kernelILj256ELj16ELj4EfllEEv20rocsparse_direction_T4_S2_S2_S2_S2_21rocsparse_index_base_PKT2_PKT3_PKS2_S3_PS4_PS7_PS2_,@function
_ZN9rocsparseL42csr2bsr_wavefront_per_row_multipass_kernelILj256ELj16ELj4EfllEEv20rocsparse_direction_T4_S2_S2_S2_S2_21rocsparse_index_base_PKT2_PKT3_PKS2_S3_PS4_PS7_PS2_: ; @_ZN9rocsparseL42csr2bsr_wavefront_per_row_multipass_kernelILj256ELj16ELj4EfllEEv20rocsparse_direction_T4_S2_S2_S2_S2_21rocsparse_index_base_PKT2_PKT3_PKS2_S3_PS4_PS7_PS2_
; %bb.0:
	s_load_dwordx2 s[4:5], s[0:1], 0x8
	s_load_dwordx4 s[8:11], s[0:1], 0x18
	s_load_dwordx2 s[6:7], s[0:1], 0x28
	s_load_dword s28, s[0:1], 0x30
	s_load_dwordx2 s[12:13], s[0:1], 0x40
	s_ashr_i32 s3, s2, 31
	v_lshrrev_b32_e32 v28, 4, v0
	s_lshl_b64 s[14:15], s[2:3], 4
	v_bfe_u32 v8, v0, 2, 2
	v_mov_b32_e32 v9, 0
	v_or_b32_e32 v1, s14, v28
	s_waitcnt lgkmcnt(0)
	v_mul_lo_u32 v2, v1, s7
	v_mad_u64_u32 v[4:5], s[16:17], v1, s6, v[8:9]
	s_mul_i32 s3, s15, s6
	v_add3_u32 v5, s3, v5, v2
	v_cmp_gt_i64_e32 vcc, s[4:5], v[4:5]
	v_cmp_gt_i64_e64 s[4:5], s[6:7], v[8:9]
	v_mov_b64_e32 v[2:3], 0
	s_and_b64 s[14:15], s[4:5], vcc
	v_mov_b64_e32 v[14:15], v[2:3]
	s_and_saveexec_b64 s[16:17], s[14:15]
	s_cbranch_execz .LBB64_2
; %bb.1:
	v_lshl_add_u64 v[6:7], v[4:5], 3, s[12:13]
	global_load_dwordx2 v[6:7], v[6:7], off
	s_waitcnt vmcnt(0)
	v_subrev_co_u32_e32 v14, vcc, s28, v6
	s_nop 1
	v_subbrev_co_u32_e32 v15, vcc, 0, v7, vcc
.LBB64_2:
	s_or_b64 exec, exec, s[16:17]
	s_and_saveexec_b64 s[16:17], s[14:15]
	s_cbranch_execz .LBB64_4
; %bb.3:
	v_lshl_add_u64 v[2:3], v[4:5], 3, s[12:13]
	global_load_dwordx2 v[2:3], v[2:3], off offset:8
	s_waitcnt vmcnt(0)
	v_subrev_co_u32_e32 v2, vcc, s28, v2
	s_nop 1
	v_subbrev_co_u32_e32 v3, vcc, 0, v3, vcc
.LBB64_4:
	s_or_b64 exec, exec, s[16:17]
	s_load_dword s12, s[0:1], 0x50
	v_lshl_or_b32 v6, s2, 4, v28
	v_mov_b32_e32 v7, 0
	v_cmp_gt_i64_e32 vcc, s[8:9], v[6:7]
	v_mov_b64_e32 v[4:5], 0
	s_and_saveexec_b64 s[2:3], vcc
	s_cbranch_execz .LBB64_6
; %bb.5:
	s_load_dwordx2 s[8:9], s[0:1], 0x60
	s_waitcnt lgkmcnt(0)
	v_lshl_add_u64 v[4:5], v[6:7], 3, s[8:9]
	global_load_dwordx2 v[4:5], v[4:5], off
	s_waitcnt vmcnt(0)
	v_subrev_co_u32_e32 v4, vcc, s12, v4
	s_nop 1
	v_subbrev_co_u32_e32 v5, vcc, 0, v5, vcc
.LBB64_6:
	s_or_b64 exec, exec, s[2:3]
	v_cmp_lt_i64_e64 s[2:3], s[10:11], 1
	s_and_b64 vcc, exec, s[2:3]
	s_cbranch_vccnz .LBB64_25
; %bb.7:
	s_load_dwordx2 s[2:3], s[0:1], 0x68
	s_load_dwordx2 s[16:17], s[0:1], 0x58
	s_load_dwordx2 s[8:9], s[0:1], 0x48
	s_load_dwordx2 s[14:15], s[0:1], 0x38
	s_load_dword s18, s[0:1], 0x0
	v_and_b32_e32 v6, 3, v0
	v_lshlrev_b32_e32 v10, 2, v8
	s_movk_i32 s0, 0xf0
	v_and_or_b32 v29, v0, s0, v10
	v_mad_u64_u32 v[12:13], s[0:1], v6, s6, 0
	v_mov_b32_e32 v16, v13
	v_or_b32_e32 v0, v29, v6
	v_mad_u64_u32 v[16:17], s[0:1], v6, s7, v[16:17]
	v_lshlrev_b32_e32 v30, 2, v0
	v_mov_b32_e32 v0, 0
	v_mov_b32_e32 v13, v16
	s_waitcnt lgkmcnt(0)
	v_lshl_add_u64 v[12:13], v[12:13], 2, s[16:17]
	v_mov_b32_e32 v11, v0
	v_lshl_add_u64 v[10:11], v[12:13], 0, v[10:11]
	v_mad_u64_u32 v[12:13], s[0:1], v8, s6, 0
	v_mov_b32_e32 v7, v0
	v_mov_b32_e32 v16, v13
	v_cmp_gt_i64_e32 vcc, s[6:7], v[6:7]
	v_mad_u64_u32 v[8:9], s[0:1], v8, s7, v[16:17]
	v_mbcnt_lo_u32_b32 v1, -1, 0
	s_and_b64 s[4:5], s[4:5], vcc
	v_mov_b32_e32 v13, v8
	v_mbcnt_hi_u32_b32 v1, -1, v1
	s_cmp_eq_u32 s18, 0
	s_mul_i32 s18, s6, s7
	s_mul_hi_u32 s19, s6, s6
	v_lshl_add_u64 v[8:9], v[12:13], 2, s[16:17]
	v_lshlrev_b32_e32 v12, 2, v6
	v_mov_b32_e32 v13, v0
	s_mov_b32 s29, 0
	v_lshlrev_b32_e32 v1, 2, v1
	v_lshl_add_u64 v[8:9], v[8:9], 0, v[12:13]
	s_cselect_b64 vcc, -1, 0
	s_add_i32 s0, s19, s18
	v_or_b32_e32 v31, 12, v1
	s_mov_b32 s13, s29
	s_add_i32 s30, s0, s18
	s_mul_i32 s31, s6, s6
	v_or_b32_e32 v32, 60, v1
	v_cndmask_b32_e32 v9, v11, v9, vcc
	v_cndmask_b32_e32 v8, v10, v8, vcc
	s_mov_b64 s[16:17], 0
	v_mov_b64_e32 v[10:11], 0
	s_ashr_i32 s18, s7, 31
	v_mov_b32_e32 v33, 1
	s_branch .LBB64_10
.LBB64_8:                               ;   in Loop: Header=BB64_10 Depth=1
	s_or_b64 exec, exec, s[20:21]
	v_mov_b64_e32 v[16:17], 1
.LBB64_9:                               ;   in Loop: Header=BB64_10 Depth=1
	s_or_b64 exec, exec, s[0:1]
	v_mov_b32_dpp v10, v12 row_shr:1 row_mask:0xf bank_mask:0xf
	v_mov_b32_dpp v11, v13 row_shr:1 row_mask:0xf bank_mask:0xf
	v_cmp_lt_i64_e32 vcc, v[10:11], v[12:13]
	v_lshl_add_u64 v[4:5], v[16:17], 0, v[4:5]
	s_waitcnt lgkmcnt(0)
	v_cndmask_b32_e32 v11, v13, v11, vcc
	v_cndmask_b32_e32 v10, v12, v10, vcc
	s_nop 0
	v_mov_b32_dpp v13, v11 row_shr:2 row_mask:0xf bank_mask:0xf
	v_mov_b32_dpp v12, v10 row_shr:2 row_mask:0xf bank_mask:0xf
	v_cmp_lt_i64_e32 vcc, v[12:13], v[10:11]
	s_nop 1
	v_cndmask_b32_e32 v11, v11, v13, vcc
	v_cndmask_b32_e32 v10, v10, v12, vcc
	s_nop 0
	v_mov_b32_dpp v13, v11 row_shr:4 row_mask:0xf bank_mask:0xe
	v_mov_b32_dpp v12, v10 row_shr:4 row_mask:0xf bank_mask:0xe
	v_cmp_lt_i64_e32 vcc, v[12:13], v[10:11]
	s_nop 1
	;; [unrolled: 7-line block ×3, first 2 shown]
	v_cndmask_b32_e32 v1, v11, v13, vcc
	v_cndmask_b32_e32 v10, v10, v12, vcc
	ds_bpermute_b32 v10, v32, v10
	ds_bpermute_b32 v11, v32, v1
	s_waitcnt lgkmcnt(0)
	v_cmp_le_i64_e32 vcc, s[10:11], v[10:11]
	s_or_b64 s[16:17], vcc, s[16:17]
	s_andn2_b64 exec, exec, s[16:17]
	s_cbranch_execz .LBB64_25
.LBB64_10:                              ; =>This Loop Header: Depth=1
                                        ;     Child Loop BB64_13 Depth 2
	v_lshl_add_u64 v[14:15], v[14:15], 0, v[6:7]
	v_cmp_lt_i64_e32 vcc, v[14:15], v[2:3]
	v_mov_b64_e32 v[12:13], s[10:11]
	v_mov_b64_e32 v[26:27], v[2:3]
	ds_write_b8 v28, v0 offset:1024
	ds_write_b32 v30, v0
	s_waitcnt lgkmcnt(0)
	s_and_saveexec_b64 s[20:21], vcc
	s_cbranch_execz .LBB64_22
; %bb.11:                               ;   in Loop: Header=BB64_10 Depth=1
	v_mad_u64_u32 v[16:17], s[0:1], v10, s6, 0
	v_lshl_add_u64 v[18:19], v[14:15], 2, s[14:15]
	v_lshl_add_u64 v[20:21], v[14:15], 3, s[8:9]
	s_mov_b64 s[22:23], 0
	v_mov_b64_e32 v[12:13], s[10:11]
	v_mov_b64_e32 v[22:23], v[2:3]
	s_branch .LBB64_13
.LBB64_12:                              ;   in Loop: Header=BB64_13 Depth=2
	s_or_b64 exec, exec, s[0:1]
	v_lshl_add_u64 v[14:15], v[14:15], 0, 4
	v_cmp_ge_i64_e64 s[0:1], v[14:15], v[2:3]
	s_xor_b64 s[24:25], vcc, -1
	s_or_b64 s[0:1], s[24:25], s[0:1]
	s_and_b64 s[0:1], exec, s[0:1]
	v_lshl_add_u64 v[18:19], v[18:19], 0, 16
	v_lshl_add_u64 v[20:21], v[20:21], 0, 32
	s_or_b64 s[22:23], s[0:1], s[22:23]
	v_mov_b64_e32 v[22:23], v[26:27]
	s_andn2_b64 exec, exec, s[22:23]
	s_cbranch_execz .LBB64_21
.LBB64_13:                              ;   Parent Loop BB64_10 Depth=1
                                        ; =>  This Inner Loop Header: Depth=2
	global_load_dwordx2 v[24:25], v[20:21], off
	v_mov_b32_e32 v1, s29
                                        ; implicit-def: $vgpr26_vgpr27
	s_waitcnt vmcnt(0)
	v_subrev_co_u32_e32 v24, vcc, s28, v24
	s_nop 1
	v_subb_co_u32_e32 v25, vcc, v25, v1, vcc
	v_or_b32_e32 v1, s7, v25
	v_cmp_ne_u64_e32 vcc, 0, v[0:1]
	s_and_saveexec_b64 s[0:1], vcc
	s_xor_b64 s[24:25], exec, s[0:1]
	s_cbranch_execz .LBB64_15
; %bb.14:                               ;   in Loop: Header=BB64_13 Depth=2
	s_add_u32 s0, s6, s18
	s_mov_b32 s19, s18
	s_addc_u32 s1, s7, s18
	s_xor_b64 s[26:27], s[0:1], s[18:19]
	v_cvt_f32_u32_e32 v1, s26
	v_cvt_f32_u32_e32 v17, s27
	s_sub_u32 s0, 0, s26
	s_subb_u32 s1, 0, s27
	v_mov_b32_e32 v35, v0
	v_fmac_f32_e32 v1, 0x4f800000, v17
	v_rcp_f32_e32 v1, v1
	s_nop 0
	v_mul_f32_e32 v1, 0x5f7ffffc, v1
	v_mul_f32_e32 v17, 0x2f800000, v1
	v_trunc_f32_e32 v17, v17
	v_fmac_f32_e32 v1, 0xcf800000, v17
	v_cvt_u32_f32_e32 v17, v17
	v_cvt_u32_f32_e32 v1, v1
	v_mul_lo_u32 v26, s0, v17
	v_mul_hi_u32 v34, s0, v1
	v_mul_lo_u32 v27, s1, v1
	v_add_u32_e32 v26, v34, v26
	v_mul_lo_u32 v36, s0, v1
	v_add_u32_e32 v37, v26, v27
	v_mul_hi_u32 v27, v1, v37
	v_mul_lo_u32 v26, v1, v37
	v_mul_hi_u32 v34, v1, v36
	v_lshl_add_u64 v[26:27], v[34:35], 0, v[26:27]
	v_mul_hi_u32 v35, v17, v36
	v_mul_lo_u32 v36, v17, v36
	v_add_co_u32_e32 v26, vcc, v26, v36
	v_mul_hi_u32 v34, v17, v37
	s_nop 0
	v_addc_co_u32_e32 v26, vcc, v27, v35, vcc
	v_mov_b32_e32 v27, v0
	s_nop 0
	v_addc_co_u32_e32 v35, vcc, 0, v34, vcc
	v_mul_lo_u32 v34, v17, v37
	v_lshl_add_u64 v[26:27], v[26:27], 0, v[34:35]
	v_add_co_u32_e32 v1, vcc, v1, v26
	v_mul_lo_u32 v34, s0, v1
	s_nop 0
	v_addc_co_u32_e32 v17, vcc, v17, v27, vcc
	v_mul_lo_u32 v26, s0, v17
	v_mul_hi_u32 v27, s0, v1
	v_add_u32_e32 v26, v27, v26
	v_mul_lo_u32 v27, s1, v1
	v_add_u32_e32 v36, v26, v27
	v_mul_hi_u32 v38, v17, v34
	v_mul_lo_u32 v39, v17, v34
	v_mul_hi_u32 v27, v1, v36
	v_mul_lo_u32 v26, v1, v36
	v_mul_hi_u32 v34, v1, v34
	v_mov_b32_e32 v35, v0
	v_lshl_add_u64 v[26:27], v[34:35], 0, v[26:27]
	v_add_co_u32_e32 v26, vcc, v26, v39
	v_mul_hi_u32 v37, v17, v36
	s_nop 0
	v_addc_co_u32_e32 v26, vcc, v27, v38, vcc
	v_mul_lo_u32 v34, v17, v36
	s_nop 0
	v_addc_co_u32_e32 v35, vcc, 0, v37, vcc
	v_mov_b32_e32 v27, v0
	v_lshl_add_u64 v[26:27], v[26:27], 0, v[34:35]
	v_add_co_u32_e32 v1, vcc, v1, v26
	v_ashrrev_i32_e32 v26, 31, v25
	s_nop 0
	v_addc_co_u32_e32 v17, vcc, v17, v27, vcc
	v_mov_b32_e32 v27, v26
	v_lshl_add_u64 v[34:35], v[24:25], 0, v[26:27]
	v_xor_b32_e32 v27, v34, v26
	v_xor_b32_e32 v25, v35, v26
	v_mad_u64_u32 v[34:35], s[0:1], v27, v17, 0
	v_mul_hi_u32 v36, v27, v1
	v_mov_b32_e32 v37, v0
	v_lshl_add_u64 v[34:35], v[36:37], 0, v[34:35]
	v_mad_u64_u32 v[38:39], s[0:1], v25, v1, 0
	v_add_co_u32_e32 v1, vcc, v34, v38
	v_mad_u64_u32 v[36:37], s[0:1], v25, v17, 0
	s_nop 0
	v_addc_co_u32_e32 v34, vcc, v35, v39, vcc
	v_mov_b32_e32 v35, v0
	s_nop 0
	v_addc_co_u32_e32 v37, vcc, 0, v37, vcc
	v_lshl_add_u64 v[34:35], v[34:35], 0, v[36:37]
	v_mul_lo_u32 v1, s27, v34
	v_mul_lo_u32 v17, s26, v35
	v_mad_u64_u32 v[36:37], s[0:1], s26, v34, 0
	v_add3_u32 v1, v37, v17, v1
	v_sub_u32_e32 v17, v25, v1
	v_mov_b32_e32 v37, s27
	v_sub_co_u32_e32 v27, vcc, v27, v36
	v_lshl_add_u64 v[38:39], v[34:35], 0, 1
	s_nop 0
	v_subb_co_u32_e64 v17, s[0:1], v17, v37, vcc
	v_subrev_co_u32_e64 v36, s[0:1], s26, v27
	v_subb_co_u32_e32 v1, vcc, v25, v1, vcc
	s_nop 0
	v_subbrev_co_u32_e64 v17, s[0:1], 0, v17, s[0:1]
	v_cmp_le_u32_e64 s[0:1], s27, v17
	v_cmp_le_u32_e32 vcc, s27, v1
	s_nop 0
	v_cndmask_b32_e64 v37, 0, -1, s[0:1]
	v_cmp_le_u32_e64 s[0:1], s26, v36
	v_cndmask_b32_e64 v25, 0, -1, vcc
	v_cmp_le_u32_e32 vcc, s26, v27
	v_cndmask_b32_e64 v36, 0, -1, s[0:1]
	v_cmp_eq_u32_e64 s[0:1], s27, v17
	v_cndmask_b32_e64 v27, 0, -1, vcc
	v_cmp_eq_u32_e32 vcc, s27, v1
	v_cndmask_b32_e64 v17, v37, v36, s[0:1]
	v_lshl_add_u64 v[36:37], v[34:35], 0, 2
	v_cmp_ne_u32_e64 s[0:1], 0, v17
	v_cndmask_b32_e32 v1, v25, v27, vcc
	v_cmp_ne_u32_e32 vcc, 0, v1
	v_cndmask_b32_e64 v17, v39, v37, s[0:1]
	v_xor_b32_e32 v25, s18, v26
	v_cndmask_b32_e32 v1, v35, v17, vcc
	v_cndmask_b32_e64 v17, v38, v36, s[0:1]
	v_cndmask_b32_e32 v17, v34, v17, vcc
	v_xor_b32_e32 v17, v17, v25
	v_xor_b32_e32 v1, v1, v25
	v_sub_co_u32_e32 v26, vcc, v17, v25
	s_nop 1
	v_subb_co_u32_e32 v27, vcc, v1, v25, vcc
.LBB64_15:                              ;   in Loop: Header=BB64_13 Depth=2
	s_andn2_saveexec_b64 s[0:1], s[24:25]
	s_cbranch_execz .LBB64_17
; %bb.16:                               ;   in Loop: Header=BB64_13 Depth=2
	v_cvt_f32_u32_e32 v1, s6
	s_sub_i32 s19, 0, s6
	v_mov_b32_e32 v27, v0
	v_rcp_iflag_f32_e32 v1, v1
	s_nop 0
	v_mul_f32_e32 v1, 0x4f7ffffe, v1
	v_cvt_u32_f32_e32 v1, v1
	v_mul_lo_u32 v17, s19, v1
	v_mul_hi_u32 v17, v1, v17
	v_add_u32_e32 v1, v1, v17
	v_mul_hi_u32 v1, v24, v1
	v_mul_lo_u32 v17, v1, s6
	v_sub_u32_e32 v17, v24, v17
	v_add_u32_e32 v25, 1, v1
	v_subrev_u32_e32 v26, s6, v17
	v_cmp_le_u32_e32 vcc, s6, v17
	s_nop 1
	v_cndmask_b32_e32 v17, v17, v26, vcc
	v_cndmask_b32_e32 v1, v1, v25, vcc
	v_add_u32_e32 v25, 1, v1
	v_cmp_le_u32_e32 vcc, s6, v17
	s_nop 1
	v_cndmask_b32_e32 v26, v1, v25, vcc
.LBB64_17:                              ;   in Loop: Header=BB64_13 Depth=2
	s_or_b64 exec, exec, s[0:1]
	v_cmp_eq_u64_e32 vcc, v[26:27], v[10:11]
	v_cmp_ne_u64_e64 s[0:1], v[26:27], v[10:11]
	s_and_saveexec_b64 s[24:25], s[0:1]
	s_xor_b64 s[24:25], exec, s[24:25]
; %bb.18:                               ;   in Loop: Header=BB64_13 Depth=2
	v_cmp_lt_i64_e64 s[0:1], v[26:27], v[12:13]
                                        ; implicit-def: $vgpr24_vgpr25
                                        ; implicit-def: $vgpr22_vgpr23
	s_nop 1
	v_cndmask_b32_e64 v13, v13, v27, s[0:1]
	v_cndmask_b32_e64 v12, v12, v26, s[0:1]
; %bb.19:                               ;   in Loop: Header=BB64_13 Depth=2
	s_or_saveexec_b64 s[0:1], s[24:25]
	v_mov_b64_e32 v[26:27], v[14:15]
	s_xor_b64 exec, exec, s[0:1]
	s_cbranch_execz .LBB64_12
; %bb.20:                               ;   in Loop: Header=BB64_13 Depth=2
	global_load_dword v1, v[18:19], off
	v_sub_u32_e32 v17, v24, v16
	v_add_lshl_u32 v17, v29, v17, 2
	v_mov_b64_e32 v[26:27], v[22:23]
	ds_write_b8 v28, v33 offset:1024
	s_waitcnt vmcnt(0)
	ds_write_b32 v17, v1
	s_branch .LBB64_12
.LBB64_21:                              ;   in Loop: Header=BB64_10 Depth=1
	s_or_b64 exec, exec, s[22:23]
.LBB64_22:                              ;   in Loop: Header=BB64_10 Depth=1
	s_or_b64 exec, exec, s[20:21]
	v_mov_b32_dpp v14, v26 row_shr:1 row_mask:0xf bank_mask:0xf
	v_mov_b32_dpp v15, v27 row_shr:1 row_mask:0xf bank_mask:0xf
	v_cmp_lt_i64_e32 vcc, v[14:15], v[26:27]
	s_waitcnt lgkmcnt(0)
	s_nop 0
	v_cndmask_b32_e32 v15, v27, v15, vcc
	v_cndmask_b32_e32 v14, v26, v14, vcc
	s_nop 0
	v_mov_b32_dpp v17, v15 row_shr:2 row_mask:0xf bank_mask:0xf
	v_mov_b32_dpp v16, v14 row_shr:2 row_mask:0xf bank_mask:0xf
	v_cmp_lt_i64_e32 vcc, v[16:17], v[14:15]
	s_nop 1
	v_cndmask_b32_e32 v1, v15, v17, vcc
	ds_read_u8 v17, v28 offset:1024
	v_cndmask_b32_e32 v14, v14, v16, vcc
	ds_bpermute_b32 v14, v31, v14
	ds_bpermute_b32 v15, v31, v1
	s_waitcnt lgkmcnt(2)
	v_and_b32_e32 v1, 1, v17
	v_cmp_eq_u32_e32 vcc, 1, v1
	v_mov_b64_e32 v[16:17], 0
	s_and_saveexec_b64 s[0:1], vcc
	s_cbranch_execz .LBB64_9
; %bb.23:                               ;   in Loop: Header=BB64_10 Depth=1
	v_lshl_add_u64 v[10:11], v[10:11], 0, s[12:13]
	v_lshl_add_u64 v[16:17], v[4:5], 3, s[2:3]
	global_store_dwordx2 v[16:17], v[10:11], off
	s_and_saveexec_b64 s[20:21], s[4:5]
	s_cbranch_execz .LBB64_8
; %bb.24:                               ;   in Loop: Header=BB64_10 Depth=1
	ds_read_b32 v1, v30
	v_mul_lo_u32 v16, s30, v4
	v_mul_lo_u32 v17, s31, v5
	v_mad_u64_u32 v[10:11], s[22:23], s31, v4, 0
	v_add3_u32 v11, v11, v17, v16
	v_lshl_add_u64 v[10:11], v[10:11], 2, v[8:9]
	s_waitcnt lgkmcnt(0)
	global_store_dword v[10:11], v1, off
	s_branch .LBB64_8
.LBB64_25:
	s_endpgm
	.section	.rodata,"a",@progbits
	.p2align	6, 0x0
	.amdhsa_kernel _ZN9rocsparseL42csr2bsr_wavefront_per_row_multipass_kernelILj256ELj16ELj4EfllEEv20rocsparse_direction_T4_S2_S2_S2_S2_21rocsparse_index_base_PKT2_PKT3_PKS2_S3_PS4_PS7_PS2_
		.amdhsa_group_segment_fixed_size 1040
		.amdhsa_private_segment_fixed_size 0
		.amdhsa_kernarg_size 112
		.amdhsa_user_sgpr_count 2
		.amdhsa_user_sgpr_dispatch_ptr 0
		.amdhsa_user_sgpr_queue_ptr 0
		.amdhsa_user_sgpr_kernarg_segment_ptr 1
		.amdhsa_user_sgpr_dispatch_id 0
		.amdhsa_user_sgpr_kernarg_preload_length 0
		.amdhsa_user_sgpr_kernarg_preload_offset 0
		.amdhsa_user_sgpr_private_segment_size 0
		.amdhsa_uses_dynamic_stack 0
		.amdhsa_enable_private_segment 0
		.amdhsa_system_sgpr_workgroup_id_x 1
		.amdhsa_system_sgpr_workgroup_id_y 0
		.amdhsa_system_sgpr_workgroup_id_z 0
		.amdhsa_system_sgpr_workgroup_info 0
		.amdhsa_system_vgpr_workitem_id 0
		.amdhsa_next_free_vgpr 40
		.amdhsa_next_free_sgpr 32
		.amdhsa_accum_offset 40
		.amdhsa_reserve_vcc 1
		.amdhsa_float_round_mode_32 0
		.amdhsa_float_round_mode_16_64 0
		.amdhsa_float_denorm_mode_32 3
		.amdhsa_float_denorm_mode_16_64 3
		.amdhsa_dx10_clamp 1
		.amdhsa_ieee_mode 1
		.amdhsa_fp16_overflow 0
		.amdhsa_tg_split 0
		.amdhsa_exception_fp_ieee_invalid_op 0
		.amdhsa_exception_fp_denorm_src 0
		.amdhsa_exception_fp_ieee_div_zero 0
		.amdhsa_exception_fp_ieee_overflow 0
		.amdhsa_exception_fp_ieee_underflow 0
		.amdhsa_exception_fp_ieee_inexact 0
		.amdhsa_exception_int_div_zero 0
	.end_amdhsa_kernel
	.section	.text._ZN9rocsparseL42csr2bsr_wavefront_per_row_multipass_kernelILj256ELj16ELj4EfllEEv20rocsparse_direction_T4_S2_S2_S2_S2_21rocsparse_index_base_PKT2_PKT3_PKS2_S3_PS4_PS7_PS2_,"axG",@progbits,_ZN9rocsparseL42csr2bsr_wavefront_per_row_multipass_kernelILj256ELj16ELj4EfllEEv20rocsparse_direction_T4_S2_S2_S2_S2_21rocsparse_index_base_PKT2_PKT3_PKS2_S3_PS4_PS7_PS2_,comdat
.Lfunc_end64:
	.size	_ZN9rocsparseL42csr2bsr_wavefront_per_row_multipass_kernelILj256ELj16ELj4EfllEEv20rocsparse_direction_T4_S2_S2_S2_S2_21rocsparse_index_base_PKT2_PKT3_PKS2_S3_PS4_PS7_PS2_, .Lfunc_end64-_ZN9rocsparseL42csr2bsr_wavefront_per_row_multipass_kernelILj256ELj16ELj4EfllEEv20rocsparse_direction_T4_S2_S2_S2_S2_21rocsparse_index_base_PKT2_PKT3_PKS2_S3_PS4_PS7_PS2_
                                        ; -- End function
	.section	.AMDGPU.csdata,"",@progbits
; Kernel info:
; codeLenInByte = 2172
; NumSgprs: 38
; NumVgprs: 40
; NumAgprs: 0
; TotalNumVgprs: 40
; ScratchSize: 0
; MemoryBound: 0
; FloatMode: 240
; IeeeMode: 1
; LDSByteSize: 1040 bytes/workgroup (compile time only)
; SGPRBlocks: 4
; VGPRBlocks: 4
; NumSGPRsForWavesPerEU: 38
; NumVGPRsForWavesPerEU: 40
; AccumOffset: 40
; Occupancy: 8
; WaveLimiterHint : 0
; COMPUTE_PGM_RSRC2:SCRATCH_EN: 0
; COMPUTE_PGM_RSRC2:USER_SGPR: 2
; COMPUTE_PGM_RSRC2:TRAP_HANDLER: 0
; COMPUTE_PGM_RSRC2:TGID_X_EN: 1
; COMPUTE_PGM_RSRC2:TGID_Y_EN: 0
; COMPUTE_PGM_RSRC2:TGID_Z_EN: 0
; COMPUTE_PGM_RSRC2:TIDIG_COMP_CNT: 0
; COMPUTE_PGM_RSRC3_GFX90A:ACCUM_OFFSET: 9
; COMPUTE_PGM_RSRC3_GFX90A:TG_SPLIT: 0
	.section	.text._ZN9rocsparseL42csr2bsr_wavefront_per_row_multipass_kernelILj256ELj64ELj8EfllEEv20rocsparse_direction_T4_S2_S2_S2_S2_21rocsparse_index_base_PKT2_PKT3_PKS2_S3_PS4_PS7_PS2_,"axG",@progbits,_ZN9rocsparseL42csr2bsr_wavefront_per_row_multipass_kernelILj256ELj64ELj8EfllEEv20rocsparse_direction_T4_S2_S2_S2_S2_21rocsparse_index_base_PKT2_PKT3_PKS2_S3_PS4_PS7_PS2_,comdat
	.globl	_ZN9rocsparseL42csr2bsr_wavefront_per_row_multipass_kernelILj256ELj64ELj8EfllEEv20rocsparse_direction_T4_S2_S2_S2_S2_21rocsparse_index_base_PKT2_PKT3_PKS2_S3_PS4_PS7_PS2_ ; -- Begin function _ZN9rocsparseL42csr2bsr_wavefront_per_row_multipass_kernelILj256ELj64ELj8EfllEEv20rocsparse_direction_T4_S2_S2_S2_S2_21rocsparse_index_base_PKT2_PKT3_PKS2_S3_PS4_PS7_PS2_
	.p2align	8
	.type	_ZN9rocsparseL42csr2bsr_wavefront_per_row_multipass_kernelILj256ELj64ELj8EfllEEv20rocsparse_direction_T4_S2_S2_S2_S2_21rocsparse_index_base_PKT2_PKT3_PKS2_S3_PS4_PS7_PS2_,@function
_ZN9rocsparseL42csr2bsr_wavefront_per_row_multipass_kernelILj256ELj64ELj8EfllEEv20rocsparse_direction_T4_S2_S2_S2_S2_21rocsparse_index_base_PKT2_PKT3_PKS2_S3_PS4_PS7_PS2_: ; @_ZN9rocsparseL42csr2bsr_wavefront_per_row_multipass_kernelILj256ELj64ELj8EfllEEv20rocsparse_direction_T4_S2_S2_S2_S2_21rocsparse_index_base_PKT2_PKT3_PKS2_S3_PS4_PS7_PS2_
; %bb.0:
	s_load_dwordx2 s[4:5], s[0:1], 0x8
	s_load_dwordx4 s[8:11], s[0:1], 0x18
	s_load_dwordx2 s[6:7], s[0:1], 0x28
	s_load_dword s28, s[0:1], 0x30
	s_load_dwordx2 s[12:13], s[0:1], 0x40
	s_ashr_i32 s3, s2, 31
	v_lshrrev_b32_e32 v28, 6, v0
	s_lshl_b64 s[14:15], s[2:3], 2
	v_bfe_u32 v8, v0, 3, 3
	v_mov_b32_e32 v9, 0
	v_or_b32_e32 v1, s14, v28
	s_waitcnt lgkmcnt(0)
	v_mul_lo_u32 v2, v1, s7
	v_mad_u64_u32 v[4:5], s[16:17], v1, s6, v[8:9]
	s_mul_i32 s3, s15, s6
	v_add3_u32 v5, s3, v5, v2
	v_cmp_gt_i64_e32 vcc, s[4:5], v[4:5]
	v_cmp_gt_i64_e64 s[4:5], s[6:7], v[8:9]
	v_mov_b64_e32 v[2:3], 0
	s_and_b64 s[14:15], s[4:5], vcc
	v_mov_b64_e32 v[14:15], v[2:3]
	s_and_saveexec_b64 s[16:17], s[14:15]
	s_cbranch_execz .LBB65_2
; %bb.1:
	v_lshl_add_u64 v[6:7], v[4:5], 3, s[12:13]
	global_load_dwordx2 v[6:7], v[6:7], off
	s_waitcnt vmcnt(0)
	v_subrev_co_u32_e32 v14, vcc, s28, v6
	s_nop 1
	v_subbrev_co_u32_e32 v15, vcc, 0, v7, vcc
.LBB65_2:
	s_or_b64 exec, exec, s[16:17]
	s_and_saveexec_b64 s[16:17], s[14:15]
	s_cbranch_execz .LBB65_4
; %bb.3:
	v_lshl_add_u64 v[2:3], v[4:5], 3, s[12:13]
	global_load_dwordx2 v[2:3], v[2:3], off offset:8
	s_waitcnt vmcnt(0)
	v_subrev_co_u32_e32 v2, vcc, s28, v2
	s_nop 1
	v_subbrev_co_u32_e32 v3, vcc, 0, v3, vcc
.LBB65_4:
	s_or_b64 exec, exec, s[16:17]
	s_load_dword s12, s[0:1], 0x50
	v_lshl_or_b32 v6, s2, 2, v28
	v_mov_b32_e32 v7, 0
	v_cmp_gt_i64_e32 vcc, s[8:9], v[6:7]
	v_mov_b64_e32 v[4:5], 0
	s_and_saveexec_b64 s[2:3], vcc
	s_cbranch_execz .LBB65_6
; %bb.5:
	s_load_dwordx2 s[8:9], s[0:1], 0x60
	s_waitcnt lgkmcnt(0)
	v_lshl_add_u64 v[4:5], v[6:7], 3, s[8:9]
	global_load_dwordx2 v[4:5], v[4:5], off
	s_waitcnt vmcnt(0)
	v_subrev_co_u32_e32 v4, vcc, s12, v4
	s_nop 1
	v_subbrev_co_u32_e32 v5, vcc, 0, v5, vcc
.LBB65_6:
	s_or_b64 exec, exec, s[2:3]
	v_cmp_lt_i64_e64 s[2:3], s[10:11], 1
	s_and_b64 vcc, exec, s[2:3]
	s_cbranch_vccnz .LBB65_25
; %bb.7:
	v_and_b32_e32 v6, 7, v0
	s_load_dwordx2 s[2:3], s[0:1], 0x68
	s_load_dwordx2 s[16:17], s[0:1], 0x58
	;; [unrolled: 1-line block ×4, first 2 shown]
	s_load_dword s18, s[0:1], 0x0
	v_and_b32_e32 v0, 0xc0, v0
	v_mad_u64_u32 v[10:11], s[0:1], v6, s6, 0
	v_lshl_or_b32 v29, v8, 3, v0
	v_mov_b32_e32 v12, v11
	v_or_b32_e32 v0, v29, v6
	v_mad_u64_u32 v[12:13], s[0:1], v6, s7, v[12:13]
	v_lshlrev_b32_e32 v30, 2, v0
	v_mov_b32_e32 v0, 0
	v_mov_b32_e32 v11, v12
	s_waitcnt lgkmcnt(0)
	v_lshl_add_u64 v[10:11], v[10:11], 2, s[16:17]
	v_lshlrev_b32_e32 v12, 2, v8
	v_mov_b32_e32 v13, v0
	v_lshl_add_u64 v[10:11], v[10:11], 0, v[12:13]
	v_mad_u64_u32 v[12:13], s[0:1], v8, s6, 0
	v_mov_b32_e32 v7, v0
	v_mov_b32_e32 v16, v13
	v_cmp_gt_i64_e32 vcc, s[6:7], v[6:7]
	v_mad_u64_u32 v[8:9], s[0:1], v8, s7, v[16:17]
	v_mbcnt_lo_u32_b32 v1, -1, 0
	s_and_b64 s[4:5], s[4:5], vcc
	v_mov_b32_e32 v13, v8
	v_mbcnt_hi_u32_b32 v1, -1, v1
	s_cmp_eq_u32 s18, 0
	s_mul_i32 s18, s6, s7
	s_mul_hi_u32 s19, s6, s6
	v_lshl_add_u64 v[8:9], v[12:13], 2, s[16:17]
	v_lshlrev_b32_e32 v12, 2, v6
	v_mov_b32_e32 v13, v0
	s_mov_b32 s29, 0
	v_lshlrev_b32_e32 v1, 2, v1
	v_lshl_add_u64 v[8:9], v[8:9], 0, v[12:13]
	s_cselect_b64 vcc, -1, 0
	s_add_i32 s0, s19, s18
	v_or_b32_e32 v31, 28, v1
	s_mov_b32 s13, s29
	s_add_i32 s30, s0, s18
	s_mul_i32 s31, s6, s6
	v_or_b32_e32 v32, 0xfc, v1
	v_cndmask_b32_e32 v9, v11, v9, vcc
	v_cndmask_b32_e32 v8, v10, v8, vcc
	s_mov_b64 s[16:17], 0
	v_mov_b64_e32 v[10:11], 0
	s_ashr_i32 s18, s7, 31
	v_mov_b32_e32 v33, 1
	s_branch .LBB65_10
.LBB65_8:                               ;   in Loop: Header=BB65_10 Depth=1
	s_or_b64 exec, exec, s[20:21]
	v_mov_b64_e32 v[16:17], 1
.LBB65_9:                               ;   in Loop: Header=BB65_10 Depth=1
	s_or_b64 exec, exec, s[0:1]
	v_mov_b32_dpp v10, v12 row_shr:1 row_mask:0xf bank_mask:0xf
	v_mov_b32_dpp v11, v13 row_shr:1 row_mask:0xf bank_mask:0xf
	v_cmp_lt_i64_e32 vcc, v[10:11], v[12:13]
	v_lshl_add_u64 v[4:5], v[16:17], 0, v[4:5]
	s_waitcnt lgkmcnt(0)
	v_cndmask_b32_e32 v11, v13, v11, vcc
	v_cndmask_b32_e32 v10, v12, v10, vcc
	s_nop 0
	v_mov_b32_dpp v13, v11 row_shr:2 row_mask:0xf bank_mask:0xf
	v_mov_b32_dpp v12, v10 row_shr:2 row_mask:0xf bank_mask:0xf
	v_cmp_lt_i64_e32 vcc, v[12:13], v[10:11]
	s_nop 1
	v_cndmask_b32_e32 v11, v11, v13, vcc
	v_cndmask_b32_e32 v10, v10, v12, vcc
	s_nop 0
	v_mov_b32_dpp v13, v11 row_shr:4 row_mask:0xf bank_mask:0xe
	v_mov_b32_dpp v12, v10 row_shr:4 row_mask:0xf bank_mask:0xe
	v_cmp_lt_i64_e32 vcc, v[12:13], v[10:11]
	s_nop 1
	;; [unrolled: 7-line block ×3, first 2 shown]
	v_cndmask_b32_e32 v11, v11, v13, vcc
	v_cndmask_b32_e32 v10, v10, v12, vcc
	s_nop 0
	v_mov_b32_dpp v13, v11 row_bcast:15 row_mask:0xa bank_mask:0xf
	v_mov_b32_dpp v12, v10 row_bcast:15 row_mask:0xa bank_mask:0xf
	v_cmp_lt_i64_e32 vcc, v[12:13], v[10:11]
	s_nop 1
	v_cndmask_b32_e32 v11, v11, v13, vcc
	v_cndmask_b32_e32 v10, v10, v12, vcc
	s_nop 0
	v_mov_b32_dpp v13, v11 row_bcast:31 row_mask:0xc bank_mask:0xf
	v_mov_b32_dpp v12, v10 row_bcast:31 row_mask:0xc bank_mask:0xf
	v_cmp_lt_i64_e32 vcc, v[12:13], v[10:11]
	s_nop 1
	v_cndmask_b32_e32 v1, v11, v13, vcc
	v_cndmask_b32_e32 v10, v10, v12, vcc
	ds_bpermute_b32 v10, v32, v10
	ds_bpermute_b32 v11, v32, v1
	s_waitcnt lgkmcnt(0)
	v_cmp_le_i64_e32 vcc, s[10:11], v[10:11]
	s_or_b64 s[16:17], vcc, s[16:17]
	s_andn2_b64 exec, exec, s[16:17]
	s_cbranch_execz .LBB65_25
.LBB65_10:                              ; =>This Loop Header: Depth=1
                                        ;     Child Loop BB65_13 Depth 2
	v_lshl_add_u64 v[14:15], v[14:15], 0, v[6:7]
	v_cmp_lt_i64_e32 vcc, v[14:15], v[2:3]
	v_mov_b64_e32 v[12:13], s[10:11]
	v_mov_b64_e32 v[26:27], v[2:3]
	ds_write_b8 v28, v0 offset:1024
	ds_write_b32 v30, v0
	s_waitcnt lgkmcnt(0)
	s_and_saveexec_b64 s[20:21], vcc
	s_cbranch_execz .LBB65_22
; %bb.11:                               ;   in Loop: Header=BB65_10 Depth=1
	v_mad_u64_u32 v[16:17], s[0:1], v10, s6, 0
	v_lshl_add_u64 v[18:19], v[14:15], 2, s[14:15]
	v_lshl_add_u64 v[20:21], v[14:15], 3, s[8:9]
	s_mov_b64 s[22:23], 0
	v_mov_b64_e32 v[12:13], s[10:11]
	v_mov_b64_e32 v[22:23], v[2:3]
	s_branch .LBB65_13
.LBB65_12:                              ;   in Loop: Header=BB65_13 Depth=2
	s_or_b64 exec, exec, s[0:1]
	v_lshl_add_u64 v[14:15], v[14:15], 0, 8
	v_cmp_ge_i64_e64 s[0:1], v[14:15], v[2:3]
	s_xor_b64 s[24:25], vcc, -1
	s_or_b64 s[0:1], s[24:25], s[0:1]
	s_and_b64 s[0:1], exec, s[0:1]
	v_lshl_add_u64 v[18:19], v[18:19], 0, 32
	v_lshl_add_u64 v[20:21], v[20:21], 0, 64
	s_or_b64 s[22:23], s[0:1], s[22:23]
	v_mov_b64_e32 v[22:23], v[26:27]
	s_andn2_b64 exec, exec, s[22:23]
	s_cbranch_execz .LBB65_21
.LBB65_13:                              ;   Parent Loop BB65_10 Depth=1
                                        ; =>  This Inner Loop Header: Depth=2
	global_load_dwordx2 v[24:25], v[20:21], off
	v_mov_b32_e32 v1, s29
                                        ; implicit-def: $vgpr26_vgpr27
	s_waitcnt vmcnt(0)
	v_subrev_co_u32_e32 v24, vcc, s28, v24
	s_nop 1
	v_subb_co_u32_e32 v25, vcc, v25, v1, vcc
	v_or_b32_e32 v1, s7, v25
	v_cmp_ne_u64_e32 vcc, 0, v[0:1]
	s_and_saveexec_b64 s[0:1], vcc
	s_xor_b64 s[24:25], exec, s[0:1]
	s_cbranch_execz .LBB65_15
; %bb.14:                               ;   in Loop: Header=BB65_13 Depth=2
	s_add_u32 s0, s6, s18
	s_mov_b32 s19, s18
	s_addc_u32 s1, s7, s18
	s_xor_b64 s[26:27], s[0:1], s[18:19]
	v_cvt_f32_u32_e32 v1, s26
	v_cvt_f32_u32_e32 v17, s27
	s_sub_u32 s0, 0, s26
	s_subb_u32 s1, 0, s27
	v_mov_b32_e32 v35, v0
	v_fmac_f32_e32 v1, 0x4f800000, v17
	v_rcp_f32_e32 v1, v1
	s_nop 0
	v_mul_f32_e32 v1, 0x5f7ffffc, v1
	v_mul_f32_e32 v17, 0x2f800000, v1
	v_trunc_f32_e32 v17, v17
	v_fmac_f32_e32 v1, 0xcf800000, v17
	v_cvt_u32_f32_e32 v17, v17
	v_cvt_u32_f32_e32 v1, v1
	v_mul_lo_u32 v26, s0, v17
	v_mul_hi_u32 v34, s0, v1
	v_mul_lo_u32 v27, s1, v1
	v_add_u32_e32 v26, v34, v26
	v_mul_lo_u32 v36, s0, v1
	v_add_u32_e32 v37, v26, v27
	v_mul_hi_u32 v27, v1, v37
	v_mul_lo_u32 v26, v1, v37
	v_mul_hi_u32 v34, v1, v36
	v_lshl_add_u64 v[26:27], v[34:35], 0, v[26:27]
	v_mul_hi_u32 v35, v17, v36
	v_mul_lo_u32 v36, v17, v36
	v_add_co_u32_e32 v26, vcc, v26, v36
	v_mul_hi_u32 v34, v17, v37
	s_nop 0
	v_addc_co_u32_e32 v26, vcc, v27, v35, vcc
	v_mov_b32_e32 v27, v0
	s_nop 0
	v_addc_co_u32_e32 v35, vcc, 0, v34, vcc
	v_mul_lo_u32 v34, v17, v37
	v_lshl_add_u64 v[26:27], v[26:27], 0, v[34:35]
	v_add_co_u32_e32 v1, vcc, v1, v26
	v_mul_lo_u32 v34, s0, v1
	s_nop 0
	v_addc_co_u32_e32 v17, vcc, v17, v27, vcc
	v_mul_lo_u32 v26, s0, v17
	v_mul_hi_u32 v27, s0, v1
	v_add_u32_e32 v26, v27, v26
	v_mul_lo_u32 v27, s1, v1
	v_add_u32_e32 v36, v26, v27
	v_mul_hi_u32 v38, v17, v34
	v_mul_lo_u32 v39, v17, v34
	v_mul_hi_u32 v27, v1, v36
	v_mul_lo_u32 v26, v1, v36
	v_mul_hi_u32 v34, v1, v34
	v_mov_b32_e32 v35, v0
	v_lshl_add_u64 v[26:27], v[34:35], 0, v[26:27]
	v_add_co_u32_e32 v26, vcc, v26, v39
	v_mul_hi_u32 v37, v17, v36
	s_nop 0
	v_addc_co_u32_e32 v26, vcc, v27, v38, vcc
	v_mul_lo_u32 v34, v17, v36
	s_nop 0
	v_addc_co_u32_e32 v35, vcc, 0, v37, vcc
	v_mov_b32_e32 v27, v0
	v_lshl_add_u64 v[26:27], v[26:27], 0, v[34:35]
	v_add_co_u32_e32 v1, vcc, v1, v26
	v_ashrrev_i32_e32 v26, 31, v25
	s_nop 0
	v_addc_co_u32_e32 v17, vcc, v17, v27, vcc
	v_mov_b32_e32 v27, v26
	v_lshl_add_u64 v[34:35], v[24:25], 0, v[26:27]
	v_xor_b32_e32 v27, v34, v26
	v_xor_b32_e32 v25, v35, v26
	v_mad_u64_u32 v[34:35], s[0:1], v27, v17, 0
	v_mul_hi_u32 v36, v27, v1
	v_mov_b32_e32 v37, v0
	v_lshl_add_u64 v[34:35], v[36:37], 0, v[34:35]
	v_mad_u64_u32 v[38:39], s[0:1], v25, v1, 0
	v_add_co_u32_e32 v1, vcc, v34, v38
	v_mad_u64_u32 v[36:37], s[0:1], v25, v17, 0
	s_nop 0
	v_addc_co_u32_e32 v34, vcc, v35, v39, vcc
	v_mov_b32_e32 v35, v0
	s_nop 0
	v_addc_co_u32_e32 v37, vcc, 0, v37, vcc
	v_lshl_add_u64 v[34:35], v[34:35], 0, v[36:37]
	v_mul_lo_u32 v1, s27, v34
	v_mul_lo_u32 v17, s26, v35
	v_mad_u64_u32 v[36:37], s[0:1], s26, v34, 0
	v_add3_u32 v1, v37, v17, v1
	v_sub_u32_e32 v17, v25, v1
	v_mov_b32_e32 v37, s27
	v_sub_co_u32_e32 v27, vcc, v27, v36
	v_lshl_add_u64 v[38:39], v[34:35], 0, 1
	s_nop 0
	v_subb_co_u32_e64 v17, s[0:1], v17, v37, vcc
	v_subrev_co_u32_e64 v36, s[0:1], s26, v27
	v_subb_co_u32_e32 v1, vcc, v25, v1, vcc
	s_nop 0
	v_subbrev_co_u32_e64 v17, s[0:1], 0, v17, s[0:1]
	v_cmp_le_u32_e64 s[0:1], s27, v17
	v_cmp_le_u32_e32 vcc, s27, v1
	s_nop 0
	v_cndmask_b32_e64 v37, 0, -1, s[0:1]
	v_cmp_le_u32_e64 s[0:1], s26, v36
	v_cndmask_b32_e64 v25, 0, -1, vcc
	v_cmp_le_u32_e32 vcc, s26, v27
	v_cndmask_b32_e64 v36, 0, -1, s[0:1]
	v_cmp_eq_u32_e64 s[0:1], s27, v17
	v_cndmask_b32_e64 v27, 0, -1, vcc
	v_cmp_eq_u32_e32 vcc, s27, v1
	v_cndmask_b32_e64 v17, v37, v36, s[0:1]
	v_lshl_add_u64 v[36:37], v[34:35], 0, 2
	v_cmp_ne_u32_e64 s[0:1], 0, v17
	v_cndmask_b32_e32 v1, v25, v27, vcc
	v_cmp_ne_u32_e32 vcc, 0, v1
	v_cndmask_b32_e64 v17, v39, v37, s[0:1]
	v_xor_b32_e32 v25, s18, v26
	v_cndmask_b32_e32 v1, v35, v17, vcc
	v_cndmask_b32_e64 v17, v38, v36, s[0:1]
	v_cndmask_b32_e32 v17, v34, v17, vcc
	v_xor_b32_e32 v17, v17, v25
	v_xor_b32_e32 v1, v1, v25
	v_sub_co_u32_e32 v26, vcc, v17, v25
	s_nop 1
	v_subb_co_u32_e32 v27, vcc, v1, v25, vcc
.LBB65_15:                              ;   in Loop: Header=BB65_13 Depth=2
	s_andn2_saveexec_b64 s[0:1], s[24:25]
	s_cbranch_execz .LBB65_17
; %bb.16:                               ;   in Loop: Header=BB65_13 Depth=2
	v_cvt_f32_u32_e32 v1, s6
	s_sub_i32 s19, 0, s6
	v_mov_b32_e32 v27, v0
	v_rcp_iflag_f32_e32 v1, v1
	s_nop 0
	v_mul_f32_e32 v1, 0x4f7ffffe, v1
	v_cvt_u32_f32_e32 v1, v1
	v_mul_lo_u32 v17, s19, v1
	v_mul_hi_u32 v17, v1, v17
	v_add_u32_e32 v1, v1, v17
	v_mul_hi_u32 v1, v24, v1
	v_mul_lo_u32 v17, v1, s6
	v_sub_u32_e32 v17, v24, v17
	v_add_u32_e32 v25, 1, v1
	v_subrev_u32_e32 v26, s6, v17
	v_cmp_le_u32_e32 vcc, s6, v17
	s_nop 1
	v_cndmask_b32_e32 v17, v17, v26, vcc
	v_cndmask_b32_e32 v1, v1, v25, vcc
	v_add_u32_e32 v25, 1, v1
	v_cmp_le_u32_e32 vcc, s6, v17
	s_nop 1
	v_cndmask_b32_e32 v26, v1, v25, vcc
.LBB65_17:                              ;   in Loop: Header=BB65_13 Depth=2
	s_or_b64 exec, exec, s[0:1]
	v_cmp_eq_u64_e32 vcc, v[26:27], v[10:11]
	v_cmp_ne_u64_e64 s[0:1], v[26:27], v[10:11]
	s_and_saveexec_b64 s[24:25], s[0:1]
	s_xor_b64 s[24:25], exec, s[24:25]
; %bb.18:                               ;   in Loop: Header=BB65_13 Depth=2
	v_cmp_lt_i64_e64 s[0:1], v[26:27], v[12:13]
                                        ; implicit-def: $vgpr24_vgpr25
                                        ; implicit-def: $vgpr22_vgpr23
	s_nop 1
	v_cndmask_b32_e64 v13, v13, v27, s[0:1]
	v_cndmask_b32_e64 v12, v12, v26, s[0:1]
; %bb.19:                               ;   in Loop: Header=BB65_13 Depth=2
	s_or_saveexec_b64 s[0:1], s[24:25]
	v_mov_b64_e32 v[26:27], v[14:15]
	s_xor_b64 exec, exec, s[0:1]
	s_cbranch_execz .LBB65_12
; %bb.20:                               ;   in Loop: Header=BB65_13 Depth=2
	global_load_dword v1, v[18:19], off
	v_sub_u32_e32 v17, v24, v16
	v_add_lshl_u32 v17, v29, v17, 2
	v_mov_b64_e32 v[26:27], v[22:23]
	ds_write_b8 v28, v33 offset:1024
	s_waitcnt vmcnt(0)
	ds_write_b32 v17, v1
	s_branch .LBB65_12
.LBB65_21:                              ;   in Loop: Header=BB65_10 Depth=1
	s_or_b64 exec, exec, s[22:23]
.LBB65_22:                              ;   in Loop: Header=BB65_10 Depth=1
	s_or_b64 exec, exec, s[20:21]
	v_mov_b32_dpp v14, v26 row_shr:1 row_mask:0xf bank_mask:0xf
	v_mov_b32_dpp v15, v27 row_shr:1 row_mask:0xf bank_mask:0xf
	v_cmp_lt_i64_e32 vcc, v[14:15], v[26:27]
	s_waitcnt lgkmcnt(0)
	s_nop 0
	v_cndmask_b32_e32 v15, v27, v15, vcc
	v_cndmask_b32_e32 v14, v26, v14, vcc
	s_nop 0
	v_mov_b32_dpp v17, v15 row_shr:2 row_mask:0xf bank_mask:0xf
	v_mov_b32_dpp v16, v14 row_shr:2 row_mask:0xf bank_mask:0xf
	v_cmp_lt_i64_e32 vcc, v[16:17], v[14:15]
	s_nop 1
	v_cndmask_b32_e32 v15, v15, v17, vcc
	v_cndmask_b32_e32 v14, v14, v16, vcc
	s_nop 0
	v_mov_b32_dpp v17, v15 row_shr:4 row_mask:0xf bank_mask:0xe
	v_mov_b32_dpp v16, v14 row_shr:4 row_mask:0xf bank_mask:0xe
	v_cmp_lt_i64_e32 vcc, v[16:17], v[14:15]
	s_nop 1
	v_cndmask_b32_e32 v1, v15, v17, vcc
	ds_read_u8 v17, v28 offset:1024
	v_cndmask_b32_e32 v14, v14, v16, vcc
	ds_bpermute_b32 v14, v31, v14
	ds_bpermute_b32 v15, v31, v1
	s_waitcnt lgkmcnt(2)
	v_and_b32_e32 v1, 1, v17
	v_cmp_eq_u32_e32 vcc, 1, v1
	v_mov_b64_e32 v[16:17], 0
	s_and_saveexec_b64 s[0:1], vcc
	s_cbranch_execz .LBB65_9
; %bb.23:                               ;   in Loop: Header=BB65_10 Depth=1
	v_lshl_add_u64 v[10:11], v[10:11], 0, s[12:13]
	v_lshl_add_u64 v[16:17], v[4:5], 3, s[2:3]
	global_store_dwordx2 v[16:17], v[10:11], off
	s_and_saveexec_b64 s[20:21], s[4:5]
	s_cbranch_execz .LBB65_8
; %bb.24:                               ;   in Loop: Header=BB65_10 Depth=1
	ds_read_b32 v1, v30
	v_mul_lo_u32 v16, s30, v4
	v_mul_lo_u32 v17, s31, v5
	v_mad_u64_u32 v[10:11], s[22:23], s31, v4, 0
	v_add3_u32 v11, v11, v17, v16
	v_lshl_add_u64 v[10:11], v[10:11], 2, v[8:9]
	s_waitcnt lgkmcnt(0)
	global_store_dword v[10:11], v1, off
	s_branch .LBB65_8
.LBB65_25:
	s_endpgm
	.section	.rodata,"a",@progbits
	.p2align	6, 0x0
	.amdhsa_kernel _ZN9rocsparseL42csr2bsr_wavefront_per_row_multipass_kernelILj256ELj64ELj8EfllEEv20rocsparse_direction_T4_S2_S2_S2_S2_21rocsparse_index_base_PKT2_PKT3_PKS2_S3_PS4_PS7_PS2_
		.amdhsa_group_segment_fixed_size 1028
		.amdhsa_private_segment_fixed_size 0
		.amdhsa_kernarg_size 112
		.amdhsa_user_sgpr_count 2
		.amdhsa_user_sgpr_dispatch_ptr 0
		.amdhsa_user_sgpr_queue_ptr 0
		.amdhsa_user_sgpr_kernarg_segment_ptr 1
		.amdhsa_user_sgpr_dispatch_id 0
		.amdhsa_user_sgpr_kernarg_preload_length 0
		.amdhsa_user_sgpr_kernarg_preload_offset 0
		.amdhsa_user_sgpr_private_segment_size 0
		.amdhsa_uses_dynamic_stack 0
		.amdhsa_enable_private_segment 0
		.amdhsa_system_sgpr_workgroup_id_x 1
		.amdhsa_system_sgpr_workgroup_id_y 0
		.amdhsa_system_sgpr_workgroup_id_z 0
		.amdhsa_system_sgpr_workgroup_info 0
		.amdhsa_system_vgpr_workitem_id 0
		.amdhsa_next_free_vgpr 40
		.amdhsa_next_free_sgpr 32
		.amdhsa_accum_offset 40
		.amdhsa_reserve_vcc 1
		.amdhsa_float_round_mode_32 0
		.amdhsa_float_round_mode_16_64 0
		.amdhsa_float_denorm_mode_32 3
		.amdhsa_float_denorm_mode_16_64 3
		.amdhsa_dx10_clamp 1
		.amdhsa_ieee_mode 1
		.amdhsa_fp16_overflow 0
		.amdhsa_tg_split 0
		.amdhsa_exception_fp_ieee_invalid_op 0
		.amdhsa_exception_fp_denorm_src 0
		.amdhsa_exception_fp_ieee_div_zero 0
		.amdhsa_exception_fp_ieee_overflow 0
		.amdhsa_exception_fp_ieee_underflow 0
		.amdhsa_exception_fp_ieee_inexact 0
		.amdhsa_exception_int_div_zero 0
	.end_amdhsa_kernel
	.section	.text._ZN9rocsparseL42csr2bsr_wavefront_per_row_multipass_kernelILj256ELj64ELj8EfllEEv20rocsparse_direction_T4_S2_S2_S2_S2_21rocsparse_index_base_PKT2_PKT3_PKS2_S3_PS4_PS7_PS2_,"axG",@progbits,_ZN9rocsparseL42csr2bsr_wavefront_per_row_multipass_kernelILj256ELj64ELj8EfllEEv20rocsparse_direction_T4_S2_S2_S2_S2_21rocsparse_index_base_PKT2_PKT3_PKS2_S3_PS4_PS7_PS2_,comdat
.Lfunc_end65:
	.size	_ZN9rocsparseL42csr2bsr_wavefront_per_row_multipass_kernelILj256ELj64ELj8EfllEEv20rocsparse_direction_T4_S2_S2_S2_S2_21rocsparse_index_base_PKT2_PKT3_PKS2_S3_PS4_PS7_PS2_, .Lfunc_end65-_ZN9rocsparseL42csr2bsr_wavefront_per_row_multipass_kernelILj256ELj64ELj8EfllEEv20rocsparse_direction_T4_S2_S2_S2_S2_21rocsparse_index_base_PKT2_PKT3_PKS2_S3_PS4_PS7_PS2_
                                        ; -- End function
	.section	.AMDGPU.csdata,"",@progbits
; Kernel info:
; codeLenInByte = 2288
; NumSgprs: 38
; NumVgprs: 40
; NumAgprs: 0
; TotalNumVgprs: 40
; ScratchSize: 0
; MemoryBound: 0
; FloatMode: 240
; IeeeMode: 1
; LDSByteSize: 1028 bytes/workgroup (compile time only)
; SGPRBlocks: 4
; VGPRBlocks: 4
; NumSGPRsForWavesPerEU: 38
; NumVGPRsForWavesPerEU: 40
; AccumOffset: 40
; Occupancy: 8
; WaveLimiterHint : 0
; COMPUTE_PGM_RSRC2:SCRATCH_EN: 0
; COMPUTE_PGM_RSRC2:USER_SGPR: 2
; COMPUTE_PGM_RSRC2:TRAP_HANDLER: 0
; COMPUTE_PGM_RSRC2:TGID_X_EN: 1
; COMPUTE_PGM_RSRC2:TGID_Y_EN: 0
; COMPUTE_PGM_RSRC2:TGID_Z_EN: 0
; COMPUTE_PGM_RSRC2:TIDIG_COMP_CNT: 0
; COMPUTE_PGM_RSRC3_GFX90A:ACCUM_OFFSET: 9
; COMPUTE_PGM_RSRC3_GFX90A:TG_SPLIT: 0
	.section	.text._ZN9rocsparseL42csr2bsr_wavefront_per_row_multipass_kernelILj256ELj32ELj8EfllEEv20rocsparse_direction_T4_S2_S2_S2_S2_21rocsparse_index_base_PKT2_PKT3_PKS2_S3_PS4_PS7_PS2_,"axG",@progbits,_ZN9rocsparseL42csr2bsr_wavefront_per_row_multipass_kernelILj256ELj32ELj8EfllEEv20rocsparse_direction_T4_S2_S2_S2_S2_21rocsparse_index_base_PKT2_PKT3_PKS2_S3_PS4_PS7_PS2_,comdat
	.globl	_ZN9rocsparseL42csr2bsr_wavefront_per_row_multipass_kernelILj256ELj32ELj8EfllEEv20rocsparse_direction_T4_S2_S2_S2_S2_21rocsparse_index_base_PKT2_PKT3_PKS2_S3_PS4_PS7_PS2_ ; -- Begin function _ZN9rocsparseL42csr2bsr_wavefront_per_row_multipass_kernelILj256ELj32ELj8EfllEEv20rocsparse_direction_T4_S2_S2_S2_S2_21rocsparse_index_base_PKT2_PKT3_PKS2_S3_PS4_PS7_PS2_
	.p2align	8
	.type	_ZN9rocsparseL42csr2bsr_wavefront_per_row_multipass_kernelILj256ELj32ELj8EfllEEv20rocsparse_direction_T4_S2_S2_S2_S2_21rocsparse_index_base_PKT2_PKT3_PKS2_S3_PS4_PS7_PS2_,@function
_ZN9rocsparseL42csr2bsr_wavefront_per_row_multipass_kernelILj256ELj32ELj8EfllEEv20rocsparse_direction_T4_S2_S2_S2_S2_21rocsparse_index_base_PKT2_PKT3_PKS2_S3_PS4_PS7_PS2_: ; @_ZN9rocsparseL42csr2bsr_wavefront_per_row_multipass_kernelILj256ELj32ELj8EfllEEv20rocsparse_direction_T4_S2_S2_S2_S2_21rocsparse_index_base_PKT2_PKT3_PKS2_S3_PS4_PS7_PS2_
; %bb.0:
	s_load_dwordx2 s[4:5], s[0:1], 0x8
	s_load_dwordx4 s[8:11], s[0:1], 0x18
	s_load_dwordx2 s[6:7], s[0:1], 0x28
	s_load_dword s33, s[0:1], 0x30
	s_load_dwordx2 s[12:13], s[0:1], 0x40
	s_ashr_i32 s3, s2, 31
	v_lshrrev_b32_e32 v34, 5, v0
	s_lshl_b64 s[14:15], s[2:3], 3
	v_bfe_u32 v10, v0, 2, 3
	v_mov_b32_e32 v11, 0
	v_or_b32_e32 v1, s14, v34
	s_waitcnt lgkmcnt(0)
	v_mul_lo_u32 v2, v1, s7
	v_mad_u64_u32 v[4:5], s[16:17], v1, s6, v[10:11]
	s_mul_i32 s3, s15, s6
	v_add3_u32 v5, s3, v5, v2
	v_cmp_gt_i64_e32 vcc, s[4:5], v[4:5]
	v_cmp_gt_i64_e64 s[4:5], s[6:7], v[10:11]
	v_mov_b64_e32 v[2:3], 0
	s_and_b64 s[14:15], s[4:5], vcc
	v_mov_b64_e32 v[20:21], v[2:3]
	s_and_saveexec_b64 s[16:17], s[14:15]
	s_cbranch_execz .LBB66_2
; %bb.1:
	v_lshl_add_u64 v[6:7], v[4:5], 3, s[12:13]
	global_load_dwordx2 v[6:7], v[6:7], off
	s_waitcnt vmcnt(0)
	v_subrev_co_u32_e32 v20, vcc, s33, v6
	s_nop 1
	v_subbrev_co_u32_e32 v21, vcc, 0, v7, vcc
.LBB66_2:
	s_or_b64 exec, exec, s[16:17]
	s_and_saveexec_b64 s[16:17], s[14:15]
	s_cbranch_execz .LBB66_4
; %bb.3:
	v_lshl_add_u64 v[2:3], v[4:5], 3, s[12:13]
	global_load_dwordx2 v[2:3], v[2:3], off offset:8
	s_waitcnt vmcnt(0)
	v_subrev_co_u32_e32 v2, vcc, s33, v2
	s_nop 1
	v_subbrev_co_u32_e32 v3, vcc, 0, v3, vcc
.LBB66_4:
	s_or_b64 exec, exec, s[16:17]
	s_load_dword s12, s[0:1], 0x50
	v_lshl_or_b32 v6, s2, 3, v34
	v_mov_b32_e32 v7, 0
	v_cmp_gt_i64_e32 vcc, s[8:9], v[6:7]
	v_mov_b64_e32 v[4:5], 0
	s_and_saveexec_b64 s[2:3], vcc
	s_cbranch_execz .LBB66_6
; %bb.5:
	s_load_dwordx2 s[8:9], s[0:1], 0x60
	s_waitcnt lgkmcnt(0)
	v_lshl_add_u64 v[4:5], v[6:7], 3, s[8:9]
	global_load_dwordx2 v[4:5], v[4:5], off
	s_waitcnt vmcnt(0)
	v_subrev_co_u32_e32 v4, vcc, s12, v4
	s_nop 1
	v_subbrev_co_u32_e32 v5, vcc, 0, v5, vcc
.LBB66_6:
	s_or_b64 exec, exec, s[2:3]
	v_cmp_lt_i64_e64 s[2:3], s[10:11], 1
	s_and_b64 vcc, exec, s[2:3]
	s_cbranch_vccnz .LBB66_34
; %bb.7:
	s_mul_i32 s8, s6, s7
	s_mul_hi_u32 s9, s6, s6
	s_load_dwordx2 s[2:3], s[0:1], 0x68
	s_load_dwordx2 s[18:19], s[0:1], 0x58
	s_add_i32 s9, s9, s8
	s_add_i32 s34, s9, s8
	s_load_dwordx2 s[8:9], s[0:1], 0x48
	s_load_dwordx2 s[14:15], s[0:1], 0x38
	s_load_dword s16, s[0:1], 0x0
	v_mad_u64_u32 v[12:13], s[0:1], v10, s6, 0
	v_lshlrev_b32_e32 v1, 6, v34
	v_mov_b32_e32 v14, v13
	v_lshlrev_b32_e32 v8, 2, v10
	v_lshl_or_b32 v35, v10, 3, v1
	v_mad_u64_u32 v[10:11], s[0:1], v10, s7, v[14:15]
	v_and_b32_e32 v0, 3, v0
	v_mov_b32_e32 v13, v10
	s_waitcnt lgkmcnt(0)
	v_lshl_add_u64 v[10:11], v[12:13], 2, s[18:19]
	v_mad_u64_u32 v[12:13], s[0:1], v0, s6, 0
	v_mov_b32_e32 v6, 0
	v_mov_b32_e32 v14, v13
	;; [unrolled: 1-line block ×3, first 2 shown]
	v_mbcnt_lo_u32_b32 v7, -1, 0
	v_mad_u64_u32 v[14:15], s[0:1], v0, s7, v[14:15]
	v_or_b32_e32 v16, 4, v0
	v_lshl_add_u64 v[8:9], s[18:19], 0, v[8:9]
	v_mbcnt_hi_u32_b32 v7, -1, v7
	v_mov_b32_e32 v13, v14
	v_mad_u64_u32 v[14:15], s[18:19], v16, s6, 0
	v_mov_b32_e32 v1, v6
	v_lshlrev_b32_e32 v7, 2, v7
	v_mov_b32_e32 v17, v6
	v_mov_b32_e32 v18, v15
	s_mov_b32 s36, 0
	v_or_b32_e32 v36, 12, v7
	s_cmp_lg_u32 s16, 0
	v_or_b32_e32 v37, 0x7c, v7
	v_or_b32_e32 v7, v35, v0
	v_cmp_gt_u64_e32 vcc, s[6:7], v[0:1]
	v_cmp_gt_u64_e64 s[0:1], s[6:7], v[16:17]
	v_mad_u64_u32 v[16:17], s[18:19], v16, s7, v[18:19]
	s_mul_i32 s35, s6, s6
	s_mov_b32 s13, s36
	s_cselect_b64 s[16:17], -1, 0
	v_lshlrev_b32_e32 v38, 2, v7
	v_mov_b32_e32 v15, v16
	s_and_b64 s[18:19], s[4:5], vcc
	s_and_b64 s[4:5], s[4:5], s[0:1]
	s_mov_b64 s[20:21], 0
	v_mov_b64_e32 v[18:19], 0
	s_ashr_i32 s22, s7, 31
	v_mov_b32_e32 v39, 1
	s_branch .LBB66_11
.LBB66_8:                               ;   in Loop: Header=BB66_11 Depth=1
	v_mov_b64_e32 v[22:23], s[26:27]
.LBB66_9:                               ;   in Loop: Header=BB66_11 Depth=1
	s_or_b64 exec, exec, s[24:25]
.LBB66_10:                              ;   in Loop: Header=BB66_11 Depth=1
	s_or_b64 exec, exec, s[0:1]
	v_mov_b32_dpp v18, v16 row_shr:1 row_mask:0xf bank_mask:0xf
	v_mov_b32_dpp v19, v17 row_shr:1 row_mask:0xf bank_mask:0xf
	v_cmp_lt_i64_e32 vcc, v[18:19], v[16:17]
	v_lshl_add_u64 v[4:5], v[22:23], 0, v[4:5]
	s_waitcnt lgkmcnt(0)
	v_cndmask_b32_e32 v17, v17, v19, vcc
	v_cndmask_b32_e32 v16, v16, v18, vcc
	s_nop 0
	v_mov_b32_dpp v19, v17 row_shr:2 row_mask:0xf bank_mask:0xf
	v_mov_b32_dpp v18, v16 row_shr:2 row_mask:0xf bank_mask:0xf
	v_cmp_lt_i64_e32 vcc, v[18:19], v[16:17]
	s_nop 1
	v_cndmask_b32_e32 v17, v17, v19, vcc
	v_cndmask_b32_e32 v16, v16, v18, vcc
	s_nop 0
	v_mov_b32_dpp v19, v17 row_shr:4 row_mask:0xf bank_mask:0xe
	v_mov_b32_dpp v18, v16 row_shr:4 row_mask:0xf bank_mask:0xe
	v_cmp_lt_i64_e32 vcc, v[18:19], v[16:17]
	s_nop 1
	;; [unrolled: 7-line block ×3, first 2 shown]
	v_cndmask_b32_e32 v17, v17, v19, vcc
	v_cndmask_b32_e32 v16, v16, v18, vcc
	s_nop 0
	v_mov_b32_dpp v19, v17 row_bcast:15 row_mask:0xa bank_mask:0xf
	v_mov_b32_dpp v18, v16 row_bcast:15 row_mask:0xa bank_mask:0xf
	v_cmp_lt_i64_e32 vcc, v[18:19], v[16:17]
	s_nop 1
	v_cndmask_b32_e32 v7, v17, v19, vcc
	v_cndmask_b32_e32 v16, v16, v18, vcc
	ds_bpermute_b32 v18, v37, v16
	ds_bpermute_b32 v19, v37, v7
	s_waitcnt lgkmcnt(0)
	v_cmp_le_i64_e32 vcc, s[10:11], v[18:19]
	s_or_b64 s[20:21], vcc, s[20:21]
	s_andn2_b64 exec, exec, s[20:21]
	s_cbranch_execz .LBB66_34
.LBB66_11:                              ; =>This Loop Header: Depth=1
                                        ;     Child Loop BB66_14 Depth 2
	v_lshl_add_u64 v[20:21], v[20:21], 0, v[0:1]
	v_cmp_lt_i64_e32 vcc, v[20:21], v[2:3]
	v_mov_b64_e32 v[16:17], s[10:11]
	v_mov_b64_e32 v[32:33], v[2:3]
	ds_write_b8 v34, v6 offset:2048
	ds_write2_b32 v38, v6, v6 offset1:4
	s_waitcnt lgkmcnt(0)
	s_and_saveexec_b64 s[24:25], vcc
	s_cbranch_execz .LBB66_23
; %bb.12:                               ;   in Loop: Header=BB66_11 Depth=1
	v_mad_u64_u32 v[22:23], s[0:1], v18, s6, 0
	v_lshl_add_u64 v[24:25], v[20:21], 2, s[14:15]
	v_lshl_add_u64 v[26:27], v[20:21], 3, s[8:9]
	s_mov_b64 s[26:27], 0
	v_mov_b64_e32 v[16:17], s[10:11]
	v_mov_b64_e32 v[28:29], v[2:3]
	s_branch .LBB66_14
.LBB66_13:                              ;   in Loop: Header=BB66_14 Depth=2
	s_or_b64 exec, exec, s[0:1]
	v_lshl_add_u64 v[20:21], v[20:21], 0, 4
	v_cmp_ge_i64_e64 s[0:1], v[20:21], v[2:3]
	s_xor_b64 s[28:29], vcc, -1
	s_or_b64 s[0:1], s[28:29], s[0:1]
	s_and_b64 s[0:1], exec, s[0:1]
	v_lshl_add_u64 v[24:25], v[24:25], 0, 16
	v_lshl_add_u64 v[26:27], v[26:27], 0, 32
	s_or_b64 s[26:27], s[0:1], s[26:27]
	v_mov_b64_e32 v[28:29], v[32:33]
	s_andn2_b64 exec, exec, s[26:27]
	s_cbranch_execz .LBB66_22
.LBB66_14:                              ;   Parent Loop BB66_11 Depth=1
                                        ; =>  This Inner Loop Header: Depth=2
	global_load_dwordx2 v[30:31], v[26:27], off
	v_mov_b32_e32 v7, s36
                                        ; implicit-def: $vgpr32_vgpr33
	s_waitcnt vmcnt(0)
	v_subrev_co_u32_e32 v30, vcc, s33, v30
	s_nop 1
	v_subb_co_u32_e32 v31, vcc, v31, v7, vcc
	v_or_b32_e32 v7, s7, v31
	v_cmp_ne_u64_e32 vcc, 0, v[6:7]
	s_and_saveexec_b64 s[0:1], vcc
	s_xor_b64 s[28:29], exec, s[0:1]
	s_cbranch_execz .LBB66_16
; %bb.15:                               ;   in Loop: Header=BB66_14 Depth=2
	s_add_u32 s0, s6, s22
	s_mov_b32 s23, s22
	s_addc_u32 s1, s7, s22
	s_xor_b64 s[30:31], s[0:1], s[22:23]
	v_cvt_f32_u32_e32 v7, s30
	v_cvt_f32_u32_e32 v23, s31
	s_sub_u32 s0, 0, s30
	s_subb_u32 s1, 0, s31
	v_mov_b32_e32 v41, v6
	v_fmac_f32_e32 v7, 0x4f800000, v23
	v_rcp_f32_e32 v7, v7
	s_nop 0
	v_mul_f32_e32 v7, 0x5f7ffffc, v7
	v_mul_f32_e32 v23, 0x2f800000, v7
	v_trunc_f32_e32 v23, v23
	v_fmac_f32_e32 v7, 0xcf800000, v23
	v_cvt_u32_f32_e32 v23, v23
	v_cvt_u32_f32_e32 v7, v7
	v_mul_lo_u32 v32, s0, v23
	v_mul_hi_u32 v40, s0, v7
	v_mul_lo_u32 v33, s1, v7
	v_add_u32_e32 v32, v40, v32
	v_mul_lo_u32 v42, s0, v7
	v_add_u32_e32 v43, v32, v33
	v_mul_hi_u32 v33, v7, v43
	v_mul_lo_u32 v32, v7, v43
	v_mul_hi_u32 v40, v7, v42
	v_lshl_add_u64 v[32:33], v[40:41], 0, v[32:33]
	v_mul_hi_u32 v41, v23, v42
	v_mul_lo_u32 v42, v23, v42
	v_add_co_u32_e32 v32, vcc, v32, v42
	v_mul_hi_u32 v40, v23, v43
	s_nop 0
	v_addc_co_u32_e32 v32, vcc, v33, v41, vcc
	v_mov_b32_e32 v33, v6
	s_nop 0
	v_addc_co_u32_e32 v41, vcc, 0, v40, vcc
	v_mul_lo_u32 v40, v23, v43
	v_lshl_add_u64 v[32:33], v[32:33], 0, v[40:41]
	v_add_co_u32_e32 v7, vcc, v7, v32
	v_mul_lo_u32 v40, s0, v7
	s_nop 0
	v_addc_co_u32_e32 v23, vcc, v23, v33, vcc
	v_mul_lo_u32 v32, s0, v23
	v_mul_hi_u32 v33, s0, v7
	v_add_u32_e32 v32, v33, v32
	v_mul_lo_u32 v33, s1, v7
	v_add_u32_e32 v42, v32, v33
	v_mul_hi_u32 v44, v23, v40
	v_mul_lo_u32 v45, v23, v40
	v_mul_hi_u32 v33, v7, v42
	v_mul_lo_u32 v32, v7, v42
	v_mul_hi_u32 v40, v7, v40
	v_mov_b32_e32 v41, v6
	v_lshl_add_u64 v[32:33], v[40:41], 0, v[32:33]
	v_add_co_u32_e32 v32, vcc, v32, v45
	v_mul_hi_u32 v43, v23, v42
	s_nop 0
	v_addc_co_u32_e32 v32, vcc, v33, v44, vcc
	v_mul_lo_u32 v40, v23, v42
	s_nop 0
	v_addc_co_u32_e32 v41, vcc, 0, v43, vcc
	v_mov_b32_e32 v33, v6
	v_lshl_add_u64 v[32:33], v[32:33], 0, v[40:41]
	v_add_co_u32_e32 v7, vcc, v7, v32
	v_ashrrev_i32_e32 v32, 31, v31
	s_nop 0
	v_addc_co_u32_e32 v23, vcc, v23, v33, vcc
	v_mov_b32_e32 v33, v32
	v_lshl_add_u64 v[40:41], v[30:31], 0, v[32:33]
	v_xor_b32_e32 v33, v40, v32
	v_xor_b32_e32 v31, v41, v32
	v_mad_u64_u32 v[40:41], s[0:1], v33, v23, 0
	v_mul_hi_u32 v42, v33, v7
	v_mov_b32_e32 v43, v6
	v_lshl_add_u64 v[40:41], v[42:43], 0, v[40:41]
	v_mad_u64_u32 v[44:45], s[0:1], v31, v7, 0
	v_add_co_u32_e32 v7, vcc, v40, v44
	v_mad_u64_u32 v[42:43], s[0:1], v31, v23, 0
	s_nop 0
	v_addc_co_u32_e32 v40, vcc, v41, v45, vcc
	v_mov_b32_e32 v41, v6
	s_nop 0
	v_addc_co_u32_e32 v43, vcc, 0, v43, vcc
	v_lshl_add_u64 v[40:41], v[40:41], 0, v[42:43]
	v_mul_lo_u32 v7, s31, v40
	v_mul_lo_u32 v23, s30, v41
	v_mad_u64_u32 v[42:43], s[0:1], s30, v40, 0
	v_add3_u32 v7, v43, v23, v7
	v_sub_u32_e32 v23, v31, v7
	v_mov_b32_e32 v43, s31
	v_sub_co_u32_e32 v33, vcc, v33, v42
	v_lshl_add_u64 v[44:45], v[40:41], 0, 1
	s_nop 0
	v_subb_co_u32_e64 v23, s[0:1], v23, v43, vcc
	v_subrev_co_u32_e64 v42, s[0:1], s30, v33
	v_subb_co_u32_e32 v7, vcc, v31, v7, vcc
	s_nop 0
	v_subbrev_co_u32_e64 v23, s[0:1], 0, v23, s[0:1]
	v_cmp_le_u32_e64 s[0:1], s31, v23
	v_cmp_le_u32_e32 vcc, s31, v7
	s_nop 0
	v_cndmask_b32_e64 v43, 0, -1, s[0:1]
	v_cmp_le_u32_e64 s[0:1], s30, v42
	v_cndmask_b32_e64 v31, 0, -1, vcc
	v_cmp_le_u32_e32 vcc, s30, v33
	v_cndmask_b32_e64 v42, 0, -1, s[0:1]
	v_cmp_eq_u32_e64 s[0:1], s31, v23
	v_cndmask_b32_e64 v33, 0, -1, vcc
	v_cmp_eq_u32_e32 vcc, s31, v7
	v_cndmask_b32_e64 v23, v43, v42, s[0:1]
	v_lshl_add_u64 v[42:43], v[40:41], 0, 2
	v_cmp_ne_u32_e64 s[0:1], 0, v23
	v_cndmask_b32_e32 v7, v31, v33, vcc
	v_cmp_ne_u32_e32 vcc, 0, v7
	v_cndmask_b32_e64 v23, v45, v43, s[0:1]
	v_xor_b32_e32 v31, s22, v32
	v_cndmask_b32_e32 v7, v41, v23, vcc
	v_cndmask_b32_e64 v23, v44, v42, s[0:1]
	v_cndmask_b32_e32 v23, v40, v23, vcc
	v_xor_b32_e32 v23, v23, v31
	v_xor_b32_e32 v7, v7, v31
	v_sub_co_u32_e32 v32, vcc, v23, v31
	s_nop 1
	v_subb_co_u32_e32 v33, vcc, v7, v31, vcc
.LBB66_16:                              ;   in Loop: Header=BB66_14 Depth=2
	s_andn2_saveexec_b64 s[0:1], s[28:29]
	s_cbranch_execz .LBB66_18
; %bb.17:                               ;   in Loop: Header=BB66_14 Depth=2
	v_cvt_f32_u32_e32 v7, s6
	s_sub_i32 s23, 0, s6
	v_mov_b32_e32 v33, v6
	v_rcp_iflag_f32_e32 v7, v7
	s_nop 0
	v_mul_f32_e32 v7, 0x4f7ffffe, v7
	v_cvt_u32_f32_e32 v7, v7
	v_mul_lo_u32 v23, s23, v7
	v_mul_hi_u32 v23, v7, v23
	v_add_u32_e32 v7, v7, v23
	v_mul_hi_u32 v7, v30, v7
	v_mul_lo_u32 v23, v7, s6
	v_sub_u32_e32 v23, v30, v23
	v_add_u32_e32 v31, 1, v7
	v_subrev_u32_e32 v32, s6, v23
	v_cmp_le_u32_e32 vcc, s6, v23
	s_nop 1
	v_cndmask_b32_e32 v23, v23, v32, vcc
	v_cndmask_b32_e32 v7, v7, v31, vcc
	v_add_u32_e32 v31, 1, v7
	v_cmp_le_u32_e32 vcc, s6, v23
	s_nop 1
	v_cndmask_b32_e32 v32, v7, v31, vcc
.LBB66_18:                              ;   in Loop: Header=BB66_14 Depth=2
	s_or_b64 exec, exec, s[0:1]
	v_cmp_eq_u64_e32 vcc, v[32:33], v[18:19]
	v_cmp_ne_u64_e64 s[0:1], v[32:33], v[18:19]
	s_and_saveexec_b64 s[28:29], s[0:1]
	s_xor_b64 s[28:29], exec, s[28:29]
; %bb.19:                               ;   in Loop: Header=BB66_14 Depth=2
	v_cmp_lt_i64_e64 s[0:1], v[32:33], v[16:17]
                                        ; implicit-def: $vgpr30_vgpr31
                                        ; implicit-def: $vgpr28_vgpr29
	s_nop 1
	v_cndmask_b32_e64 v17, v17, v33, s[0:1]
	v_cndmask_b32_e64 v16, v16, v32, s[0:1]
; %bb.20:                               ;   in Loop: Header=BB66_14 Depth=2
	s_or_saveexec_b64 s[0:1], s[28:29]
	v_mov_b64_e32 v[32:33], v[20:21]
	s_xor_b64 exec, exec, s[0:1]
	s_cbranch_execz .LBB66_13
; %bb.21:                               ;   in Loop: Header=BB66_14 Depth=2
	global_load_dword v7, v[24:25], off
	v_sub_u32_e32 v23, v30, v22
	v_add_lshl_u32 v23, v35, v23, 2
	v_mov_b64_e32 v[32:33], v[28:29]
	ds_write_b8 v34, v39 offset:2048
	s_waitcnt vmcnt(0)
	ds_write_b32 v23, v7
	s_branch .LBB66_13
.LBB66_22:                              ;   in Loop: Header=BB66_11 Depth=1
	s_or_b64 exec, exec, s[26:27]
.LBB66_23:                              ;   in Loop: Header=BB66_11 Depth=1
	s_or_b64 exec, exec, s[24:25]
	v_mov_b32_dpp v20, v32 row_shr:1 row_mask:0xf bank_mask:0xf
	v_mov_b32_dpp v21, v33 row_shr:1 row_mask:0xf bank_mask:0xf
	v_cmp_lt_i64_e32 vcc, v[20:21], v[32:33]
	s_waitcnt lgkmcnt(0)
	s_nop 0
	v_cndmask_b32_e32 v21, v33, v21, vcc
	v_cndmask_b32_e32 v20, v32, v20, vcc
	s_nop 0
	v_mov_b32_dpp v23, v21 row_shr:2 row_mask:0xf bank_mask:0xf
	v_mov_b32_dpp v22, v20 row_shr:2 row_mask:0xf bank_mask:0xf
	v_cmp_lt_i64_e32 vcc, v[22:23], v[20:21]
	s_nop 1
	v_cndmask_b32_e32 v7, v21, v23, vcc
	ds_read_u8 v23, v34 offset:2048
	v_cndmask_b32_e32 v20, v20, v22, vcc
	ds_bpermute_b32 v20, v36, v20
	ds_bpermute_b32 v21, v36, v7
	s_waitcnt lgkmcnt(2)
	v_and_b32_e32 v7, 1, v23
	v_cmp_eq_u32_e32 vcc, 1, v7
	v_mov_b64_e32 v[22:23], 0
	s_and_saveexec_b64 s[0:1], vcc
	s_cbranch_execz .LBB66_10
; %bb.24:                               ;   in Loop: Header=BB66_11 Depth=1
	v_lshl_add_u64 v[18:19], v[18:19], 0, s[12:13]
	v_lshl_add_u64 v[22:23], v[4:5], 3, s[2:3]
	global_store_dwordx2 v[22:23], v[18:19], off
	v_mul_lo_u32 v7, s34, v4
	v_mul_lo_u32 v22, s35, v5
	v_mad_u64_u32 v[18:19], s[24:25], s35, v4, 0
	v_add3_u32 v19, v19, v22, v7
	v_lshlrev_b64 v[18:19], 2, v[18:19]
	v_lshl_add_u64 v[24:25], v[8:9], 0, v[18:19]
	v_lshl_add_u64 v[18:19], v[10:11], 0, v[18:19]
	s_and_saveexec_b64 s[24:25], s[18:19]
	s_cbranch_execz .LBB66_28
; %bb.25:                               ;   in Loop: Header=BB66_11 Depth=1
	s_and_b64 vcc, exec, s[16:17]
	s_cbranch_vccz .LBB66_31
; %bb.26:                               ;   in Loop: Header=BB66_11 Depth=1
	ds_read_b32 v7, v38
	v_lshl_add_u64 v[22:23], v[12:13], 2, v[24:25]
	s_waitcnt lgkmcnt(0)
	global_store_dword v[22:23], v7, off
	s_cbranch_execnz .LBB66_28
.LBB66_27:                              ;   in Loop: Header=BB66_11 Depth=1
	ds_read_b32 v7, v38
	v_lshlrev_b32_e32 v22, 2, v0
	v_mov_b32_e32 v23, v6
	v_lshl_add_u64 v[22:23], v[18:19], 0, v[22:23]
	s_waitcnt lgkmcnt(0)
	global_store_dword v[22:23], v7, off
.LBB66_28:                              ;   in Loop: Header=BB66_11 Depth=1
	s_or_b64 exec, exec, s[24:25]
	v_mov_b64_e32 v[22:23], 1
	s_and_saveexec_b64 s[24:25], s[4:5]
	s_cbranch_execz .LBB66_9
; %bb.29:                               ;   in Loop: Header=BB66_11 Depth=1
	s_andn2_b64 vcc, exec, s[16:17]
	s_cbranch_vccnz .LBB66_32
; %bb.30:                               ;   in Loop: Header=BB66_11 Depth=1
	ds_read_b32 v7, v38 offset:16
	v_lshl_add_u64 v[22:23], v[14:15], 2, v[24:25]
	s_mov_b64 s[26:27], 1
	s_waitcnt lgkmcnt(0)
	global_store_dword v[22:23], v7, off
	s_cbranch_execnz .LBB66_8
	s_branch .LBB66_33
.LBB66_31:                              ;   in Loop: Header=BB66_11 Depth=1
	s_branch .LBB66_27
.LBB66_32:                              ;   in Loop: Header=BB66_11 Depth=1
                                        ; implicit-def: $sgpr26_sgpr27
.LBB66_33:                              ;   in Loop: Header=BB66_11 Depth=1
	ds_read_b32 v7, v38 offset:16
	v_lshlrev_b32_e32 v22, 2, v0
	v_mov_b32_e32 v23, v6
	v_lshl_add_u64 v[18:19], v[18:19], 0, v[22:23]
	s_mov_b64 s[26:27], 1
	s_waitcnt lgkmcnt(0)
	global_store_dword v[18:19], v7, off offset:16
	s_branch .LBB66_8
.LBB66_34:
	s_endpgm
	.section	.rodata,"a",@progbits
	.p2align	6, 0x0
	.amdhsa_kernel _ZN9rocsparseL42csr2bsr_wavefront_per_row_multipass_kernelILj256ELj32ELj8EfllEEv20rocsparse_direction_T4_S2_S2_S2_S2_21rocsparse_index_base_PKT2_PKT3_PKS2_S3_PS4_PS7_PS2_
		.amdhsa_group_segment_fixed_size 2056
		.amdhsa_private_segment_fixed_size 0
		.amdhsa_kernarg_size 112
		.amdhsa_user_sgpr_count 2
		.amdhsa_user_sgpr_dispatch_ptr 0
		.amdhsa_user_sgpr_queue_ptr 0
		.amdhsa_user_sgpr_kernarg_segment_ptr 1
		.amdhsa_user_sgpr_dispatch_id 0
		.amdhsa_user_sgpr_kernarg_preload_length 0
		.amdhsa_user_sgpr_kernarg_preload_offset 0
		.amdhsa_user_sgpr_private_segment_size 0
		.amdhsa_uses_dynamic_stack 0
		.amdhsa_enable_private_segment 0
		.amdhsa_system_sgpr_workgroup_id_x 1
		.amdhsa_system_sgpr_workgroup_id_y 0
		.amdhsa_system_sgpr_workgroup_id_z 0
		.amdhsa_system_sgpr_workgroup_info 0
		.amdhsa_system_vgpr_workitem_id 0
		.amdhsa_next_free_vgpr 46
		.amdhsa_next_free_sgpr 37
		.amdhsa_accum_offset 48
		.amdhsa_reserve_vcc 1
		.amdhsa_float_round_mode_32 0
		.amdhsa_float_round_mode_16_64 0
		.amdhsa_float_denorm_mode_32 3
		.amdhsa_float_denorm_mode_16_64 3
		.amdhsa_dx10_clamp 1
		.amdhsa_ieee_mode 1
		.amdhsa_fp16_overflow 0
		.amdhsa_tg_split 0
		.amdhsa_exception_fp_ieee_invalid_op 0
		.amdhsa_exception_fp_denorm_src 0
		.amdhsa_exception_fp_ieee_div_zero 0
		.amdhsa_exception_fp_ieee_overflow 0
		.amdhsa_exception_fp_ieee_underflow 0
		.amdhsa_exception_fp_ieee_inexact 0
		.amdhsa_exception_int_div_zero 0
	.end_amdhsa_kernel
	.section	.text._ZN9rocsparseL42csr2bsr_wavefront_per_row_multipass_kernelILj256ELj32ELj8EfllEEv20rocsparse_direction_T4_S2_S2_S2_S2_21rocsparse_index_base_PKT2_PKT3_PKS2_S3_PS4_PS7_PS2_,"axG",@progbits,_ZN9rocsparseL42csr2bsr_wavefront_per_row_multipass_kernelILj256ELj32ELj8EfllEEv20rocsparse_direction_T4_S2_S2_S2_S2_21rocsparse_index_base_PKT2_PKT3_PKS2_S3_PS4_PS7_PS2_,comdat
.Lfunc_end66:
	.size	_ZN9rocsparseL42csr2bsr_wavefront_per_row_multipass_kernelILj256ELj32ELj8EfllEEv20rocsparse_direction_T4_S2_S2_S2_S2_21rocsparse_index_base_PKT2_PKT3_PKS2_S3_PS4_PS7_PS2_, .Lfunc_end66-_ZN9rocsparseL42csr2bsr_wavefront_per_row_multipass_kernelILj256ELj32ELj8EfllEEv20rocsparse_direction_T4_S2_S2_S2_S2_21rocsparse_index_base_PKT2_PKT3_PKS2_S3_PS4_PS7_PS2_
                                        ; -- End function
	.section	.AMDGPU.csdata,"",@progbits
; Kernel info:
; codeLenInByte = 2404
; NumSgprs: 43
; NumVgprs: 46
; NumAgprs: 0
; TotalNumVgprs: 46
; ScratchSize: 0
; MemoryBound: 0
; FloatMode: 240
; IeeeMode: 1
; LDSByteSize: 2056 bytes/workgroup (compile time only)
; SGPRBlocks: 5
; VGPRBlocks: 5
; NumSGPRsForWavesPerEU: 43
; NumVGPRsForWavesPerEU: 46
; AccumOffset: 48
; Occupancy: 8
; WaveLimiterHint : 0
; COMPUTE_PGM_RSRC2:SCRATCH_EN: 0
; COMPUTE_PGM_RSRC2:USER_SGPR: 2
; COMPUTE_PGM_RSRC2:TRAP_HANDLER: 0
; COMPUTE_PGM_RSRC2:TGID_X_EN: 1
; COMPUTE_PGM_RSRC2:TGID_Y_EN: 0
; COMPUTE_PGM_RSRC2:TGID_Z_EN: 0
; COMPUTE_PGM_RSRC2:TIDIG_COMP_CNT: 0
; COMPUTE_PGM_RSRC3_GFX90A:ACCUM_OFFSET: 11
; COMPUTE_PGM_RSRC3_GFX90A:TG_SPLIT: 0
	.section	.text._ZN9rocsparseL42csr2bsr_wavefront_per_row_multipass_kernelILj256ELj64ELj16EfllEEv20rocsparse_direction_T4_S2_S2_S2_S2_21rocsparse_index_base_PKT2_PKT3_PKS2_S3_PS4_PS7_PS2_,"axG",@progbits,_ZN9rocsparseL42csr2bsr_wavefront_per_row_multipass_kernelILj256ELj64ELj16EfllEEv20rocsparse_direction_T4_S2_S2_S2_S2_21rocsparse_index_base_PKT2_PKT3_PKS2_S3_PS4_PS7_PS2_,comdat
	.globl	_ZN9rocsparseL42csr2bsr_wavefront_per_row_multipass_kernelILj256ELj64ELj16EfllEEv20rocsparse_direction_T4_S2_S2_S2_S2_21rocsparse_index_base_PKT2_PKT3_PKS2_S3_PS4_PS7_PS2_ ; -- Begin function _ZN9rocsparseL42csr2bsr_wavefront_per_row_multipass_kernelILj256ELj64ELj16EfllEEv20rocsparse_direction_T4_S2_S2_S2_S2_21rocsparse_index_base_PKT2_PKT3_PKS2_S3_PS4_PS7_PS2_
	.p2align	8
	.type	_ZN9rocsparseL42csr2bsr_wavefront_per_row_multipass_kernelILj256ELj64ELj16EfllEEv20rocsparse_direction_T4_S2_S2_S2_S2_21rocsparse_index_base_PKT2_PKT3_PKS2_S3_PS4_PS7_PS2_,@function
_ZN9rocsparseL42csr2bsr_wavefront_per_row_multipass_kernelILj256ELj64ELj16EfllEEv20rocsparse_direction_T4_S2_S2_S2_S2_21rocsparse_index_base_PKT2_PKT3_PKS2_S3_PS4_PS7_PS2_: ; @_ZN9rocsparseL42csr2bsr_wavefront_per_row_multipass_kernelILj256ELj64ELj16EfllEEv20rocsparse_direction_T4_S2_S2_S2_S2_21rocsparse_index_base_PKT2_PKT3_PKS2_S3_PS4_PS7_PS2_
; %bb.0:
	s_load_dwordx2 s[4:5], s[0:1], 0x8
	s_load_dwordx4 s[8:11], s[0:1], 0x18
	s_load_dwordx2 s[12:13], s[0:1], 0x28
	s_load_dword s33, s[0:1], 0x30
	s_load_dwordx2 s[6:7], s[0:1], 0x40
	s_ashr_i32 s3, s2, 31
	v_lshrrev_b32_e32 v38, 6, v0
	s_lshl_b64 s[14:15], s[2:3], 2
	v_bfe_u32 v10, v0, 2, 4
	v_mov_b32_e32 v11, 0
	v_or_b32_e32 v1, s14, v38
	s_waitcnt lgkmcnt(0)
	v_mul_lo_u32 v2, v1, s13
	v_mad_u64_u32 v[4:5], s[16:17], v1, s12, v[10:11]
	s_mul_i32 s3, s15, s12
	v_add3_u32 v5, s3, v5, v2
	v_cmp_gt_i64_e32 vcc, s[4:5], v[4:5]
	v_cmp_gt_i64_e64 s[4:5], s[12:13], v[10:11]
	v_mov_b64_e32 v[2:3], 0
	s_and_b64 s[14:15], s[4:5], vcc
	v_mov_b64_e32 v[22:23], v[2:3]
	s_and_saveexec_b64 s[16:17], s[14:15]
	s_cbranch_execz .LBB67_2
; %bb.1:
	v_lshl_add_u64 v[6:7], v[4:5], 3, s[6:7]
	global_load_dwordx2 v[6:7], v[6:7], off
	s_waitcnt vmcnt(0)
	v_subrev_co_u32_e32 v22, vcc, s33, v6
	s_nop 1
	v_subbrev_co_u32_e32 v23, vcc, 0, v7, vcc
.LBB67_2:
	s_or_b64 exec, exec, s[16:17]
	s_and_saveexec_b64 s[16:17], s[14:15]
	s_cbranch_execz .LBB67_4
; %bb.3:
	v_lshl_add_u64 v[2:3], v[4:5], 3, s[6:7]
	global_load_dwordx2 v[2:3], v[2:3], off offset:8
	s_waitcnt vmcnt(0)
	v_subrev_co_u32_e32 v2, vcc, s33, v2
	s_nop 1
	v_subbrev_co_u32_e32 v3, vcc, 0, v3, vcc
.LBB67_4:
	s_or_b64 exec, exec, s[16:17]
	s_load_dword s14, s[0:1], 0x50
	v_lshl_or_b32 v6, s2, 2, v38
	v_mov_b32_e32 v7, 0
	v_cmp_gt_i64_e32 vcc, s[8:9], v[6:7]
	v_mov_b64_e32 v[4:5], 0
	s_and_saveexec_b64 s[2:3], vcc
	s_cbranch_execz .LBB67_6
; %bb.5:
	s_load_dwordx2 s[6:7], s[0:1], 0x60
	s_waitcnt lgkmcnt(0)
	v_lshl_add_u64 v[4:5], v[6:7], 3, s[6:7]
	global_load_dwordx2 v[4:5], v[4:5], off
	s_waitcnt vmcnt(0)
	v_subrev_co_u32_e32 v4, vcc, s14, v4
	s_nop 1
	v_subbrev_co_u32_e32 v5, vcc, 0, v5, vcc
.LBB67_6:
	s_or_b64 exec, exec, s[2:3]
	v_cmp_lt_i64_e64 s[2:3], s[10:11], 1
	s_and_b64 vcc, exec, s[2:3]
	s_cbranch_vccnz .LBB67_44
; %bb.7:
	s_mul_i32 s2, s12, s13
	s_mul_hi_u32 s3, s12, s12
	s_add_i32 s3, s3, s2
	s_load_dwordx2 s[8:9], s[0:1], 0x68
	s_add_i32 s38, s3, s2
	s_load_dwordx2 s[2:3], s[0:1], 0x58
	s_load_dwordx2 s[16:17], s[0:1], 0x48
	;; [unrolled: 1-line block ×3, first 2 shown]
	s_load_dword s6, s[0:1], 0x0
	v_mad_u64_u32 v[12:13], s[0:1], v10, s12, 0
	v_lshlrev_b32_e32 v1, 8, v38
	v_mov_b32_e32 v14, v13
	v_lshlrev_b32_e32 v8, 2, v10
	v_lshl_or_b32 v39, v10, 4, v1
	v_mad_u64_u32 v[10:11], s[0:1], v10, s13, v[14:15]
	v_and_b32_e32 v0, 3, v0
	v_mov_b32_e32 v13, v10
	s_waitcnt lgkmcnt(0)
	v_lshl_add_u64 v[10:11], v[12:13], 2, s[2:3]
	v_mad_u64_u32 v[12:13], s[0:1], v0, s12, 0
	v_mov_b32_e32 v6, 0
	v_mov_b32_e32 v14, v13
	;; [unrolled: 1-line block ×3, first 2 shown]
	v_mad_u64_u32 v[14:15], s[0:1], v0, s13, v[14:15]
	v_or_b32_e32 v16, 4, v0
	v_lshl_add_u64 v[8:9], s[2:3], 0, v[8:9]
	v_mov_b32_e32 v13, v14
	v_mad_u64_u32 v[14:15], s[2:3], v16, s12, 0
	v_mov_b32_e32 v17, v6
	v_mov_b32_e32 v18, v15
	v_cmp_gt_u64_e64 s[0:1], s[12:13], v[16:17]
	v_mad_u64_u32 v[16:17], s[2:3], v16, s13, v[18:19]
	v_or_b32_e32 v18, 8, v0
	s_cmp_lg_u32 s6, 0
	v_mov_b32_e32 v15, v16
	v_mad_u64_u32 v[16:17], s[6:7], v18, s12, 0
	v_mov_b32_e32 v19, v6
	v_mov_b32_e32 v20, v17
	v_mbcnt_lo_u32_b32 v7, -1, 0
	v_cmp_gt_u64_e64 s[2:3], s[12:13], v[18:19]
	v_mad_u64_u32 v[18:19], s[6:7], v18, s13, v[20:21]
	v_or_b32_e32 v20, 12, v0
	v_mbcnt_hi_u32_b32 v7, -1, v7
	v_mov_b32_e32 v17, v18
	v_mad_u64_u32 v[18:19], s[22:23], v20, s12, 0
	v_mov_b32_e32 v1, v6
	v_lshlrev_b32_e32 v7, 2, v7
	v_mov_b32_e32 v21, v6
	v_mov_b32_e32 v24, v19
	s_mov_b32 s40, 0
	v_or_b32_e32 v40, 12, v7
	v_or_b32_e32 v41, 0xfc, v7
	v_or_b32_e32 v7, v39, v0
	v_cmp_gt_u64_e32 vcc, s[12:13], v[0:1]
	v_cmp_gt_u64_e64 s[6:7], s[12:13], v[20:21]
	v_mad_u64_u32 v[20:21], s[22:23], v20, s13, v[24:25]
	s_mul_i32 s39, s12, s12
	s_mov_b32 s15, s40
	s_cselect_b64 s[20:21], -1, 0
	v_lshlrev_b32_e32 v42, 2, v7
	v_mov_b32_e32 v19, v20
	s_and_b64 s[22:23], s[4:5], vcc
	s_and_b64 s[24:25], s[4:5], s[0:1]
	s_and_b64 s[2:3], s[4:5], s[2:3]
	;; [unrolled: 1-line block ×3, first 2 shown]
	s_mov_b64 s[6:7], 0
	v_mov_b64_e32 v[24:25], 0
	v_mov_b32_e32 v43, 1
	s_branch .LBB67_11
.LBB67_8:                               ;   in Loop: Header=BB67_11 Depth=1
	v_mov_b64_e32 v[28:29], s[0:1]
.LBB67_9:                               ;   in Loop: Header=BB67_11 Depth=1
	s_or_b64 exec, exec, s[28:29]
.LBB67_10:                              ;   in Loop: Header=BB67_11 Depth=1
	s_or_b64 exec, exec, s[26:27]
	v_mov_b32_dpp v24, v20 row_shr:1 row_mask:0xf bank_mask:0xf
	v_mov_b32_dpp v25, v21 row_shr:1 row_mask:0xf bank_mask:0xf
	v_cmp_lt_i64_e32 vcc, v[24:25], v[20:21]
	v_lshl_add_u64 v[4:5], v[28:29], 0, v[4:5]
	s_waitcnt lgkmcnt(0)
	v_cndmask_b32_e32 v21, v21, v25, vcc
	v_cndmask_b32_e32 v20, v20, v24, vcc
	s_nop 0
	v_mov_b32_dpp v25, v21 row_shr:2 row_mask:0xf bank_mask:0xf
	v_mov_b32_dpp v24, v20 row_shr:2 row_mask:0xf bank_mask:0xf
	v_cmp_lt_i64_e32 vcc, v[24:25], v[20:21]
	s_nop 1
	v_cndmask_b32_e32 v21, v21, v25, vcc
	v_cndmask_b32_e32 v20, v20, v24, vcc
	s_nop 0
	v_mov_b32_dpp v25, v21 row_shr:4 row_mask:0xf bank_mask:0xe
	v_mov_b32_dpp v24, v20 row_shr:4 row_mask:0xf bank_mask:0xe
	v_cmp_lt_i64_e32 vcc, v[24:25], v[20:21]
	s_nop 1
	;; [unrolled: 7-line block ×3, first 2 shown]
	v_cndmask_b32_e32 v21, v21, v25, vcc
	v_cndmask_b32_e32 v20, v20, v24, vcc
	s_nop 0
	v_mov_b32_dpp v25, v21 row_bcast:15 row_mask:0xa bank_mask:0xf
	v_mov_b32_dpp v24, v20 row_bcast:15 row_mask:0xa bank_mask:0xf
	v_cmp_lt_i64_e32 vcc, v[24:25], v[20:21]
	s_nop 1
	v_cndmask_b32_e32 v21, v21, v25, vcc
	v_cndmask_b32_e32 v20, v20, v24, vcc
	s_nop 0
	v_mov_b32_dpp v25, v21 row_bcast:31 row_mask:0xc bank_mask:0xf
	v_mov_b32_dpp v24, v20 row_bcast:31 row_mask:0xc bank_mask:0xf
	v_cmp_lt_i64_e32 vcc, v[24:25], v[20:21]
	s_nop 1
	v_cndmask_b32_e32 v7, v21, v25, vcc
	v_cndmask_b32_e32 v20, v20, v24, vcc
	ds_bpermute_b32 v24, v41, v20
	ds_bpermute_b32 v25, v41, v7
	s_waitcnt lgkmcnt(0)
	v_cmp_le_i64_e32 vcc, s[10:11], v[24:25]
	s_or_b64 s[6:7], vcc, s[6:7]
	s_andn2_b64 exec, exec, s[6:7]
	s_cbranch_execz .LBB67_44
.LBB67_11:                              ; =>This Loop Header: Depth=1
                                        ;     Child Loop BB67_14 Depth 2
	v_lshl_add_u64 v[22:23], v[22:23], 0, v[0:1]
	v_cmp_lt_i64_e32 vcc, v[22:23], v[2:3]
	v_mov_b64_e32 v[20:21], s[10:11]
	v_mov_b64_e32 v[36:37], v[2:3]
	ds_write_b8 v38, v6 offset:4096
	ds_write2_b32 v42, v6, v6 offset1:4
	ds_write2_b32 v42, v6, v6 offset0:8 offset1:12
	s_waitcnt lgkmcnt(0)
	s_and_saveexec_b64 s[26:27], vcc
	s_cbranch_execz .LBB67_23
; %bb.12:                               ;   in Loop: Header=BB67_11 Depth=1
	v_mad_u64_u32 v[26:27], s[0:1], v24, s12, 0
	v_lshl_add_u64 v[28:29], v[22:23], 2, s[18:19]
	v_lshl_add_u64 v[30:31], v[22:23], 3, s[16:17]
	s_mov_b64 s[28:29], 0
	v_mov_b64_e32 v[20:21], s[10:11]
	v_mov_b64_e32 v[32:33], v[2:3]
	s_branch .LBB67_14
.LBB67_13:                              ;   in Loop: Header=BB67_14 Depth=2
	s_or_b64 exec, exec, s[0:1]
	v_lshl_add_u64 v[22:23], v[22:23], 0, 4
	v_cmp_ge_i64_e64 s[0:1], v[22:23], v[2:3]
	s_xor_b64 s[30:31], vcc, -1
	s_or_b64 s[0:1], s[30:31], s[0:1]
	s_and_b64 s[0:1], exec, s[0:1]
	v_lshl_add_u64 v[28:29], v[28:29], 0, 16
	v_lshl_add_u64 v[30:31], v[30:31], 0, 32
	s_or_b64 s[28:29], s[0:1], s[28:29]
	v_mov_b64_e32 v[32:33], v[36:37]
	s_andn2_b64 exec, exec, s[28:29]
	s_cbranch_execz .LBB67_22
.LBB67_14:                              ;   Parent Loop BB67_11 Depth=1
                                        ; =>  This Inner Loop Header: Depth=2
	global_load_dwordx2 v[34:35], v[30:31], off
	v_mov_b32_e32 v7, s40
                                        ; implicit-def: $vgpr36_vgpr37
	s_waitcnt vmcnt(0)
	v_subrev_co_u32_e32 v34, vcc, s33, v34
	s_nop 1
	v_subb_co_u32_e32 v35, vcc, v35, v7, vcc
	v_or_b32_e32 v7, s13, v35
	v_cmp_ne_u64_e32 vcc, 0, v[6:7]
	s_and_saveexec_b64 s[0:1], vcc
	s_xor_b64 s[30:31], exec, s[0:1]
	s_cbranch_execz .LBB67_16
; %bb.15:                               ;   in Loop: Header=BB67_14 Depth=2
	s_ashr_i32 s34, s13, 31
	s_add_u32 s0, s12, s34
	s_mov_b32 s35, s34
	s_addc_u32 s1, s13, s34
	s_xor_b64 s[36:37], s[0:1], s[34:35]
	v_cvt_f32_u32_e32 v7, s36
	v_cvt_f32_u32_e32 v27, s37
	s_sub_u32 s0, 0, s36
	s_subb_u32 s1, 0, s37
	v_mov_b32_e32 v45, v6
	v_fmac_f32_e32 v7, 0x4f800000, v27
	v_rcp_f32_e32 v7, v7
	s_nop 0
	v_mul_f32_e32 v7, 0x5f7ffffc, v7
	v_mul_f32_e32 v27, 0x2f800000, v7
	v_trunc_f32_e32 v27, v27
	v_fmac_f32_e32 v7, 0xcf800000, v27
	v_cvt_u32_f32_e32 v27, v27
	v_cvt_u32_f32_e32 v7, v7
	v_mul_lo_u32 v36, s0, v27
	v_mul_hi_u32 v44, s0, v7
	v_mul_lo_u32 v37, s1, v7
	v_add_u32_e32 v36, v44, v36
	v_mul_lo_u32 v46, s0, v7
	v_add_u32_e32 v47, v36, v37
	v_mul_hi_u32 v37, v7, v47
	v_mul_lo_u32 v36, v7, v47
	v_mul_hi_u32 v44, v7, v46
	v_lshl_add_u64 v[36:37], v[44:45], 0, v[36:37]
	v_mul_hi_u32 v45, v27, v46
	v_mul_lo_u32 v46, v27, v46
	v_add_co_u32_e32 v36, vcc, v36, v46
	v_mul_hi_u32 v44, v27, v47
	s_nop 0
	v_addc_co_u32_e32 v36, vcc, v37, v45, vcc
	v_mov_b32_e32 v37, v6
	s_nop 0
	v_addc_co_u32_e32 v45, vcc, 0, v44, vcc
	v_mul_lo_u32 v44, v27, v47
	v_lshl_add_u64 v[36:37], v[36:37], 0, v[44:45]
	v_add_co_u32_e32 v7, vcc, v7, v36
	v_mul_lo_u32 v44, s0, v7
	s_nop 0
	v_addc_co_u32_e32 v27, vcc, v27, v37, vcc
	v_mul_lo_u32 v36, s0, v27
	v_mul_hi_u32 v37, s0, v7
	v_add_u32_e32 v36, v37, v36
	v_mul_lo_u32 v37, s1, v7
	v_add_u32_e32 v46, v36, v37
	v_mul_hi_u32 v48, v27, v44
	v_mul_lo_u32 v49, v27, v44
	v_mul_hi_u32 v37, v7, v46
	v_mul_lo_u32 v36, v7, v46
	v_mul_hi_u32 v44, v7, v44
	v_mov_b32_e32 v45, v6
	v_lshl_add_u64 v[36:37], v[44:45], 0, v[36:37]
	v_add_co_u32_e32 v36, vcc, v36, v49
	v_mul_hi_u32 v47, v27, v46
	s_nop 0
	v_addc_co_u32_e32 v36, vcc, v37, v48, vcc
	v_mul_lo_u32 v44, v27, v46
	s_nop 0
	v_addc_co_u32_e32 v45, vcc, 0, v47, vcc
	v_mov_b32_e32 v37, v6
	v_lshl_add_u64 v[36:37], v[36:37], 0, v[44:45]
	v_add_co_u32_e32 v7, vcc, v7, v36
	v_ashrrev_i32_e32 v36, 31, v35
	s_nop 0
	v_addc_co_u32_e32 v27, vcc, v27, v37, vcc
	v_mov_b32_e32 v37, v36
	v_lshl_add_u64 v[44:45], v[34:35], 0, v[36:37]
	v_xor_b32_e32 v37, v44, v36
	v_xor_b32_e32 v35, v45, v36
	v_mad_u64_u32 v[44:45], s[0:1], v37, v27, 0
	v_mul_hi_u32 v46, v37, v7
	v_mov_b32_e32 v47, v6
	v_lshl_add_u64 v[44:45], v[46:47], 0, v[44:45]
	v_mad_u64_u32 v[48:49], s[0:1], v35, v7, 0
	v_add_co_u32_e32 v7, vcc, v44, v48
	v_mad_u64_u32 v[46:47], s[0:1], v35, v27, 0
	s_nop 0
	v_addc_co_u32_e32 v44, vcc, v45, v49, vcc
	v_mov_b32_e32 v45, v6
	s_nop 0
	v_addc_co_u32_e32 v47, vcc, 0, v47, vcc
	v_lshl_add_u64 v[44:45], v[44:45], 0, v[46:47]
	v_mul_lo_u32 v7, s37, v44
	v_mul_lo_u32 v27, s36, v45
	v_mad_u64_u32 v[46:47], s[0:1], s36, v44, 0
	v_add3_u32 v7, v47, v27, v7
	v_sub_u32_e32 v27, v35, v7
	v_mov_b32_e32 v47, s37
	v_sub_co_u32_e32 v37, vcc, v37, v46
	v_lshl_add_u64 v[48:49], v[44:45], 0, 1
	s_nop 0
	v_subb_co_u32_e64 v27, s[0:1], v27, v47, vcc
	v_subrev_co_u32_e64 v46, s[0:1], s36, v37
	v_subb_co_u32_e32 v7, vcc, v35, v7, vcc
	s_nop 0
	v_subbrev_co_u32_e64 v27, s[0:1], 0, v27, s[0:1]
	v_cmp_le_u32_e64 s[0:1], s37, v27
	v_cmp_le_u32_e32 vcc, s37, v7
	s_nop 0
	v_cndmask_b32_e64 v47, 0, -1, s[0:1]
	v_cmp_le_u32_e64 s[0:1], s36, v46
	v_cndmask_b32_e64 v35, 0, -1, vcc
	v_cmp_le_u32_e32 vcc, s36, v37
	v_cndmask_b32_e64 v46, 0, -1, s[0:1]
	v_cmp_eq_u32_e64 s[0:1], s37, v27
	v_cndmask_b32_e64 v37, 0, -1, vcc
	v_cmp_eq_u32_e32 vcc, s37, v7
	v_cndmask_b32_e64 v27, v47, v46, s[0:1]
	v_lshl_add_u64 v[46:47], v[44:45], 0, 2
	v_cmp_ne_u32_e64 s[0:1], 0, v27
	v_cndmask_b32_e32 v7, v35, v37, vcc
	v_cmp_ne_u32_e32 vcc, 0, v7
	v_cndmask_b32_e64 v27, v49, v47, s[0:1]
	v_xor_b32_e32 v35, s34, v36
	v_cndmask_b32_e32 v7, v45, v27, vcc
	v_cndmask_b32_e64 v27, v48, v46, s[0:1]
	v_cndmask_b32_e32 v27, v44, v27, vcc
	v_xor_b32_e32 v27, v27, v35
	v_xor_b32_e32 v7, v7, v35
	v_sub_co_u32_e32 v36, vcc, v27, v35
	s_nop 1
	v_subb_co_u32_e32 v37, vcc, v7, v35, vcc
.LBB67_16:                              ;   in Loop: Header=BB67_14 Depth=2
	s_andn2_saveexec_b64 s[0:1], s[30:31]
	s_cbranch_execz .LBB67_18
; %bb.17:                               ;   in Loop: Header=BB67_14 Depth=2
	v_cvt_f32_u32_e32 v7, s12
	s_sub_i32 s30, 0, s12
	v_mov_b32_e32 v37, v6
	v_rcp_iflag_f32_e32 v7, v7
	s_nop 0
	v_mul_f32_e32 v7, 0x4f7ffffe, v7
	v_cvt_u32_f32_e32 v7, v7
	v_mul_lo_u32 v27, s30, v7
	v_mul_hi_u32 v27, v7, v27
	v_add_u32_e32 v7, v7, v27
	v_mul_hi_u32 v7, v34, v7
	v_mul_lo_u32 v27, v7, s12
	v_sub_u32_e32 v27, v34, v27
	v_add_u32_e32 v35, 1, v7
	v_subrev_u32_e32 v36, s12, v27
	v_cmp_le_u32_e32 vcc, s12, v27
	s_nop 1
	v_cndmask_b32_e32 v27, v27, v36, vcc
	v_cndmask_b32_e32 v7, v7, v35, vcc
	v_add_u32_e32 v35, 1, v7
	v_cmp_le_u32_e32 vcc, s12, v27
	s_nop 1
	v_cndmask_b32_e32 v36, v7, v35, vcc
.LBB67_18:                              ;   in Loop: Header=BB67_14 Depth=2
	s_or_b64 exec, exec, s[0:1]
	v_cmp_eq_u64_e32 vcc, v[36:37], v[24:25]
	v_cmp_ne_u64_e64 s[0:1], v[36:37], v[24:25]
	s_and_saveexec_b64 s[30:31], s[0:1]
	s_xor_b64 s[30:31], exec, s[30:31]
; %bb.19:                               ;   in Loop: Header=BB67_14 Depth=2
	v_cmp_lt_i64_e64 s[0:1], v[36:37], v[20:21]
                                        ; implicit-def: $vgpr34_vgpr35
                                        ; implicit-def: $vgpr32_vgpr33
	s_nop 1
	v_cndmask_b32_e64 v21, v21, v37, s[0:1]
	v_cndmask_b32_e64 v20, v20, v36, s[0:1]
; %bb.20:                               ;   in Loop: Header=BB67_14 Depth=2
	s_or_saveexec_b64 s[0:1], s[30:31]
	v_mov_b64_e32 v[36:37], v[22:23]
	s_xor_b64 exec, exec, s[0:1]
	s_cbranch_execz .LBB67_13
; %bb.21:                               ;   in Loop: Header=BB67_14 Depth=2
	global_load_dword v7, v[28:29], off
	v_sub_u32_e32 v27, v34, v26
	v_add_lshl_u32 v27, v39, v27, 2
	v_mov_b64_e32 v[36:37], v[32:33]
	ds_write_b8 v38, v43 offset:4096
	s_waitcnt vmcnt(0)
	ds_write_b32 v27, v7
	s_branch .LBB67_13
.LBB67_22:                              ;   in Loop: Header=BB67_11 Depth=1
	s_or_b64 exec, exec, s[28:29]
.LBB67_23:                              ;   in Loop: Header=BB67_11 Depth=1
	s_or_b64 exec, exec, s[26:27]
	v_mov_b32_dpp v22, v36 row_shr:1 row_mask:0xf bank_mask:0xf
	v_mov_b32_dpp v23, v37 row_shr:1 row_mask:0xf bank_mask:0xf
	v_cmp_lt_i64_e32 vcc, v[22:23], v[36:37]
	s_waitcnt lgkmcnt(0)
	v_mov_b64_e32 v[28:29], 0
	v_cndmask_b32_e32 v23, v37, v23, vcc
	v_cndmask_b32_e32 v22, v36, v22, vcc
	s_nop 0
	v_mov_b32_dpp v27, v23 row_shr:2 row_mask:0xf bank_mask:0xf
	v_mov_b32_dpp v26, v22 row_shr:2 row_mask:0xf bank_mask:0xf
	v_cmp_lt_i64_e32 vcc, v[26:27], v[22:23]
	s_nop 1
	v_cndmask_b32_e32 v7, v23, v27, vcc
	ds_read_u8 v27, v38 offset:4096
	v_cndmask_b32_e32 v22, v22, v26, vcc
	ds_bpermute_b32 v22, v40, v22
	ds_bpermute_b32 v23, v40, v7
	s_waitcnt lgkmcnt(2)
	v_and_b32_e32 v7, 1, v27
	v_cmp_eq_u32_e32 vcc, 1, v7
	s_and_saveexec_b64 s[26:27], vcc
	s_cbranch_execz .LBB67_10
; %bb.24:                               ;   in Loop: Header=BB67_11 Depth=1
	v_lshl_add_u64 v[24:25], v[24:25], 0, s[14:15]
	v_lshl_add_u64 v[26:27], v[4:5], 3, s[8:9]
	global_store_dwordx2 v[26:27], v[24:25], off
	v_mul_lo_u32 v7, s38, v4
	v_mul_lo_u32 v26, s39, v5
	v_mad_u64_u32 v[24:25], s[0:1], s39, v4, 0
	v_add3_u32 v25, v25, v26, v7
	v_lshlrev_b64 v[24:25], 2, v[24:25]
	v_lshl_add_u64 v[26:27], v[8:9], 0, v[24:25]
	v_lshl_add_u64 v[24:25], v[10:11], 0, v[24:25]
	s_and_saveexec_b64 s[0:1], s[22:23]
	s_cbranch_execz .LBB67_28
; %bb.25:                               ;   in Loop: Header=BB67_11 Depth=1
	s_and_b64 vcc, exec, s[20:21]
	s_cbranch_vccz .LBB67_39
; %bb.26:                               ;   in Loop: Header=BB67_11 Depth=1
	ds_read_b32 v7, v42
	v_lshl_add_u64 v[28:29], v[12:13], 2, v[26:27]
	s_waitcnt lgkmcnt(0)
	global_store_dword v[28:29], v7, off
	s_cbranch_execnz .LBB67_28
.LBB67_27:                              ;   in Loop: Header=BB67_11 Depth=1
	ds_read_b32 v7, v42
	v_lshlrev_b32_e32 v28, 2, v0
	v_mov_b32_e32 v29, v6
	v_lshl_add_u64 v[28:29], v[24:25], 0, v[28:29]
	s_waitcnt lgkmcnt(0)
	global_store_dword v[28:29], v7, off
.LBB67_28:                              ;   in Loop: Header=BB67_11 Depth=1
	s_or_b64 exec, exec, s[0:1]
	v_cndmask_b32_e64 v7, 0, 1, s[20:21]
	v_cmp_ne_u32_e64 s[0:1], 1, v7
	s_and_saveexec_b64 s[28:29], s[24:25]
	s_cbranch_execz .LBB67_32
; %bb.29:                               ;   in Loop: Header=BB67_11 Depth=1
	s_and_b64 vcc, exec, s[0:1]
	s_cbranch_vccnz .LBB67_40
; %bb.30:                               ;   in Loop: Header=BB67_11 Depth=1
	ds_read_b32 v7, v42 offset:16
	v_lshl_add_u64 v[28:29], v[14:15], 2, v[26:27]
	s_waitcnt lgkmcnt(0)
	global_store_dword v[28:29], v7, off
	s_cbranch_execnz .LBB67_32
.LBB67_31:                              ;   in Loop: Header=BB67_11 Depth=1
	ds_read_b32 v7, v42 offset:16
	v_lshlrev_b32_e32 v28, 2, v0
	v_mov_b32_e32 v29, v6
	v_lshl_add_u64 v[28:29], v[24:25], 0, v[28:29]
	s_waitcnt lgkmcnt(0)
	global_store_dword v[28:29], v7, off offset:16
.LBB67_32:                              ;   in Loop: Header=BB67_11 Depth=1
	s_or_b64 exec, exec, s[28:29]
	s_and_saveexec_b64 s[28:29], s[2:3]
	s_cbranch_execz .LBB67_36
; %bb.33:                               ;   in Loop: Header=BB67_11 Depth=1
	s_and_b64 vcc, exec, s[0:1]
	s_cbranch_vccnz .LBB67_41
; %bb.34:                               ;   in Loop: Header=BB67_11 Depth=1
	ds_read_b32 v7, v42 offset:32
	v_lshl_add_u64 v[28:29], v[16:17], 2, v[26:27]
	s_waitcnt lgkmcnt(0)
	global_store_dword v[28:29], v7, off
	s_cbranch_execnz .LBB67_36
.LBB67_35:                              ;   in Loop: Header=BB67_11 Depth=1
	ds_read_b32 v7, v42 offset:32
	v_lshlrev_b32_e32 v28, 2, v0
	v_mov_b32_e32 v29, v6
	v_lshl_add_u64 v[28:29], v[24:25], 0, v[28:29]
	s_waitcnt lgkmcnt(0)
	global_store_dword v[28:29], v7, off offset:32
.LBB67_36:                              ;   in Loop: Header=BB67_11 Depth=1
	s_or_b64 exec, exec, s[28:29]
	v_mov_b64_e32 v[28:29], 1
	s_and_saveexec_b64 s[28:29], s[4:5]
	s_cbranch_execz .LBB67_9
; %bb.37:                               ;   in Loop: Header=BB67_11 Depth=1
	s_and_b64 vcc, exec, s[0:1]
	s_cbranch_vccnz .LBB67_42
; %bb.38:                               ;   in Loop: Header=BB67_11 Depth=1
	ds_read_b32 v7, v42 offset:48
	v_lshl_add_u64 v[26:27], v[18:19], 2, v[26:27]
	s_mov_b64 s[0:1], 1
	s_waitcnt lgkmcnt(0)
	global_store_dword v[26:27], v7, off
	s_cbranch_execnz .LBB67_8
	s_branch .LBB67_43
.LBB67_39:                              ;   in Loop: Header=BB67_11 Depth=1
	s_branch .LBB67_27
.LBB67_40:                              ;   in Loop: Header=BB67_11 Depth=1
	s_branch .LBB67_31
.LBB67_41:                              ;   in Loop: Header=BB67_11 Depth=1
	s_branch .LBB67_35
.LBB67_42:                              ;   in Loop: Header=BB67_11 Depth=1
                                        ; implicit-def: $sgpr0_sgpr1
.LBB67_43:                              ;   in Loop: Header=BB67_11 Depth=1
	ds_read_b32 v7, v42 offset:48
	v_lshlrev_b32_e32 v26, 2, v0
	v_mov_b32_e32 v27, v6
	v_lshl_add_u64 v[24:25], v[24:25], 0, v[26:27]
	s_mov_b64 s[0:1], 1
	s_waitcnt lgkmcnt(0)
	global_store_dword v[24:25], v7, off offset:48
	s_branch .LBB67_8
.LBB67_44:
	s_endpgm
	.section	.rodata,"a",@progbits
	.p2align	6, 0x0
	.amdhsa_kernel _ZN9rocsparseL42csr2bsr_wavefront_per_row_multipass_kernelILj256ELj64ELj16EfllEEv20rocsparse_direction_T4_S2_S2_S2_S2_21rocsparse_index_base_PKT2_PKT3_PKS2_S3_PS4_PS7_PS2_
		.amdhsa_group_segment_fixed_size 4100
		.amdhsa_private_segment_fixed_size 0
		.amdhsa_kernarg_size 112
		.amdhsa_user_sgpr_count 2
		.amdhsa_user_sgpr_dispatch_ptr 0
		.amdhsa_user_sgpr_queue_ptr 0
		.amdhsa_user_sgpr_kernarg_segment_ptr 1
		.amdhsa_user_sgpr_dispatch_id 0
		.amdhsa_user_sgpr_kernarg_preload_length 0
		.amdhsa_user_sgpr_kernarg_preload_offset 0
		.amdhsa_user_sgpr_private_segment_size 0
		.amdhsa_uses_dynamic_stack 0
		.amdhsa_enable_private_segment 0
		.amdhsa_system_sgpr_workgroup_id_x 1
		.amdhsa_system_sgpr_workgroup_id_y 0
		.amdhsa_system_sgpr_workgroup_id_z 0
		.amdhsa_system_sgpr_workgroup_info 0
		.amdhsa_system_vgpr_workitem_id 0
		.amdhsa_next_free_vgpr 50
		.amdhsa_next_free_sgpr 41
		.amdhsa_accum_offset 52
		.amdhsa_reserve_vcc 1
		.amdhsa_float_round_mode_32 0
		.amdhsa_float_round_mode_16_64 0
		.amdhsa_float_denorm_mode_32 3
		.amdhsa_float_denorm_mode_16_64 3
		.amdhsa_dx10_clamp 1
		.amdhsa_ieee_mode 1
		.amdhsa_fp16_overflow 0
		.amdhsa_tg_split 0
		.amdhsa_exception_fp_ieee_invalid_op 0
		.amdhsa_exception_fp_denorm_src 0
		.amdhsa_exception_fp_ieee_div_zero 0
		.amdhsa_exception_fp_ieee_overflow 0
		.amdhsa_exception_fp_ieee_underflow 0
		.amdhsa_exception_fp_ieee_inexact 0
		.amdhsa_exception_int_div_zero 0
	.end_amdhsa_kernel
	.section	.text._ZN9rocsparseL42csr2bsr_wavefront_per_row_multipass_kernelILj256ELj64ELj16EfllEEv20rocsparse_direction_T4_S2_S2_S2_S2_21rocsparse_index_base_PKT2_PKT3_PKS2_S3_PS4_PS7_PS2_,"axG",@progbits,_ZN9rocsparseL42csr2bsr_wavefront_per_row_multipass_kernelILj256ELj64ELj16EfllEEv20rocsparse_direction_T4_S2_S2_S2_S2_21rocsparse_index_base_PKT2_PKT3_PKS2_S3_PS4_PS7_PS2_,comdat
.Lfunc_end67:
	.size	_ZN9rocsparseL42csr2bsr_wavefront_per_row_multipass_kernelILj256ELj64ELj16EfllEEv20rocsparse_direction_T4_S2_S2_S2_S2_21rocsparse_index_base_PKT2_PKT3_PKS2_S3_PS4_PS7_PS2_, .Lfunc_end67-_ZN9rocsparseL42csr2bsr_wavefront_per_row_multipass_kernelILj256ELj64ELj16EfllEEv20rocsparse_direction_T4_S2_S2_S2_S2_21rocsparse_index_base_PKT2_PKT3_PKS2_S3_PS4_PS7_PS2_
                                        ; -- End function
	.section	.AMDGPU.csdata,"",@progbits
; Kernel info:
; codeLenInByte = 2732
; NumSgprs: 47
; NumVgprs: 50
; NumAgprs: 0
; TotalNumVgprs: 50
; ScratchSize: 0
; MemoryBound: 0
; FloatMode: 240
; IeeeMode: 1
; LDSByteSize: 4100 bytes/workgroup (compile time only)
; SGPRBlocks: 5
; VGPRBlocks: 6
; NumSGPRsForWavesPerEU: 47
; NumVGPRsForWavesPerEU: 50
; AccumOffset: 52
; Occupancy: 8
; WaveLimiterHint : 0
; COMPUTE_PGM_RSRC2:SCRATCH_EN: 0
; COMPUTE_PGM_RSRC2:USER_SGPR: 2
; COMPUTE_PGM_RSRC2:TRAP_HANDLER: 0
; COMPUTE_PGM_RSRC2:TGID_X_EN: 1
; COMPUTE_PGM_RSRC2:TGID_Y_EN: 0
; COMPUTE_PGM_RSRC2:TGID_Z_EN: 0
; COMPUTE_PGM_RSRC2:TIDIG_COMP_CNT: 0
; COMPUTE_PGM_RSRC3_GFX90A:ACCUM_OFFSET: 12
; COMPUTE_PGM_RSRC3_GFX90A:TG_SPLIT: 0
	.section	.text._ZN9rocsparseL42csr2bsr_wavefront_per_row_multipass_kernelILj256ELj32ELj16EfllEEv20rocsparse_direction_T4_S2_S2_S2_S2_21rocsparse_index_base_PKT2_PKT3_PKS2_S3_PS4_PS7_PS2_,"axG",@progbits,_ZN9rocsparseL42csr2bsr_wavefront_per_row_multipass_kernelILj256ELj32ELj16EfllEEv20rocsparse_direction_T4_S2_S2_S2_S2_21rocsparse_index_base_PKT2_PKT3_PKS2_S3_PS4_PS7_PS2_,comdat
	.globl	_ZN9rocsparseL42csr2bsr_wavefront_per_row_multipass_kernelILj256ELj32ELj16EfllEEv20rocsparse_direction_T4_S2_S2_S2_S2_21rocsparse_index_base_PKT2_PKT3_PKS2_S3_PS4_PS7_PS2_ ; -- Begin function _ZN9rocsparseL42csr2bsr_wavefront_per_row_multipass_kernelILj256ELj32ELj16EfllEEv20rocsparse_direction_T4_S2_S2_S2_S2_21rocsparse_index_base_PKT2_PKT3_PKS2_S3_PS4_PS7_PS2_
	.p2align	8
	.type	_ZN9rocsparseL42csr2bsr_wavefront_per_row_multipass_kernelILj256ELj32ELj16EfllEEv20rocsparse_direction_T4_S2_S2_S2_S2_21rocsparse_index_base_PKT2_PKT3_PKS2_S3_PS4_PS7_PS2_,@function
_ZN9rocsparseL42csr2bsr_wavefront_per_row_multipass_kernelILj256ELj32ELj16EfllEEv20rocsparse_direction_T4_S2_S2_S2_S2_21rocsparse_index_base_PKT2_PKT3_PKS2_S3_PS4_PS7_PS2_: ; @_ZN9rocsparseL42csr2bsr_wavefront_per_row_multipass_kernelILj256ELj32ELj16EfllEEv20rocsparse_direction_T4_S2_S2_S2_S2_21rocsparse_index_base_PKT2_PKT3_PKS2_S3_PS4_PS7_PS2_
; %bb.0:
	s_load_dwordx2 s[4:5], s[0:1], 0x8
	s_load_dwordx4 s[16:19], s[0:1], 0x18
	s_load_dwordx2 s[20:21], s[0:1], 0x28
	s_load_dword s33, s[0:1], 0x30
	s_load_dwordx2 s[6:7], s[0:1], 0x40
	s_ashr_i32 s3, s2, 31
	v_lshrrev_b32_e32 v46, 5, v0
	s_lshl_b64 s[8:9], s[2:3], 3
	v_bfe_u32 v10, v0, 1, 4
	v_mov_b32_e32 v11, 0
	v_or_b32_e32 v1, s8, v46
	s_waitcnt lgkmcnt(0)
	v_mul_lo_u32 v2, v1, s21
	v_mad_u64_u32 v[4:5], s[10:11], v1, s20, v[10:11]
	s_mul_i32 s3, s9, s20
	v_add3_u32 v5, s3, v5, v2
	v_cmp_gt_i64_e32 vcc, s[4:5], v[4:5]
	v_cmp_gt_i64_e64 s[4:5], s[20:21], v[10:11]
	v_mov_b64_e32 v[2:3], 0
	s_and_b64 s[8:9], s[4:5], vcc
	v_mov_b64_e32 v[30:31], v[2:3]
	s_and_saveexec_b64 s[10:11], s[8:9]
	s_cbranch_execz .LBB68_2
; %bb.1:
	v_lshl_add_u64 v[6:7], v[4:5], 3, s[6:7]
	global_load_dwordx2 v[6:7], v[6:7], off
	s_waitcnt vmcnt(0)
	v_subrev_co_u32_e32 v30, vcc, s33, v6
	s_nop 1
	v_subbrev_co_u32_e32 v31, vcc, 0, v7, vcc
.LBB68_2:
	s_or_b64 exec, exec, s[10:11]
	s_and_saveexec_b64 s[10:11], s[8:9]
	s_cbranch_execz .LBB68_4
; %bb.3:
	v_lshl_add_u64 v[2:3], v[4:5], 3, s[6:7]
	global_load_dwordx2 v[2:3], v[2:3], off offset:8
	s_waitcnt vmcnt(0)
	v_subrev_co_u32_e32 v2, vcc, s33, v2
	s_nop 1
	v_subbrev_co_u32_e32 v3, vcc, 0, v3, vcc
.LBB68_4:
	s_or_b64 exec, exec, s[10:11]
	s_load_dword s22, s[0:1], 0x50
	v_lshl_or_b32 v6, s2, 3, v46
	v_mov_b32_e32 v7, 0
	v_cmp_gt_i64_e32 vcc, s[16:17], v[6:7]
	v_mov_b64_e32 v[4:5], 0
	s_and_saveexec_b64 s[2:3], vcc
	s_cbranch_execz .LBB68_6
; %bb.5:
	s_load_dwordx2 s[6:7], s[0:1], 0x60
	s_waitcnt lgkmcnt(0)
	v_lshl_add_u64 v[4:5], v[6:7], 3, s[6:7]
	global_load_dwordx2 v[4:5], v[4:5], off
	s_waitcnt vmcnt(0)
	v_subrev_co_u32_e32 v4, vcc, s22, v4
	s_nop 1
	v_subbrev_co_u32_e32 v5, vcc, 0, v5, vcc
.LBB68_6:
	s_or_b64 exec, exec, s[2:3]
	v_cmp_lt_i64_e64 s[2:3], s[18:19], 1
	s_and_b64 vcc, exec, s[2:3]
	s_cbranch_vccnz .LBB68_64
; %bb.7:
	s_mul_i32 s2, s20, s21
	s_mul_hi_u32 s3, s20, s20
	s_add_i32 s3, s3, s2
	s_load_dwordx2 s[16:17], s[0:1], 0x68
	s_add_i32 s46, s3, s2
	s_load_dwordx2 s[2:3], s[0:1], 0x58
	s_load_dwordx2 s[24:25], s[0:1], 0x48
	;; [unrolled: 1-line block ×3, first 2 shown]
	s_load_dword s6, s[0:1], 0x0
	v_mad_u64_u32 v[12:13], s[0:1], v10, s20, 0
	v_lshlrev_b32_e32 v1, 8, v46
	v_mov_b32_e32 v14, v13
	v_lshlrev_b32_e32 v8, 2, v10
	v_mov_b32_e32 v6, 0
	v_and_b32_e32 v0, 1, v0
	v_lshl_or_b32 v47, v10, 4, v1
	v_mad_u64_u32 v[10:11], s[0:1], v10, s21, v[14:15]
	v_mov_b32_e32 v9, v6
	v_mov_b32_e32 v13, v10
	v_or_b32_e32 v16, 2, v0
	s_waitcnt lgkmcnt(0)
	v_lshl_add_u64 v[8:9], s[2:3], 0, v[8:9]
	v_lshl_add_u64 v[10:11], v[12:13], 2, s[2:3]
	v_mad_u64_u32 v[14:15], s[2:3], v16, s20, 0
	v_mov_b32_e32 v17, v6
	v_mov_b32_e32 v18, v15
	v_cmp_gt_u64_e64 s[0:1], s[20:21], v[16:17]
	v_mad_u64_u32 v[16:17], s[2:3], v16, s21, v[18:19]
	v_or_b32_e32 v18, 4, v0
	s_cmp_lg_u32 s6, 0
	v_mov_b32_e32 v15, v16
	v_mad_u64_u32 v[16:17], s[6:7], v18, s20, 0
	v_mov_b32_e32 v19, v6
	v_mov_b32_e32 v20, v17
	v_cmp_gt_u64_e64 s[2:3], s[20:21], v[18:19]
	v_mad_u64_u32 v[18:19], s[6:7], v18, s21, v[20:21]
	v_or_b32_e32 v20, 6, v0
	v_mov_b32_e32 v17, v18
	v_mad_u64_u32 v[18:19], s[8:9], v20, s20, 0
	v_mov_b32_e32 v21, v6
	v_mov_b32_e32 v22, v19
	v_cmp_gt_u64_e64 s[6:7], s[20:21], v[20:21]
	v_mad_u64_u32 v[20:21], s[8:9], v20, s21, v[22:23]
	v_or_b32_e32 v22, 8, v0
	;; [unrolled: 7-line block ×4, first 2 shown]
	v_mov_b32_e32 v23, v24
	v_mad_u64_u32 v[24:25], s[14:15], v26, s20, 0
	v_mov_b32_e32 v27, v6
	v_mov_b32_e32 v28, v25
	v_mbcnt_lo_u32_b32 v7, -1, 0
	v_cmp_gt_u64_e64 s[12:13], s[20:21], v[26:27]
	v_mad_u64_u32 v[26:27], s[14:15], v26, s21, v[28:29]
	v_or_b32_e32 v28, 14, v0
	v_mbcnt_hi_u32_b32 v7, -1, v7
	v_mov_b32_e32 v25, v26
	v_mad_u64_u32 v[26:27], s[30:31], v28, s20, 0
	v_mov_b32_e32 v1, v6
	v_lshlrev_b32_e32 v7, 2, v7
	v_mov_b32_e32 v29, v6
	v_mov_b32_e32 v32, v27
	s_mov_b32 s48, 0
	v_or_b32_e32 v48, 4, v7
	v_or_b32_e32 v49, 0x7c, v7
	;; [unrolled: 1-line block ×3, first 2 shown]
	v_cmp_gt_u64_e32 vcc, s[20:21], v[0:1]
	v_cmp_gt_u64_e64 s[14:15], s[20:21], v[28:29]
	v_mad_u64_u32 v[28:29], s[30:31], v28, s21, v[32:33]
	s_mul_i32 s47, s20, s20
	s_mov_b32 s23, s48
	s_cselect_b64 s[28:29], -1, 0
	v_lshlrev_b32_e32 v50, 2, v7
	v_mul_lo_u32 v13, v0, s21
	v_mul_lo_u32 v12, v0, s20
	v_mov_b32_e32 v27, v28
	s_and_b64 s[30:31], s[4:5], vcc
	s_and_b64 s[34:35], s[4:5], s[0:1]
	s_and_b64 s[2:3], s[4:5], s[2:3]
	;; [unrolled: 1-line block ×7, first 2 shown]
	s_mov_b64 s[14:15], 0
	v_mov_b64_e32 v[32:33], 0
	v_mov_b32_e32 v51, 1
	s_branch .LBB68_11
.LBB68_8:                               ;   in Loop: Header=BB68_11 Depth=1
	v_mov_b64_e32 v[36:37], s[0:1]
.LBB68_9:                               ;   in Loop: Header=BB68_11 Depth=1
	s_or_b64 exec, exec, s[38:39]
.LBB68_10:                              ;   in Loop: Header=BB68_11 Depth=1
	s_or_b64 exec, exec, s[36:37]
	v_mov_b32_dpp v32, v28 row_shr:1 row_mask:0xf bank_mask:0xf
	v_mov_b32_dpp v33, v29 row_shr:1 row_mask:0xf bank_mask:0xf
	v_cmp_lt_i64_e32 vcc, v[32:33], v[28:29]
	v_lshl_add_u64 v[4:5], v[36:37], 0, v[4:5]
	s_waitcnt lgkmcnt(0)
	v_cndmask_b32_e32 v29, v29, v33, vcc
	v_cndmask_b32_e32 v28, v28, v32, vcc
	s_nop 0
	v_mov_b32_dpp v33, v29 row_shr:2 row_mask:0xf bank_mask:0xf
	v_mov_b32_dpp v32, v28 row_shr:2 row_mask:0xf bank_mask:0xf
	v_cmp_lt_i64_e32 vcc, v[32:33], v[28:29]
	s_nop 1
	v_cndmask_b32_e32 v29, v29, v33, vcc
	v_cndmask_b32_e32 v28, v28, v32, vcc
	s_nop 0
	v_mov_b32_dpp v33, v29 row_shr:4 row_mask:0xf bank_mask:0xe
	v_mov_b32_dpp v32, v28 row_shr:4 row_mask:0xf bank_mask:0xe
	v_cmp_lt_i64_e32 vcc, v[32:33], v[28:29]
	s_nop 1
	;; [unrolled: 7-line block ×3, first 2 shown]
	v_cndmask_b32_e32 v29, v29, v33, vcc
	v_cndmask_b32_e32 v28, v28, v32, vcc
	s_nop 0
	v_mov_b32_dpp v33, v29 row_bcast:15 row_mask:0xa bank_mask:0xf
	v_mov_b32_dpp v32, v28 row_bcast:15 row_mask:0xa bank_mask:0xf
	v_cmp_lt_i64_e32 vcc, v[32:33], v[28:29]
	s_nop 1
	v_cndmask_b32_e32 v7, v29, v33, vcc
	v_cndmask_b32_e32 v28, v28, v32, vcc
	ds_bpermute_b32 v32, v49, v28
	ds_bpermute_b32 v33, v49, v7
	s_waitcnt lgkmcnt(0)
	v_cmp_le_i64_e32 vcc, s[18:19], v[32:33]
	s_or_b64 s[14:15], vcc, s[14:15]
	s_andn2_b64 exec, exec, s[14:15]
	s_cbranch_execz .LBB68_64
.LBB68_11:                              ; =>This Loop Header: Depth=1
                                        ;     Child Loop BB68_14 Depth 2
	v_lshl_add_u64 v[30:31], v[30:31], 0, v[0:1]
	v_cmp_lt_i64_e32 vcc, v[30:31], v[2:3]
	v_mov_b64_e32 v[28:29], s[18:19]
	v_mov_b64_e32 v[44:45], v[2:3]
	ds_write_b8 v46, v6 offset:8192
	ds_write2_b32 v50, v6, v6 offset1:2
	ds_write2_b32 v50, v6, v6 offset0:4 offset1:6
	ds_write2_b32 v50, v6, v6 offset0:8 offset1:10
	;; [unrolled: 1-line block ×3, first 2 shown]
	s_waitcnt lgkmcnt(0)
	s_and_saveexec_b64 s[36:37], vcc
	s_cbranch_execz .LBB68_23
; %bb.12:                               ;   in Loop: Header=BB68_11 Depth=1
	v_mad_u64_u32 v[34:35], s[0:1], v32, s20, 0
	v_lshl_add_u64 v[36:37], v[30:31], 2, s[26:27]
	v_lshl_add_u64 v[38:39], v[30:31], 3, s[24:25]
	s_mov_b64 s[38:39], 0
	v_mov_b64_e32 v[28:29], s[18:19]
	v_mov_b64_e32 v[40:41], v[2:3]
	s_branch .LBB68_14
.LBB68_13:                              ;   in Loop: Header=BB68_14 Depth=2
	s_or_b64 exec, exec, s[0:1]
	v_lshl_add_u64 v[30:31], v[30:31], 0, 2
	v_cmp_ge_i64_e64 s[0:1], v[30:31], v[2:3]
	s_xor_b64 s[40:41], vcc, -1
	s_or_b64 s[0:1], s[40:41], s[0:1]
	s_and_b64 s[0:1], exec, s[0:1]
	v_lshl_add_u64 v[36:37], v[36:37], 0, 8
	v_lshl_add_u64 v[38:39], v[38:39], 0, 16
	s_or_b64 s[38:39], s[0:1], s[38:39]
	v_mov_b64_e32 v[40:41], v[44:45]
	s_andn2_b64 exec, exec, s[38:39]
	s_cbranch_execz .LBB68_22
.LBB68_14:                              ;   Parent Loop BB68_11 Depth=1
                                        ; =>  This Inner Loop Header: Depth=2
	global_load_dwordx2 v[42:43], v[38:39], off
	v_mov_b32_e32 v7, s48
                                        ; implicit-def: $vgpr44_vgpr45
	s_waitcnt vmcnt(0)
	v_subrev_co_u32_e32 v42, vcc, s33, v42
	s_nop 1
	v_subb_co_u32_e32 v43, vcc, v43, v7, vcc
	v_or_b32_e32 v7, s21, v43
	v_cmp_ne_u64_e32 vcc, 0, v[6:7]
	s_and_saveexec_b64 s[0:1], vcc
	s_xor_b64 s[40:41], exec, s[0:1]
	s_cbranch_execz .LBB68_16
; %bb.15:                               ;   in Loop: Header=BB68_14 Depth=2
	s_ashr_i32 s42, s21, 31
	s_add_u32 s0, s20, s42
	s_mov_b32 s43, s42
	s_addc_u32 s1, s21, s42
	s_xor_b64 s[44:45], s[0:1], s[42:43]
	v_cvt_f32_u32_e32 v7, s44
	v_cvt_f32_u32_e32 v35, s45
	s_sub_u32 s0, 0, s44
	s_subb_u32 s1, 0, s45
	v_mov_b32_e32 v53, v6
	v_fmac_f32_e32 v7, 0x4f800000, v35
	v_rcp_f32_e32 v7, v7
	s_nop 0
	v_mul_f32_e32 v7, 0x5f7ffffc, v7
	v_mul_f32_e32 v35, 0x2f800000, v7
	v_trunc_f32_e32 v35, v35
	v_fmac_f32_e32 v7, 0xcf800000, v35
	v_cvt_u32_f32_e32 v35, v35
	v_cvt_u32_f32_e32 v7, v7
	v_mul_lo_u32 v44, s0, v35
	v_mul_hi_u32 v52, s0, v7
	v_mul_lo_u32 v45, s1, v7
	v_add_u32_e32 v44, v52, v44
	v_mul_lo_u32 v54, s0, v7
	v_add_u32_e32 v55, v44, v45
	v_mul_hi_u32 v45, v7, v55
	v_mul_lo_u32 v44, v7, v55
	v_mul_hi_u32 v52, v7, v54
	v_lshl_add_u64 v[44:45], v[52:53], 0, v[44:45]
	v_mul_hi_u32 v53, v35, v54
	v_mul_lo_u32 v54, v35, v54
	v_add_co_u32_e32 v44, vcc, v44, v54
	v_mul_hi_u32 v52, v35, v55
	s_nop 0
	v_addc_co_u32_e32 v44, vcc, v45, v53, vcc
	v_mov_b32_e32 v45, v6
	s_nop 0
	v_addc_co_u32_e32 v53, vcc, 0, v52, vcc
	v_mul_lo_u32 v52, v35, v55
	v_lshl_add_u64 v[44:45], v[44:45], 0, v[52:53]
	v_add_co_u32_e32 v7, vcc, v7, v44
	v_mul_lo_u32 v52, s0, v7
	s_nop 0
	v_addc_co_u32_e32 v35, vcc, v35, v45, vcc
	v_mul_lo_u32 v44, s0, v35
	v_mul_hi_u32 v45, s0, v7
	v_add_u32_e32 v44, v45, v44
	v_mul_lo_u32 v45, s1, v7
	v_add_u32_e32 v54, v44, v45
	v_mul_hi_u32 v56, v35, v52
	v_mul_lo_u32 v57, v35, v52
	v_mul_hi_u32 v45, v7, v54
	v_mul_lo_u32 v44, v7, v54
	v_mul_hi_u32 v52, v7, v52
	v_mov_b32_e32 v53, v6
	v_lshl_add_u64 v[44:45], v[52:53], 0, v[44:45]
	v_add_co_u32_e32 v44, vcc, v44, v57
	v_mul_hi_u32 v55, v35, v54
	s_nop 0
	v_addc_co_u32_e32 v44, vcc, v45, v56, vcc
	v_mul_lo_u32 v52, v35, v54
	s_nop 0
	v_addc_co_u32_e32 v53, vcc, 0, v55, vcc
	v_mov_b32_e32 v45, v6
	v_lshl_add_u64 v[44:45], v[44:45], 0, v[52:53]
	v_add_co_u32_e32 v7, vcc, v7, v44
	v_ashrrev_i32_e32 v44, 31, v43
	s_nop 0
	v_addc_co_u32_e32 v35, vcc, v35, v45, vcc
	v_mov_b32_e32 v45, v44
	v_lshl_add_u64 v[52:53], v[42:43], 0, v[44:45]
	v_xor_b32_e32 v45, v52, v44
	v_xor_b32_e32 v43, v53, v44
	v_mad_u64_u32 v[52:53], s[0:1], v45, v35, 0
	v_mul_hi_u32 v54, v45, v7
	v_mov_b32_e32 v55, v6
	v_lshl_add_u64 v[52:53], v[54:55], 0, v[52:53]
	v_mad_u64_u32 v[56:57], s[0:1], v43, v7, 0
	v_add_co_u32_e32 v7, vcc, v52, v56
	v_mad_u64_u32 v[54:55], s[0:1], v43, v35, 0
	s_nop 0
	v_addc_co_u32_e32 v52, vcc, v53, v57, vcc
	v_mov_b32_e32 v53, v6
	s_nop 0
	v_addc_co_u32_e32 v55, vcc, 0, v55, vcc
	v_lshl_add_u64 v[52:53], v[52:53], 0, v[54:55]
	v_mul_lo_u32 v7, s45, v52
	v_mul_lo_u32 v35, s44, v53
	v_mad_u64_u32 v[54:55], s[0:1], s44, v52, 0
	v_add3_u32 v7, v55, v35, v7
	v_sub_u32_e32 v35, v43, v7
	v_mov_b32_e32 v55, s45
	v_sub_co_u32_e32 v45, vcc, v45, v54
	v_lshl_add_u64 v[56:57], v[52:53], 0, 1
	s_nop 0
	v_subb_co_u32_e64 v35, s[0:1], v35, v55, vcc
	v_subrev_co_u32_e64 v54, s[0:1], s44, v45
	v_subb_co_u32_e32 v7, vcc, v43, v7, vcc
	s_nop 0
	v_subbrev_co_u32_e64 v35, s[0:1], 0, v35, s[0:1]
	v_cmp_le_u32_e64 s[0:1], s45, v35
	v_cmp_le_u32_e32 vcc, s45, v7
	s_nop 0
	v_cndmask_b32_e64 v55, 0, -1, s[0:1]
	v_cmp_le_u32_e64 s[0:1], s44, v54
	v_cndmask_b32_e64 v43, 0, -1, vcc
	v_cmp_le_u32_e32 vcc, s44, v45
	v_cndmask_b32_e64 v54, 0, -1, s[0:1]
	v_cmp_eq_u32_e64 s[0:1], s45, v35
	v_cndmask_b32_e64 v45, 0, -1, vcc
	v_cmp_eq_u32_e32 vcc, s45, v7
	v_cndmask_b32_e64 v35, v55, v54, s[0:1]
	v_lshl_add_u64 v[54:55], v[52:53], 0, 2
	v_cmp_ne_u32_e64 s[0:1], 0, v35
	v_cndmask_b32_e32 v7, v43, v45, vcc
	v_cmp_ne_u32_e32 vcc, 0, v7
	v_cndmask_b32_e64 v35, v57, v55, s[0:1]
	v_xor_b32_e32 v43, s42, v44
	v_cndmask_b32_e32 v7, v53, v35, vcc
	v_cndmask_b32_e64 v35, v56, v54, s[0:1]
	v_cndmask_b32_e32 v35, v52, v35, vcc
	v_xor_b32_e32 v35, v35, v43
	v_xor_b32_e32 v7, v7, v43
	v_sub_co_u32_e32 v44, vcc, v35, v43
	s_nop 1
	v_subb_co_u32_e32 v45, vcc, v7, v43, vcc
.LBB68_16:                              ;   in Loop: Header=BB68_14 Depth=2
	s_andn2_saveexec_b64 s[0:1], s[40:41]
	s_cbranch_execz .LBB68_18
; %bb.17:                               ;   in Loop: Header=BB68_14 Depth=2
	v_cvt_f32_u32_e32 v7, s20
	s_sub_i32 s40, 0, s20
	v_mov_b32_e32 v45, v6
	v_rcp_iflag_f32_e32 v7, v7
	s_nop 0
	v_mul_f32_e32 v7, 0x4f7ffffe, v7
	v_cvt_u32_f32_e32 v7, v7
	v_mul_lo_u32 v35, s40, v7
	v_mul_hi_u32 v35, v7, v35
	v_add_u32_e32 v7, v7, v35
	v_mul_hi_u32 v7, v42, v7
	v_mul_lo_u32 v35, v7, s20
	v_sub_u32_e32 v35, v42, v35
	v_add_u32_e32 v43, 1, v7
	v_subrev_u32_e32 v44, s20, v35
	v_cmp_le_u32_e32 vcc, s20, v35
	s_nop 1
	v_cndmask_b32_e32 v35, v35, v44, vcc
	v_cndmask_b32_e32 v7, v7, v43, vcc
	v_add_u32_e32 v43, 1, v7
	v_cmp_le_u32_e32 vcc, s20, v35
	s_nop 1
	v_cndmask_b32_e32 v44, v7, v43, vcc
.LBB68_18:                              ;   in Loop: Header=BB68_14 Depth=2
	s_or_b64 exec, exec, s[0:1]
	v_cmp_eq_u64_e32 vcc, v[44:45], v[32:33]
	v_cmp_ne_u64_e64 s[0:1], v[44:45], v[32:33]
	s_and_saveexec_b64 s[40:41], s[0:1]
	s_xor_b64 s[40:41], exec, s[40:41]
; %bb.19:                               ;   in Loop: Header=BB68_14 Depth=2
	v_cmp_lt_i64_e64 s[0:1], v[44:45], v[28:29]
                                        ; implicit-def: $vgpr42_vgpr43
                                        ; implicit-def: $vgpr40_vgpr41
	s_nop 1
	v_cndmask_b32_e64 v29, v29, v45, s[0:1]
	v_cndmask_b32_e64 v28, v28, v44, s[0:1]
; %bb.20:                               ;   in Loop: Header=BB68_14 Depth=2
	s_or_saveexec_b64 s[0:1], s[40:41]
	v_mov_b64_e32 v[44:45], v[30:31]
	s_xor_b64 exec, exec, s[0:1]
	s_cbranch_execz .LBB68_13
; %bb.21:                               ;   in Loop: Header=BB68_14 Depth=2
	global_load_dword v7, v[36:37], off
	v_sub_u32_e32 v35, v42, v34
	v_add_lshl_u32 v35, v47, v35, 2
	v_mov_b64_e32 v[44:45], v[40:41]
	ds_write_b8 v46, v51 offset:8192
	s_waitcnt vmcnt(0)
	ds_write_b32 v35, v7
	s_branch .LBB68_13
.LBB68_22:                              ;   in Loop: Header=BB68_11 Depth=1
	s_or_b64 exec, exec, s[38:39]
.LBB68_23:                              ;   in Loop: Header=BB68_11 Depth=1
	s_or_b64 exec, exec, s[36:37]
	v_mov_b32_dpp v30, v44 row_shr:1 row_mask:0xf bank_mask:0xf
	v_mov_b32_dpp v31, v45 row_shr:1 row_mask:0xf bank_mask:0xf
	s_waitcnt lgkmcnt(0)
	v_cmp_lt_i64_e32 vcc, v[30:31], v[44:45]
	ds_read_u8 v34, v46 offset:8192
	v_mov_b64_e32 v[36:37], 0
	v_cndmask_b32_e32 v7, v45, v31, vcc
	v_cndmask_b32_e32 v30, v44, v30, vcc
	ds_bpermute_b32 v30, v48, v30
	ds_bpermute_b32 v31, v48, v7
	s_waitcnt lgkmcnt(2)
	v_and_b32_e32 v7, 1, v34
	v_cmp_eq_u32_e32 vcc, 1, v7
	s_and_saveexec_b64 s[36:37], vcc
	s_cbranch_execz .LBB68_10
; %bb.24:                               ;   in Loop: Header=BB68_11 Depth=1
	v_lshl_add_u64 v[32:33], v[32:33], 0, s[22:23]
	v_lshl_add_u64 v[34:35], v[4:5], 3, s[16:17]
	global_store_dwordx2 v[34:35], v[32:33], off
	v_mul_lo_u32 v7, s46, v4
	v_mul_lo_u32 v34, s47, v5
	v_mad_u64_u32 v[32:33], s[0:1], s47, v4, 0
	v_add3_u32 v33, v33, v34, v7
	v_lshlrev_b64 v[32:33], 2, v[32:33]
	v_lshl_add_u64 v[34:35], v[8:9], 0, v[32:33]
	v_lshl_add_u64 v[32:33], v[10:11], 0, v[32:33]
	s_and_saveexec_b64 s[0:1], s[30:31]
	s_cbranch_execz .LBB68_28
; %bb.25:                               ;   in Loop: Header=BB68_11 Depth=1
	s_and_b64 vcc, exec, s[28:29]
	s_cbranch_vccz .LBB68_55
; %bb.26:                               ;   in Loop: Header=BB68_11 Depth=1
	ds_read_b32 v7, v50
	v_lshl_add_u64 v[36:37], v[12:13], 2, v[34:35]
	s_waitcnt lgkmcnt(0)
	global_store_dword v[36:37], v7, off
	s_cbranch_execnz .LBB68_28
.LBB68_27:                              ;   in Loop: Header=BB68_11 Depth=1
	ds_read_b32 v7, v50
	v_lshlrev_b32_e32 v36, 2, v0
	v_mov_b32_e32 v37, v6
	v_lshl_add_u64 v[36:37], v[32:33], 0, v[36:37]
	s_waitcnt lgkmcnt(0)
	global_store_dword v[36:37], v7, off
.LBB68_28:                              ;   in Loop: Header=BB68_11 Depth=1
	s_or_b64 exec, exec, s[0:1]
	v_cndmask_b32_e64 v7, 0, 1, s[28:29]
	v_cmp_ne_u32_e64 s[0:1], 1, v7
	s_and_saveexec_b64 s[38:39], s[34:35]
	s_cbranch_execz .LBB68_32
; %bb.29:                               ;   in Loop: Header=BB68_11 Depth=1
	s_and_b64 vcc, exec, s[0:1]
	s_cbranch_vccnz .LBB68_56
; %bb.30:                               ;   in Loop: Header=BB68_11 Depth=1
	ds_read_b32 v7, v50 offset:8
	v_lshl_add_u64 v[36:37], v[14:15], 2, v[34:35]
	s_waitcnt lgkmcnt(0)
	global_store_dword v[36:37], v7, off
	s_cbranch_execnz .LBB68_32
.LBB68_31:                              ;   in Loop: Header=BB68_11 Depth=1
	ds_read_b32 v7, v50 offset:8
	v_lshlrev_b32_e32 v36, 2, v0
	v_mov_b32_e32 v37, v6
	v_lshl_add_u64 v[36:37], v[32:33], 0, v[36:37]
	s_waitcnt lgkmcnt(0)
	global_store_dword v[36:37], v7, off offset:8
.LBB68_32:                              ;   in Loop: Header=BB68_11 Depth=1
	s_or_b64 exec, exec, s[38:39]
	s_and_saveexec_b64 s[38:39], s[2:3]
	s_cbranch_execz .LBB68_36
; %bb.33:                               ;   in Loop: Header=BB68_11 Depth=1
	s_and_b64 vcc, exec, s[0:1]
	s_cbranch_vccnz .LBB68_57
; %bb.34:                               ;   in Loop: Header=BB68_11 Depth=1
	ds_read_b32 v7, v50 offset:16
	v_lshl_add_u64 v[36:37], v[16:17], 2, v[34:35]
	s_waitcnt lgkmcnt(0)
	global_store_dword v[36:37], v7, off
	s_cbranch_execnz .LBB68_36
.LBB68_35:                              ;   in Loop: Header=BB68_11 Depth=1
	ds_read_b32 v7, v50 offset:16
	v_lshlrev_b32_e32 v36, 2, v0
	v_mov_b32_e32 v37, v6
	v_lshl_add_u64 v[36:37], v[32:33], 0, v[36:37]
	s_waitcnt lgkmcnt(0)
	global_store_dword v[36:37], v7, off offset:16
.LBB68_36:                              ;   in Loop: Header=BB68_11 Depth=1
	s_or_b64 exec, exec, s[38:39]
	s_and_saveexec_b64 s[38:39], s[6:7]
	s_cbranch_execz .LBB68_40
; %bb.37:                               ;   in Loop: Header=BB68_11 Depth=1
	s_and_b64 vcc, exec, s[0:1]
	s_cbranch_vccnz .LBB68_58
; %bb.38:                               ;   in Loop: Header=BB68_11 Depth=1
	ds_read_b32 v7, v50 offset:24
	v_lshl_add_u64 v[36:37], v[18:19], 2, v[34:35]
	s_waitcnt lgkmcnt(0)
	global_store_dword v[36:37], v7, off
	s_cbranch_execnz .LBB68_40
.LBB68_39:                              ;   in Loop: Header=BB68_11 Depth=1
	ds_read_b32 v7, v50 offset:24
	v_lshlrev_b32_e32 v36, 2, v0
	v_mov_b32_e32 v37, v6
	v_lshl_add_u64 v[36:37], v[32:33], 0, v[36:37]
	s_waitcnt lgkmcnt(0)
	global_store_dword v[36:37], v7, off offset:24
.LBB68_40:                              ;   in Loop: Header=BB68_11 Depth=1
	s_or_b64 exec, exec, s[38:39]
	s_and_saveexec_b64 s[38:39], s[8:9]
	s_cbranch_execz .LBB68_44
; %bb.41:                               ;   in Loop: Header=BB68_11 Depth=1
	s_and_b64 vcc, exec, s[0:1]
	s_cbranch_vccnz .LBB68_59
; %bb.42:                               ;   in Loop: Header=BB68_11 Depth=1
	ds_read_b32 v7, v50 offset:32
	v_lshl_add_u64 v[36:37], v[20:21], 2, v[34:35]
	s_waitcnt lgkmcnt(0)
	global_store_dword v[36:37], v7, off
	s_cbranch_execnz .LBB68_44
.LBB68_43:                              ;   in Loop: Header=BB68_11 Depth=1
	ds_read_b32 v7, v50 offset:32
	v_lshlrev_b32_e32 v36, 2, v0
	v_mov_b32_e32 v37, v6
	v_lshl_add_u64 v[36:37], v[32:33], 0, v[36:37]
	s_waitcnt lgkmcnt(0)
	global_store_dword v[36:37], v7, off offset:32
.LBB68_44:                              ;   in Loop: Header=BB68_11 Depth=1
	s_or_b64 exec, exec, s[38:39]
	s_and_saveexec_b64 s[38:39], s[10:11]
	s_cbranch_execz .LBB68_48
; %bb.45:                               ;   in Loop: Header=BB68_11 Depth=1
	s_and_b64 vcc, exec, s[0:1]
	s_cbranch_vccnz .LBB68_60
; %bb.46:                               ;   in Loop: Header=BB68_11 Depth=1
	ds_read_b32 v7, v50 offset:40
	v_lshl_add_u64 v[36:37], v[22:23], 2, v[34:35]
	s_waitcnt lgkmcnt(0)
	global_store_dword v[36:37], v7, off
	s_cbranch_execnz .LBB68_48
.LBB68_47:                              ;   in Loop: Header=BB68_11 Depth=1
	ds_read_b32 v7, v50 offset:40
	v_lshlrev_b32_e32 v36, 2, v0
	v_mov_b32_e32 v37, v6
	v_lshl_add_u64 v[36:37], v[32:33], 0, v[36:37]
	s_waitcnt lgkmcnt(0)
	global_store_dword v[36:37], v7, off offset:40
.LBB68_48:                              ;   in Loop: Header=BB68_11 Depth=1
	s_or_b64 exec, exec, s[38:39]
	s_and_saveexec_b64 s[38:39], s[12:13]
	s_cbranch_execz .LBB68_52
; %bb.49:                               ;   in Loop: Header=BB68_11 Depth=1
	s_and_b64 vcc, exec, s[0:1]
	s_cbranch_vccnz .LBB68_61
; %bb.50:                               ;   in Loop: Header=BB68_11 Depth=1
	ds_read_b32 v7, v50 offset:48
	v_lshl_add_u64 v[36:37], v[24:25], 2, v[34:35]
	s_waitcnt lgkmcnt(0)
	global_store_dword v[36:37], v7, off
	s_cbranch_execnz .LBB68_52
.LBB68_51:                              ;   in Loop: Header=BB68_11 Depth=1
	ds_read_b32 v7, v50 offset:48
	v_lshlrev_b32_e32 v36, 2, v0
	v_mov_b32_e32 v37, v6
	v_lshl_add_u64 v[36:37], v[32:33], 0, v[36:37]
	s_waitcnt lgkmcnt(0)
	global_store_dword v[36:37], v7, off offset:48
.LBB68_52:                              ;   in Loop: Header=BB68_11 Depth=1
	s_or_b64 exec, exec, s[38:39]
	v_mov_b64_e32 v[36:37], 1
	s_and_saveexec_b64 s[38:39], s[4:5]
	s_cbranch_execz .LBB68_9
; %bb.53:                               ;   in Loop: Header=BB68_11 Depth=1
	s_and_b64 vcc, exec, s[0:1]
	s_cbranch_vccnz .LBB68_62
; %bb.54:                               ;   in Loop: Header=BB68_11 Depth=1
	ds_read_b32 v7, v50 offset:56
	v_lshl_add_u64 v[34:35], v[26:27], 2, v[34:35]
	s_mov_b64 s[0:1], 1
	s_waitcnt lgkmcnt(0)
	global_store_dword v[34:35], v7, off
	s_cbranch_execnz .LBB68_8
	s_branch .LBB68_63
.LBB68_55:                              ;   in Loop: Header=BB68_11 Depth=1
	s_branch .LBB68_27
.LBB68_56:                              ;   in Loop: Header=BB68_11 Depth=1
	s_branch .LBB68_31
.LBB68_57:                              ;   in Loop: Header=BB68_11 Depth=1
	s_branch .LBB68_35
.LBB68_58:                              ;   in Loop: Header=BB68_11 Depth=1
	s_branch .LBB68_39
.LBB68_59:                              ;   in Loop: Header=BB68_11 Depth=1
	s_branch .LBB68_43
.LBB68_60:                              ;   in Loop: Header=BB68_11 Depth=1
	s_branch .LBB68_47
.LBB68_61:                              ;   in Loop: Header=BB68_11 Depth=1
	s_branch .LBB68_51
.LBB68_62:                              ;   in Loop: Header=BB68_11 Depth=1
                                        ; implicit-def: $sgpr0_sgpr1
.LBB68_63:                              ;   in Loop: Header=BB68_11 Depth=1
	ds_read_b32 v7, v50 offset:56
	v_lshlrev_b32_e32 v34, 2, v0
	v_mov_b32_e32 v35, v6
	v_lshl_add_u64 v[32:33], v[32:33], 0, v[34:35]
	s_mov_b64 s[0:1], 1
	s_waitcnt lgkmcnt(0)
	global_store_dword v[32:33], v7, off offset:56
	s_branch .LBB68_8
.LBB68_64:
	s_endpgm
	.section	.rodata,"a",@progbits
	.p2align	6, 0x0
	.amdhsa_kernel _ZN9rocsparseL42csr2bsr_wavefront_per_row_multipass_kernelILj256ELj32ELj16EfllEEv20rocsparse_direction_T4_S2_S2_S2_S2_21rocsparse_index_base_PKT2_PKT3_PKS2_S3_PS4_PS7_PS2_
		.amdhsa_group_segment_fixed_size 8200
		.amdhsa_private_segment_fixed_size 0
		.amdhsa_kernarg_size 112
		.amdhsa_user_sgpr_count 2
		.amdhsa_user_sgpr_dispatch_ptr 0
		.amdhsa_user_sgpr_queue_ptr 0
		.amdhsa_user_sgpr_kernarg_segment_ptr 1
		.amdhsa_user_sgpr_dispatch_id 0
		.amdhsa_user_sgpr_kernarg_preload_length 0
		.amdhsa_user_sgpr_kernarg_preload_offset 0
		.amdhsa_user_sgpr_private_segment_size 0
		.amdhsa_uses_dynamic_stack 0
		.amdhsa_enable_private_segment 0
		.amdhsa_system_sgpr_workgroup_id_x 1
		.amdhsa_system_sgpr_workgroup_id_y 0
		.amdhsa_system_sgpr_workgroup_id_z 0
		.amdhsa_system_sgpr_workgroup_info 0
		.amdhsa_system_vgpr_workitem_id 0
		.amdhsa_next_free_vgpr 58
		.amdhsa_next_free_sgpr 49
		.amdhsa_accum_offset 60
		.amdhsa_reserve_vcc 1
		.amdhsa_float_round_mode_32 0
		.amdhsa_float_round_mode_16_64 0
		.amdhsa_float_denorm_mode_32 3
		.amdhsa_float_denorm_mode_16_64 3
		.amdhsa_dx10_clamp 1
		.amdhsa_ieee_mode 1
		.amdhsa_fp16_overflow 0
		.amdhsa_tg_split 0
		.amdhsa_exception_fp_ieee_invalid_op 0
		.amdhsa_exception_fp_denorm_src 0
		.amdhsa_exception_fp_ieee_div_zero 0
		.amdhsa_exception_fp_ieee_overflow 0
		.amdhsa_exception_fp_ieee_underflow 0
		.amdhsa_exception_fp_ieee_inexact 0
		.amdhsa_exception_int_div_zero 0
	.end_amdhsa_kernel
	.section	.text._ZN9rocsparseL42csr2bsr_wavefront_per_row_multipass_kernelILj256ELj32ELj16EfllEEv20rocsparse_direction_T4_S2_S2_S2_S2_21rocsparse_index_base_PKT2_PKT3_PKS2_S3_PS4_PS7_PS2_,"axG",@progbits,_ZN9rocsparseL42csr2bsr_wavefront_per_row_multipass_kernelILj256ELj32ELj16EfllEEv20rocsparse_direction_T4_S2_S2_S2_S2_21rocsparse_index_base_PKT2_PKT3_PKS2_S3_PS4_PS7_PS2_,comdat
.Lfunc_end68:
	.size	_ZN9rocsparseL42csr2bsr_wavefront_per_row_multipass_kernelILj256ELj32ELj16EfllEEv20rocsparse_direction_T4_S2_S2_S2_S2_21rocsparse_index_base_PKT2_PKT3_PKS2_S3_PS4_PS7_PS2_, .Lfunc_end68-_ZN9rocsparseL42csr2bsr_wavefront_per_row_multipass_kernelILj256ELj32ELj16EfllEEv20rocsparse_direction_T4_S2_S2_S2_S2_21rocsparse_index_base_PKT2_PKT3_PKS2_S3_PS4_PS7_PS2_
                                        ; -- End function
	.section	.AMDGPU.csdata,"",@progbits
; Kernel info:
; codeLenInByte = 3212
; NumSgprs: 55
; NumVgprs: 58
; NumAgprs: 0
; TotalNumVgprs: 58
; ScratchSize: 0
; MemoryBound: 0
; FloatMode: 240
; IeeeMode: 1
; LDSByteSize: 8200 bytes/workgroup (compile time only)
; SGPRBlocks: 6
; VGPRBlocks: 7
; NumSGPRsForWavesPerEU: 55
; NumVGPRsForWavesPerEU: 58
; AccumOffset: 60
; Occupancy: 7
; WaveLimiterHint : 0
; COMPUTE_PGM_RSRC2:SCRATCH_EN: 0
; COMPUTE_PGM_RSRC2:USER_SGPR: 2
; COMPUTE_PGM_RSRC2:TRAP_HANDLER: 0
; COMPUTE_PGM_RSRC2:TGID_X_EN: 1
; COMPUTE_PGM_RSRC2:TGID_Y_EN: 0
; COMPUTE_PGM_RSRC2:TGID_Z_EN: 0
; COMPUTE_PGM_RSRC2:TIDIG_COMP_CNT: 0
; COMPUTE_PGM_RSRC3_GFX90A:ACCUM_OFFSET: 14
; COMPUTE_PGM_RSRC3_GFX90A:TG_SPLIT: 0
	.section	.text._ZN9rocsparseL38csr2bsr_block_per_row_multipass_kernelILj256ELj32EfllEEv20rocsparse_direction_T3_S2_S2_S2_S2_21rocsparse_index_base_PKT1_PKT2_PKS2_S3_PS4_PS7_PS2_,"axG",@progbits,_ZN9rocsparseL38csr2bsr_block_per_row_multipass_kernelILj256ELj32EfllEEv20rocsparse_direction_T3_S2_S2_S2_S2_21rocsparse_index_base_PKT1_PKT2_PKS2_S3_PS4_PS7_PS2_,comdat
	.globl	_ZN9rocsparseL38csr2bsr_block_per_row_multipass_kernelILj256ELj32EfllEEv20rocsparse_direction_T3_S2_S2_S2_S2_21rocsparse_index_base_PKT1_PKT2_PKS2_S3_PS4_PS7_PS2_ ; -- Begin function _ZN9rocsparseL38csr2bsr_block_per_row_multipass_kernelILj256ELj32EfllEEv20rocsparse_direction_T3_S2_S2_S2_S2_21rocsparse_index_base_PKT1_PKT2_PKS2_S3_PS4_PS7_PS2_
	.p2align	8
	.type	_ZN9rocsparseL38csr2bsr_block_per_row_multipass_kernelILj256ELj32EfllEEv20rocsparse_direction_T3_S2_S2_S2_S2_21rocsparse_index_base_PKT1_PKT2_PKS2_S3_PS4_PS7_PS2_,@function
_ZN9rocsparseL38csr2bsr_block_per_row_multipass_kernelILj256ELj32EfllEEv20rocsparse_direction_T3_S2_S2_S2_S2_21rocsparse_index_base_PKT1_PKT2_PKS2_S3_PS4_PS7_PS2_: ; @_ZN9rocsparseL38csr2bsr_block_per_row_multipass_kernelILj256ELj32EfllEEv20rocsparse_direction_T3_S2_S2_S2_S2_21rocsparse_index_base_PKT1_PKT2_PKS2_S3_PS4_PS7_PS2_
; %bb.0:
	s_load_dwordx2 s[6:7], s[0:1], 0x8
	s_load_dwordx4 s[20:23], s[0:1], 0x20
	s_load_dword s33, s[0:1], 0x30
	s_load_dwordx2 s[4:5], s[0:1], 0x40
	s_ashr_i32 s3, s2, 31
	v_lshrrev_b32_e32 v10, 3, v0
	v_mov_b32_e32 v11, 0
	s_waitcnt lgkmcnt(0)
	s_mul_i32 s8, s2, s23
	s_mul_i32 s9, s3, s22
	v_mov_b32_e32 v1, s22
	s_add_i32 s10, s8, s9
	v_mad_u64_u32 v[4:5], s[8:9], s2, v1, v[10:11]
	v_add_u32_e32 v5, s10, v5
	v_cmp_gt_i64_e32 vcc, s[6:7], v[4:5]
	v_cmp_gt_i64_e64 s[18:19], s[22:23], v[10:11]
	v_mov_b64_e32 v[2:3], 0
	s_and_b64 s[6:7], s[18:19], vcc
	v_mov_b64_e32 v[18:19], v[2:3]
	s_and_saveexec_b64 s[8:9], s[6:7]
	s_cbranch_execnz .LBB69_3
; %bb.1:
	s_or_b64 exec, exec, s[8:9]
	s_and_saveexec_b64 s[8:9], s[6:7]
	s_cbranch_execnz .LBB69_4
.LBB69_2:
	s_or_b64 exec, exec, s[8:9]
	v_cmp_lt_i64_e64 s[4:5], s[20:21], 1
	s_and_b64 vcc, exec, s[4:5]
	s_cbranch_vccz .LBB69_5
	s_branch .LBB69_45
.LBB69_3:
	v_lshl_add_u64 v[6:7], v[4:5], 3, s[4:5]
	global_load_dwordx2 v[6:7], v[6:7], off
	s_waitcnt vmcnt(0)
	v_subrev_co_u32_e32 v18, vcc, s33, v6
	s_nop 1
	v_subbrev_co_u32_e32 v19, vcc, 0, v7, vcc
	s_or_b64 exec, exec, s[8:9]
	s_and_saveexec_b64 s[8:9], s[6:7]
	s_cbranch_execz .LBB69_2
.LBB69_4:
	v_lshl_add_u64 v[2:3], v[4:5], 3, s[4:5]
	global_load_dwordx2 v[2:3], v[2:3], off offset:8
	s_waitcnt vmcnt(0)
	v_subrev_co_u32_e32 v2, vcc, s33, v2
	s_nop 1
	v_subbrev_co_u32_e32 v3, vcc, 0, v3, vcc
	s_or_b64 exec, exec, s[8:9]
	v_cmp_lt_i64_e64 s[4:5], s[20:21], 1
	s_and_b64 vcc, exec, s[4:5]
	s_cbranch_vccnz .LBB69_45
.LBB69_5:
	s_load_dwordx2 s[24:25], s[0:1], 0x68
	s_load_dwordx4 s[4:7], s[0:1], 0x58
	s_load_dword s56, s[0:1], 0x50
	s_mul_i32 s8, s22, s23
	s_mul_hi_u32 s9, s22, s22
	s_add_i32 s9, s9, s8
	s_add_i32 s58, s9, s8
	s_lshl_b64 s[2:3], s[2:3], 3
	s_waitcnt lgkmcnt(0)
	s_add_u32 s2, s6, s2
	s_addc_u32 s3, s7, s3
	s_load_dwordx2 s[6:7], s[2:3], 0x0
	s_load_dwordx2 s[26:27], s[0:1], 0x48
	;; [unrolled: 1-line block ×3, first 2 shown]
	s_load_dword s8, s[0:1], 0x0
	v_mad_u64_u32 v[12:13], s[2:3], v10, s22, 0
	v_mov_b32_e32 v14, v13
	v_lshlrev_b32_e32 v6, 2, v10
	v_mov_b32_e32 v4, 0
	s_waitcnt lgkmcnt(0)
	s_sub_u32 s30, s6, s56
	v_lshlrev_b32_e32 v32, 5, v10
	v_mad_u64_u32 v[10:11], s[2:3], v10, s23, v[14:15]
	v_mov_b32_e32 v7, v4
	v_and_b32_e32 v8, 7, v0
	s_subb_u32 s31, s7, 0
	v_mbcnt_lo_u32_b32 v1, -1, 0
	v_mov_b32_e32 v13, v10
	s_movk_i32 s2, 0x80
	v_lshl_add_u64 v[6:7], s[4:5], 0, v[6:7]
	v_mbcnt_hi_u32_b32 v1, -1, v1
	s_cmp_eq_u32 s8, 0
	v_lshl_add_u64 v[10:11], v[12:13], 2, s[4:5]
	v_lshlrev_b32_e32 v34, 3, v0
	v_cmp_gt_u32_e64 s[2:3], s2, v0
	v_cmp_gt_u32_e64 s[4:5], 64, v0
	v_cmp_gt_u32_e64 s[6:7], 32, v0
	v_cmp_gt_u32_e64 s[8:9], 16, v0
	v_cmp_gt_u32_e64 s[10:11], 8, v0
	v_cmp_gt_u32_e64 s[12:13], 4, v0
	v_cmp_gt_u32_e64 s[14:15], 2, v0
	v_cmp_eq_u32_e64 s[16:17], 0, v0
	v_or_b32_e32 v0, v32, v8
	v_lshl_or_b32 v33, v1, 2, 28
	v_lshlrev_b32_e32 v12, 2, v8
	v_mov_b32_e32 v13, v4
	v_lshlrev_b32_e32 v35, 2, v0
	v_mad_u64_u32 v[0:1], s[36:37], v8, s22, 0
	v_lshl_add_u64 v[10:11], v[10:11], 0, v[12:13]
	v_mov_b32_e32 v12, v1
	v_mad_u64_u32 v[12:13], s[36:37], v8, s23, v[12:13]
	v_or_b32_e32 v14, 8, v8
	v_mov_b32_e32 v9, v4
	v_mov_b32_e32 v1, v12
	v_mad_u64_u32 v[12:13], s[38:39], v14, s22, 0
	v_cmp_gt_i64_e32 vcc, s[22:23], v[8:9]
	v_mov_b32_e32 v15, v4
	v_mov_b32_e32 v16, v13
	s_cselect_b64 s[0:1], -1, 0
	s_and_b64 s[34:35], s[18:19], vcc
	v_cmp_gt_i64_e32 vcc, s[22:23], v[14:15]
	v_mad_u64_u32 v[14:15], s[38:39], v14, s23, v[16:17]
	v_or_b32_e32 v16, 16, v8
	v_mov_b32_e32 v13, v14
	v_mad_u64_u32 v[14:15], s[40:41], v16, s22, 0
	v_mov_b32_e32 v17, v4
	v_mov_b32_e32 v20, v15
	s_and_b64 s[36:37], s[18:19], vcc
	v_cmp_gt_i64_e32 vcc, s[22:23], v[16:17]
	v_mad_u64_u32 v[16:17], s[40:41], v16, s23, v[20:21]
	v_or_b32_e32 v20, 24, v8
	v_mov_b32_e32 v21, v4
	s_and_b64 s[38:39], s[18:19], vcc
	v_cmp_gt_i64_e32 vcc, s[22:23], v[20:21]
	v_mov_b32_e32 v15, v16
	s_and_b64 s[40:41], s[18:19], vcc
	v_mad_u64_u32 v[16:17], s[18:19], v20, s22, 0
	v_mov_b32_e32 v22, v17
	v_mad_u64_u32 v[20:21], s[18:19], v20, s23, v[22:23]
	s_mov_b32 s57, 0
	s_mul_i32 s59, s22, s22
	v_mov_b32_e32 v17, v20
	s_mov_b64 s[44:45], 0
	s_mov_b64 s[42:43], 0x60
	v_mov_b32_e32 v36, 1
	s_branch .LBB69_7
.LBB69_6:                               ;   in Loop: Header=BB69_7 Depth=1
	s_or_b64 exec, exec, s[44:45]
	s_waitcnt lgkmcnt(0)
	s_barrier
	ds_read_b64 v[20:21], v4
	s_add_u32 s30, s18, s30
	s_addc_u32 s31, s19, s31
	s_waitcnt lgkmcnt(0)
	s_barrier
	v_cmp_gt_i64_e32 vcc, s[20:21], v[20:21]
	v_readfirstlane_b32 s44, v20
	v_readfirstlane_b32 s45, v21
	s_cbranch_vccz .LBB69_45
.LBB69_7:                               ; =>This Loop Header: Depth=1
                                        ;     Child Loop BB69_10 Depth 2
	v_lshl_add_u64 v[18:19], v[18:19], 0, v[8:9]
	v_cmp_lt_i64_e32 vcc, v[18:19], v[2:3]
	v_mov_b64_e32 v[20:21], s[20:21]
	v_mov_b64_e32 v[30:31], v[2:3]
	ds_write_b8 v4, v4 offset:4096
	ds_write2_b32 v35, v4, v4 offset1:8
	ds_write2_b32 v35, v4, v4 offset0:16 offset1:24
	s_waitcnt lgkmcnt(0)
	s_barrier
	s_and_saveexec_b64 s[46:47], vcc
	s_cbranch_execz .LBB69_19
; %bb.8:                                ;   in Loop: Header=BB69_7 Depth=1
	s_mul_i32 s60, s44, s22
	v_lshl_add_u64 v[22:23], v[18:19], 2, s[28:29]
	v_lshl_add_u64 v[24:25], v[18:19], 3, s[26:27]
	s_mov_b64 s[48:49], 0
	v_mov_b64_e32 v[20:21], s[20:21]
	v_mov_b64_e32 v[26:27], v[2:3]
	s_branch .LBB69_10
.LBB69_9:                               ;   in Loop: Header=BB69_10 Depth=2
	s_or_b64 exec, exec, s[18:19]
	v_lshl_add_u64 v[18:19], v[18:19], 0, 8
	v_cmp_ge_i64_e64 s[18:19], v[18:19], v[2:3]
	s_xor_b64 s[50:51], vcc, -1
	s_or_b64 s[18:19], s[50:51], s[18:19]
	s_and_b64 s[18:19], exec, s[18:19]
	v_lshl_add_u64 v[22:23], v[22:23], 0, 32
	v_lshl_add_u64 v[24:25], v[24:25], 0, 64
	s_or_b64 s[48:49], s[18:19], s[48:49]
	v_mov_b64_e32 v[26:27], v[30:31]
	s_andn2_b64 exec, exec, s[48:49]
	s_cbranch_execz .LBB69_18
.LBB69_10:                              ;   Parent Loop BB69_7 Depth=1
                                        ; =>  This Inner Loop Header: Depth=2
	global_load_dwordx2 v[28:29], v[24:25], off
	v_mov_b32_e32 v5, s57
                                        ; implicit-def: $vgpr30_vgpr31
	s_waitcnt vmcnt(0)
	v_subrev_co_u32_e32 v28, vcc, s33, v28
	s_nop 1
	v_subb_co_u32_e32 v29, vcc, v29, v5, vcc
	v_or_b32_e32 v5, s23, v29
	v_cmp_ne_u64_e32 vcc, 0, v[4:5]
	s_and_saveexec_b64 s[18:19], vcc
	s_xor_b64 s[50:51], exec, s[18:19]
	s_cbranch_execz .LBB69_12
; %bb.11:                               ;   in Loop: Header=BB69_10 Depth=2
	s_ashr_i32 s52, s23, 31
	s_add_u32 s18, s22, s52
	s_mov_b32 s53, s52
	s_addc_u32 s19, s23, s52
	s_xor_b64 s[54:55], s[18:19], s[52:53]
	v_cvt_f32_u32_e32 v5, s54
	v_cvt_f32_u32_e32 v30, s55
	s_sub_u32 s18, 0, s54
	s_subb_u32 s19, 0, s55
	v_mov_b32_e32 v39, v4
	v_fmac_f32_e32 v5, 0x4f800000, v30
	v_rcp_f32_e32 v5, v5
	s_nop 0
	v_mul_f32_e32 v5, 0x5f7ffffc, v5
	v_mul_f32_e32 v30, 0x2f800000, v5
	v_trunc_f32_e32 v30, v30
	v_fmac_f32_e32 v5, 0xcf800000, v30
	v_cvt_u32_f32_e32 v37, v30
	v_cvt_u32_f32_e32 v5, v5
	v_mul_lo_u32 v30, s18, v37
	v_mul_hi_u32 v38, s18, v5
	v_mul_lo_u32 v31, s19, v5
	v_add_u32_e32 v30, v38, v30
	v_mul_lo_u32 v40, s18, v5
	v_add_u32_e32 v41, v30, v31
	v_mul_hi_u32 v31, v5, v41
	v_mul_lo_u32 v30, v5, v41
	v_mul_hi_u32 v38, v5, v40
	v_lshl_add_u64 v[30:31], v[38:39], 0, v[30:31]
	v_mul_hi_u32 v39, v37, v40
	v_mul_lo_u32 v40, v37, v40
	v_add_co_u32_e32 v30, vcc, v30, v40
	v_mul_hi_u32 v38, v37, v41
	s_nop 0
	v_addc_co_u32_e32 v30, vcc, v31, v39, vcc
	v_mov_b32_e32 v31, v4
	s_nop 0
	v_addc_co_u32_e32 v39, vcc, 0, v38, vcc
	v_mul_lo_u32 v38, v37, v41
	v_lshl_add_u64 v[30:31], v[30:31], 0, v[38:39]
	v_add_co_u32_e32 v5, vcc, v5, v30
	v_mul_lo_u32 v38, s18, v5
	s_nop 0
	v_addc_co_u32_e32 v37, vcc, v37, v31, vcc
	v_mul_lo_u32 v30, s18, v37
	v_mul_hi_u32 v31, s18, v5
	v_add_u32_e32 v30, v31, v30
	v_mul_lo_u32 v31, s19, v5
	v_add_u32_e32 v40, v30, v31
	v_mul_hi_u32 v42, v37, v38
	v_mul_lo_u32 v43, v37, v38
	v_mul_hi_u32 v31, v5, v40
	v_mul_lo_u32 v30, v5, v40
	v_mul_hi_u32 v38, v5, v38
	v_mov_b32_e32 v39, v4
	v_lshl_add_u64 v[30:31], v[38:39], 0, v[30:31]
	v_add_co_u32_e32 v30, vcc, v30, v43
	v_mul_hi_u32 v41, v37, v40
	s_nop 0
	v_addc_co_u32_e32 v30, vcc, v31, v42, vcc
	v_mul_lo_u32 v38, v37, v40
	s_nop 0
	v_addc_co_u32_e32 v39, vcc, 0, v41, vcc
	v_mov_b32_e32 v31, v4
	v_lshl_add_u64 v[30:31], v[30:31], 0, v[38:39]
	v_add_co_u32_e32 v5, vcc, v5, v30
	v_ashrrev_i32_e32 v30, 31, v29
	s_nop 0
	v_addc_co_u32_e32 v37, vcc, v37, v31, vcc
	v_mov_b32_e32 v31, v30
	v_lshl_add_u64 v[38:39], v[28:29], 0, v[30:31]
	v_xor_b32_e32 v31, v38, v30
	v_xor_b32_e32 v29, v39, v30
	v_mad_u64_u32 v[38:39], s[18:19], v31, v37, 0
	v_mul_hi_u32 v40, v31, v5
	v_mov_b32_e32 v41, v4
	v_lshl_add_u64 v[38:39], v[40:41], 0, v[38:39]
	v_mad_u64_u32 v[42:43], s[18:19], v29, v5, 0
	v_add_co_u32_e32 v5, vcc, v38, v42
	v_mad_u64_u32 v[40:41], s[18:19], v29, v37, 0
	s_nop 0
	v_addc_co_u32_e32 v38, vcc, v39, v43, vcc
	v_mov_b32_e32 v39, v4
	s_nop 0
	v_addc_co_u32_e32 v41, vcc, 0, v41, vcc
	v_lshl_add_u64 v[38:39], v[38:39], 0, v[40:41]
	v_mul_lo_u32 v5, s55, v38
	v_mul_lo_u32 v37, s54, v39
	v_mad_u64_u32 v[40:41], s[18:19], s54, v38, 0
	v_add3_u32 v5, v41, v37, v5
	v_sub_u32_e32 v37, v29, v5
	v_mov_b32_e32 v41, s55
	v_sub_co_u32_e32 v31, vcc, v31, v40
	v_lshl_add_u64 v[42:43], v[38:39], 0, 1
	s_nop 0
	v_subb_co_u32_e64 v37, s[18:19], v37, v41, vcc
	v_subrev_co_u32_e64 v40, s[18:19], s54, v31
	v_subb_co_u32_e32 v5, vcc, v29, v5, vcc
	s_nop 0
	v_subbrev_co_u32_e64 v37, s[18:19], 0, v37, s[18:19]
	v_cmp_le_u32_e64 s[18:19], s55, v37
	v_cmp_le_u32_e32 vcc, s55, v5
	s_nop 0
	v_cndmask_b32_e64 v41, 0, -1, s[18:19]
	v_cmp_le_u32_e64 s[18:19], s54, v40
	v_cndmask_b32_e64 v29, 0, -1, vcc
	v_cmp_le_u32_e32 vcc, s54, v31
	v_cndmask_b32_e64 v40, 0, -1, s[18:19]
	v_cmp_eq_u32_e64 s[18:19], s55, v37
	v_cndmask_b32_e64 v31, 0, -1, vcc
	v_cmp_eq_u32_e32 vcc, s55, v5
	v_cndmask_b32_e64 v37, v41, v40, s[18:19]
	v_lshl_add_u64 v[40:41], v[38:39], 0, 2
	v_cmp_ne_u32_e64 s[18:19], 0, v37
	v_cndmask_b32_e32 v5, v29, v31, vcc
	v_cmp_ne_u32_e32 vcc, 0, v5
	v_cndmask_b32_e64 v29, v42, v40, s[18:19]
	v_cndmask_b32_e64 v37, v43, v41, s[18:19]
	v_cndmask_b32_e32 v29, v38, v29, vcc
	v_xor_b32_e32 v31, s52, v30
	v_cndmask_b32_e32 v5, v39, v37, vcc
	v_xor_b32_e32 v29, v29, v31
	v_xor_b32_e32 v5, v5, v31
	v_sub_co_u32_e32 v30, vcc, v29, v31
	s_nop 1
	v_subb_co_u32_e32 v31, vcc, v5, v31, vcc
.LBB69_12:                              ;   in Loop: Header=BB69_10 Depth=2
	s_andn2_saveexec_b64 s[18:19], s[50:51]
	s_cbranch_execz .LBB69_14
; %bb.13:                               ;   in Loop: Header=BB69_10 Depth=2
	v_cvt_f32_u32_e32 v5, s22
	s_sub_i32 s50, 0, s22
	v_rcp_iflag_f32_e32 v5, v5
	s_nop 0
	v_mul_f32_e32 v5, 0x4f7ffffe, v5
	v_cvt_u32_f32_e32 v5, v5
	v_mul_lo_u32 v29, s50, v5
	v_mul_hi_u32 v29, v5, v29
	v_add_u32_e32 v5, v5, v29
	v_mul_hi_u32 v5, v28, v5
	v_mul_lo_u32 v29, v5, s22
	v_sub_u32_e32 v29, v28, v29
	v_add_u32_e32 v30, 1, v5
	v_subrev_u32_e32 v31, s22, v29
	v_cmp_le_u32_e32 vcc, s22, v29
	s_nop 1
	v_cndmask_b32_e32 v29, v29, v31, vcc
	v_cndmask_b32_e32 v5, v5, v30, vcc
	v_add_u32_e32 v30, 1, v5
	v_cmp_le_u32_e32 vcc, s22, v29
	v_mov_b32_e32 v31, v4
	s_nop 0
	v_cndmask_b32_e32 v30, v5, v30, vcc
.LBB69_14:                              ;   in Loop: Header=BB69_10 Depth=2
	s_or_b64 exec, exec, s[18:19]
	v_cmp_eq_u64_e32 vcc, s[44:45], v[30:31]
	v_cmp_ne_u64_e64 s[18:19], s[44:45], v[30:31]
	s_and_saveexec_b64 s[50:51], s[18:19]
	s_xor_b64 s[50:51], exec, s[50:51]
; %bb.15:                               ;   in Loop: Header=BB69_10 Depth=2
	v_cmp_lt_i64_e64 s[18:19], v[30:31], v[20:21]
                                        ; implicit-def: $vgpr28_vgpr29
                                        ; implicit-def: $vgpr26_vgpr27
	s_nop 1
	v_cndmask_b32_e64 v21, v21, v31, s[18:19]
	v_cndmask_b32_e64 v20, v20, v30, s[18:19]
; %bb.16:                               ;   in Loop: Header=BB69_10 Depth=2
	s_or_saveexec_b64 s[18:19], s[50:51]
	v_mov_b64_e32 v[30:31], v[18:19]
	s_xor_b64 exec, exec, s[18:19]
	s_cbranch_execz .LBB69_9
; %bb.17:                               ;   in Loop: Header=BB69_10 Depth=2
	global_load_dword v5, v[22:23], off
	v_subrev_u32_e32 v28, s60, v28
	v_add_lshl_u32 v28, v32, v28, 2
	v_mov_b64_e32 v[30:31], v[26:27]
	ds_write_b8 v4, v36 offset:4096
	s_waitcnt vmcnt(0)
	ds_write_b32 v28, v5
	s_branch .LBB69_9
.LBB69_18:                              ;   in Loop: Header=BB69_7 Depth=1
	s_or_b64 exec, exec, s[48:49]
.LBB69_19:                              ;   in Loop: Header=BB69_7 Depth=1
	s_or_b64 exec, exec, s[46:47]
	v_mov_b32_dpp v18, v30 row_shr:1 row_mask:0xf bank_mask:0xf
	v_mov_b32_dpp v19, v31 row_shr:1 row_mask:0xf bank_mask:0xf
	v_cmp_lt_i64_e32 vcc, v[18:19], v[30:31]
	s_waitcnt lgkmcnt(0)
	s_barrier
	v_cndmask_b32_e32 v19, v31, v19, vcc
	v_cndmask_b32_e32 v18, v30, v18, vcc
	s_nop 0
	v_mov_b32_dpp v23, v19 row_shr:2 row_mask:0xf bank_mask:0xf
	v_mov_b32_dpp v22, v18 row_shr:2 row_mask:0xf bank_mask:0xf
	v_cmp_lt_i64_e32 vcc, v[22:23], v[18:19]
	s_mov_b64 s[18:19], 0
	s_nop 0
	v_cndmask_b32_e32 v19, v19, v23, vcc
	v_cndmask_b32_e32 v18, v18, v22, vcc
	s_nop 0
	v_mov_b32_dpp v23, v19 row_shr:4 row_mask:0xf bank_mask:0xe
	v_mov_b32_dpp v22, v18 row_shr:4 row_mask:0xf bank_mask:0xe
	v_cmp_lt_i64_e32 vcc, v[22:23], v[18:19]
	s_nop 1
	v_cndmask_b32_e32 v5, v19, v23, vcc
	ds_read_u8 v23, v4 offset:4096
	v_cndmask_b32_e32 v18, v18, v22, vcc
	ds_bpermute_b32 v18, v33, v18
	ds_bpermute_b32 v19, v33, v5
	s_waitcnt lgkmcnt(2)
	v_cmp_eq_u32_e32 vcc, 0, v23
	s_cbranch_vccnz .LBB69_26
; %bb.20:                               ;   in Loop: Header=BB69_7 Depth=1
	s_add_u32 s18, s44, s56
	s_addc_u32 s19, s45, 0
	s_lshl_b64 s[44:45], s[30:31], 3
	s_add_u32 s44, s24, s44
	v_mov_b64_e32 v[22:23], s[18:19]
	s_mul_i32 s18, s59, s31
	s_mul_hi_u32 s19, s59, s30
	s_addc_u32 s45, s25, s45
	s_add_i32 s18, s19, s18
	s_mul_i32 s19, s58, s30
	s_add_i32 s19, s18, s19
	s_mul_i32 s18, s59, s30
	s_lshl_b64 s[18:19], s[18:19], 2
	global_store_dwordx2 v4, v[22:23], s[44:45]
	v_lshl_add_u64 v[22:23], v[6:7], 0, s[18:19]
	v_lshl_add_u64 v[24:25], v[10:11], 0, s[18:19]
	s_and_saveexec_b64 s[18:19], s[34:35]
	s_cbranch_execnz .LBB69_42
; %bb.21:                               ;   in Loop: Header=BB69_7 Depth=1
	s_or_b64 exec, exec, s[18:19]
	s_and_saveexec_b64 s[18:19], s[36:37]
	s_cbranch_execnz .LBB69_43
.LBB69_22:                              ;   in Loop: Header=BB69_7 Depth=1
	s_or_b64 exec, exec, s[18:19]
	s_and_saveexec_b64 s[18:19], s[38:39]
	s_cbranch_execnz .LBB69_44
.LBB69_23:                              ;   in Loop: Header=BB69_7 Depth=1
	s_or_b64 exec, exec, s[18:19]
	s_and_saveexec_b64 s[18:19], s[40:41]
	s_cbranch_execz .LBB69_25
.LBB69_24:                              ;   in Loop: Header=BB69_7 Depth=1
	ds_read_b32 v5, v35 offset:96
	v_lshl_add_u64 v[24:25], v[24:25], 0, s[42:43]
	v_lshl_add_u64 v[22:23], v[16:17], 2, v[22:23]
	v_cndmask_b32_e64 v23, v23, v25, s[0:1]
	v_cndmask_b32_e64 v22, v22, v24, s[0:1]
	s_waitcnt lgkmcnt(0)
	global_store_dword v[22:23], v5, off
.LBB69_25:                              ;   in Loop: Header=BB69_7 Depth=1
	s_or_b64 exec, exec, s[18:19]
	s_mov_b64 s[18:19], 1
.LBB69_26:                              ;   in Loop: Header=BB69_7 Depth=1
	s_waitcnt lgkmcnt(0)
	s_barrier
	ds_write_b64 v34, v[20:21]
	s_waitcnt lgkmcnt(0)
	s_barrier
	s_and_saveexec_b64 s[44:45], s[2:3]
	s_cbranch_execz .LBB69_28
; %bb.27:                               ;   in Loop: Header=BB69_7 Depth=1
	ds_read2st64_b64 v[20:23], v34 offset1:2
	s_waitcnt lgkmcnt(0)
	v_cmp_lt_i64_e32 vcc, v[22:23], v[20:21]
	s_nop 1
	v_cndmask_b32_e32 v21, v21, v23, vcc
	v_cndmask_b32_e32 v20, v20, v22, vcc
	ds_write_b64 v34, v[20:21]
.LBB69_28:                              ;   in Loop: Header=BB69_7 Depth=1
	s_or_b64 exec, exec, s[44:45]
	s_waitcnt lgkmcnt(0)
	s_barrier
	s_and_saveexec_b64 s[44:45], s[4:5]
	s_cbranch_execz .LBB69_30
; %bb.29:                               ;   in Loop: Header=BB69_7 Depth=1
	ds_read2st64_b64 v[20:23], v34 offset1:1
	s_waitcnt lgkmcnt(0)
	v_cmp_lt_i64_e32 vcc, v[22:23], v[20:21]
	s_nop 1
	v_cndmask_b32_e32 v21, v21, v23, vcc
	v_cndmask_b32_e32 v20, v20, v22, vcc
	ds_write_b64 v34, v[20:21]
.LBB69_30:                              ;   in Loop: Header=BB69_7 Depth=1
	s_or_b64 exec, exec, s[44:45]
	s_waitcnt lgkmcnt(0)
	s_barrier
	s_and_saveexec_b64 s[44:45], s[6:7]
	s_cbranch_execz .LBB69_32
; %bb.31:                               ;   in Loop: Header=BB69_7 Depth=1
	ds_read2_b64 v[20:23], v34 offset1:32
	s_waitcnt lgkmcnt(0)
	v_cmp_lt_i64_e32 vcc, v[22:23], v[20:21]
	s_nop 1
	v_cndmask_b32_e32 v21, v21, v23, vcc
	v_cndmask_b32_e32 v20, v20, v22, vcc
	ds_write_b64 v34, v[20:21]
.LBB69_32:                              ;   in Loop: Header=BB69_7 Depth=1
	s_or_b64 exec, exec, s[44:45]
	s_waitcnt lgkmcnt(0)
	s_barrier
	s_and_saveexec_b64 s[44:45], s[8:9]
	s_cbranch_execz .LBB69_34
; %bb.33:                               ;   in Loop: Header=BB69_7 Depth=1
	ds_read2_b64 v[20:23], v34 offset1:16
	s_waitcnt lgkmcnt(0)
	v_cmp_lt_i64_e32 vcc, v[22:23], v[20:21]
	s_nop 1
	v_cndmask_b32_e32 v21, v21, v23, vcc
	v_cndmask_b32_e32 v20, v20, v22, vcc
	ds_write_b64 v34, v[20:21]
.LBB69_34:                              ;   in Loop: Header=BB69_7 Depth=1
	;; [unrolled: 14-line block ×5, first 2 shown]
	s_or_b64 exec, exec, s[44:45]
	s_waitcnt lgkmcnt(0)
	s_barrier
	s_and_saveexec_b64 s[44:45], s[16:17]
	s_cbranch_execz .LBB69_6
; %bb.41:                               ;   in Loop: Header=BB69_7 Depth=1
	ds_read_b128 v[20:23], v4
	s_waitcnt lgkmcnt(0)
	v_cmp_lt_i64_e32 vcc, v[22:23], v[20:21]
	s_nop 1
	v_cndmask_b32_e32 v21, v21, v23, vcc
	v_cndmask_b32_e32 v20, v20, v22, vcc
	ds_write_b64 v4, v[20:21]
	s_branch .LBB69_6
.LBB69_42:                              ;   in Loop: Header=BB69_7 Depth=1
	ds_read_b32 v5, v35
	v_lshl_add_u64 v[26:27], v[0:1], 2, v[22:23]
	v_cndmask_b32_e64 v27, v27, v25, s[0:1]
	v_cndmask_b32_e64 v26, v26, v24, s[0:1]
	s_waitcnt lgkmcnt(0)
	global_store_dword v[26:27], v5, off
	s_or_b64 exec, exec, s[18:19]
	s_and_saveexec_b64 s[18:19], s[36:37]
	s_cbranch_execz .LBB69_22
.LBB69_43:                              ;   in Loop: Header=BB69_7 Depth=1
	ds_read_b32 v5, v35 offset:32
	v_lshl_add_u64 v[26:27], v[24:25], 0, 32
	v_lshl_add_u64 v[28:29], v[12:13], 2, v[22:23]
	v_cndmask_b32_e64 v27, v29, v27, s[0:1]
	v_cndmask_b32_e64 v26, v28, v26, s[0:1]
	s_waitcnt lgkmcnt(0)
	global_store_dword v[26:27], v5, off
	s_or_b64 exec, exec, s[18:19]
	s_and_saveexec_b64 s[18:19], s[38:39]
	s_cbranch_execz .LBB69_23
.LBB69_44:                              ;   in Loop: Header=BB69_7 Depth=1
	ds_read_b32 v5, v35 offset:64
	v_lshl_add_u64 v[26:27], v[24:25], 0, 64
	v_lshl_add_u64 v[28:29], v[14:15], 2, v[22:23]
	v_cndmask_b32_e64 v27, v29, v27, s[0:1]
	v_cndmask_b32_e64 v26, v28, v26, s[0:1]
	s_waitcnt lgkmcnt(0)
	global_store_dword v[26:27], v5, off
	s_or_b64 exec, exec, s[18:19]
	s_and_saveexec_b64 s[18:19], s[40:41]
	s_cbranch_execnz .LBB69_24
	s_branch .LBB69_25
.LBB69_45:
	s_endpgm
	.section	.rodata,"a",@progbits
	.p2align	6, 0x0
	.amdhsa_kernel _ZN9rocsparseL38csr2bsr_block_per_row_multipass_kernelILj256ELj32EfllEEv20rocsparse_direction_T3_S2_S2_S2_S2_21rocsparse_index_base_PKT1_PKT2_PKS2_S3_PS4_PS7_PS2_
		.amdhsa_group_segment_fixed_size 4100
		.amdhsa_private_segment_fixed_size 0
		.amdhsa_kernarg_size 112
		.amdhsa_user_sgpr_count 2
		.amdhsa_user_sgpr_dispatch_ptr 0
		.amdhsa_user_sgpr_queue_ptr 0
		.amdhsa_user_sgpr_kernarg_segment_ptr 1
		.amdhsa_user_sgpr_dispatch_id 0
		.amdhsa_user_sgpr_kernarg_preload_length 0
		.amdhsa_user_sgpr_kernarg_preload_offset 0
		.amdhsa_user_sgpr_private_segment_size 0
		.amdhsa_uses_dynamic_stack 0
		.amdhsa_enable_private_segment 0
		.amdhsa_system_sgpr_workgroup_id_x 1
		.amdhsa_system_sgpr_workgroup_id_y 0
		.amdhsa_system_sgpr_workgroup_id_z 0
		.amdhsa_system_sgpr_workgroup_info 0
		.amdhsa_system_vgpr_workitem_id 0
		.amdhsa_next_free_vgpr 44
		.amdhsa_next_free_sgpr 61
		.amdhsa_accum_offset 44
		.amdhsa_reserve_vcc 1
		.amdhsa_float_round_mode_32 0
		.amdhsa_float_round_mode_16_64 0
		.amdhsa_float_denorm_mode_32 3
		.amdhsa_float_denorm_mode_16_64 3
		.amdhsa_dx10_clamp 1
		.amdhsa_ieee_mode 1
		.amdhsa_fp16_overflow 0
		.amdhsa_tg_split 0
		.amdhsa_exception_fp_ieee_invalid_op 0
		.amdhsa_exception_fp_denorm_src 0
		.amdhsa_exception_fp_ieee_div_zero 0
		.amdhsa_exception_fp_ieee_overflow 0
		.amdhsa_exception_fp_ieee_underflow 0
		.amdhsa_exception_fp_ieee_inexact 0
		.amdhsa_exception_int_div_zero 0
	.end_amdhsa_kernel
	.section	.text._ZN9rocsparseL38csr2bsr_block_per_row_multipass_kernelILj256ELj32EfllEEv20rocsparse_direction_T3_S2_S2_S2_S2_21rocsparse_index_base_PKT1_PKT2_PKS2_S3_PS4_PS7_PS2_,"axG",@progbits,_ZN9rocsparseL38csr2bsr_block_per_row_multipass_kernelILj256ELj32EfllEEv20rocsparse_direction_T3_S2_S2_S2_S2_21rocsparse_index_base_PKT1_PKT2_PKS2_S3_PS4_PS7_PS2_,comdat
.Lfunc_end69:
	.size	_ZN9rocsparseL38csr2bsr_block_per_row_multipass_kernelILj256ELj32EfllEEv20rocsparse_direction_T3_S2_S2_S2_S2_21rocsparse_index_base_PKT1_PKT2_PKS2_S3_PS4_PS7_PS2_, .Lfunc_end69-_ZN9rocsparseL38csr2bsr_block_per_row_multipass_kernelILj256ELj32EfllEEv20rocsparse_direction_T3_S2_S2_S2_S2_21rocsparse_index_base_PKT1_PKT2_PKS2_S3_PS4_PS7_PS2_
                                        ; -- End function
	.section	.AMDGPU.csdata,"",@progbits
; Kernel info:
; codeLenInByte = 2932
; NumSgprs: 67
; NumVgprs: 44
; NumAgprs: 0
; TotalNumVgprs: 44
; ScratchSize: 0
; MemoryBound: 0
; FloatMode: 240
; IeeeMode: 1
; LDSByteSize: 4100 bytes/workgroup (compile time only)
; SGPRBlocks: 8
; VGPRBlocks: 5
; NumSGPRsForWavesPerEU: 67
; NumVGPRsForWavesPerEU: 44
; AccumOffset: 44
; Occupancy: 8
; WaveLimiterHint : 1
; COMPUTE_PGM_RSRC2:SCRATCH_EN: 0
; COMPUTE_PGM_RSRC2:USER_SGPR: 2
; COMPUTE_PGM_RSRC2:TRAP_HANDLER: 0
; COMPUTE_PGM_RSRC2:TGID_X_EN: 1
; COMPUTE_PGM_RSRC2:TGID_Y_EN: 0
; COMPUTE_PGM_RSRC2:TGID_Z_EN: 0
; COMPUTE_PGM_RSRC2:TIDIG_COMP_CNT: 0
; COMPUTE_PGM_RSRC3_GFX90A:ACCUM_OFFSET: 10
; COMPUTE_PGM_RSRC3_GFX90A:TG_SPLIT: 0
	.section	.text._ZN9rocsparseL38csr2bsr_block_per_row_multipass_kernelILj256ELj64EfllEEv20rocsparse_direction_T3_S2_S2_S2_S2_21rocsparse_index_base_PKT1_PKT2_PKS2_S3_PS4_PS7_PS2_,"axG",@progbits,_ZN9rocsparseL38csr2bsr_block_per_row_multipass_kernelILj256ELj64EfllEEv20rocsparse_direction_T3_S2_S2_S2_S2_21rocsparse_index_base_PKT1_PKT2_PKS2_S3_PS4_PS7_PS2_,comdat
	.globl	_ZN9rocsparseL38csr2bsr_block_per_row_multipass_kernelILj256ELj64EfllEEv20rocsparse_direction_T3_S2_S2_S2_S2_21rocsparse_index_base_PKT1_PKT2_PKS2_S3_PS4_PS7_PS2_ ; -- Begin function _ZN9rocsparseL38csr2bsr_block_per_row_multipass_kernelILj256ELj64EfllEEv20rocsparse_direction_T3_S2_S2_S2_S2_21rocsparse_index_base_PKT1_PKT2_PKS2_S3_PS4_PS7_PS2_
	.p2align	8
	.type	_ZN9rocsparseL38csr2bsr_block_per_row_multipass_kernelILj256ELj64EfllEEv20rocsparse_direction_T3_S2_S2_S2_S2_21rocsparse_index_base_PKT1_PKT2_PKS2_S3_PS4_PS7_PS2_,@function
_ZN9rocsparseL38csr2bsr_block_per_row_multipass_kernelILj256ELj64EfllEEv20rocsparse_direction_T3_S2_S2_S2_S2_21rocsparse_index_base_PKT1_PKT2_PKS2_S3_PS4_PS7_PS2_: ; @_ZN9rocsparseL38csr2bsr_block_per_row_multipass_kernelILj256ELj64EfllEEv20rocsparse_direction_T3_S2_S2_S2_S2_21rocsparse_index_base_PKT1_PKT2_PKS2_S3_PS4_PS7_PS2_
; %bb.0:
	s_load_dwordx2 s[6:7], s[0:1], 0x8
	s_load_dwordx4 s[20:23], s[0:1], 0x20
	s_load_dword s33, s[0:1], 0x30
	s_load_dwordx2 s[4:5], s[0:1], 0x40
	s_ashr_i32 s3, s2, 31
	v_lshrrev_b32_e32 v10, 2, v0
	v_mov_b32_e32 v11, 0
	s_waitcnt lgkmcnt(0)
	s_mul_i32 s8, s2, s23
	s_mul_i32 s9, s3, s22
	v_mov_b32_e32 v1, s22
	s_add_i32 s10, s8, s9
	v_mad_u64_u32 v[4:5], s[8:9], s2, v1, v[10:11]
	v_add_u32_e32 v5, s10, v5
	v_cmp_gt_i64_e32 vcc, s[6:7], v[4:5]
	v_cmp_gt_i64_e64 s[18:19], s[22:23], v[10:11]
	v_mov_b64_e32 v[2:3], 0
	s_and_b64 s[6:7], s[18:19], vcc
	v_mov_b64_e32 v[42:43], v[2:3]
	s_and_saveexec_b64 s[8:9], s[6:7]
	s_cbranch_execnz .LBB70_3
; %bb.1:
	s_or_b64 exec, exec, s[8:9]
	s_and_saveexec_b64 s[8:9], s[6:7]
	s_cbranch_execnz .LBB70_4
.LBB70_2:
	s_or_b64 exec, exec, s[8:9]
	v_cmp_lt_i64_e64 s[4:5], s[20:21], 1
	s_and_b64 vcc, exec, s[4:5]
	s_cbranch_vccz .LBB70_5
	s_branch .LBB70_69
.LBB70_3:
	v_lshl_add_u64 v[6:7], v[4:5], 3, s[4:5]
	global_load_dwordx2 v[6:7], v[6:7], off
	s_waitcnt vmcnt(0)
	v_subrev_co_u32_e32 v42, vcc, s33, v6
	s_nop 1
	v_subbrev_co_u32_e32 v43, vcc, 0, v7, vcc
	s_or_b64 exec, exec, s[8:9]
	s_and_saveexec_b64 s[8:9], s[6:7]
	s_cbranch_execz .LBB70_2
.LBB70_4:
	v_lshl_add_u64 v[2:3], v[4:5], 3, s[4:5]
	global_load_dwordx2 v[2:3], v[2:3], off offset:8
	s_waitcnt vmcnt(0)
	v_subrev_co_u32_e32 v2, vcc, s33, v2
	s_nop 1
	v_subbrev_co_u32_e32 v3, vcc, 0, v3, vcc
	s_or_b64 exec, exec, s[8:9]
	v_cmp_lt_i64_e64 s[4:5], s[20:21], 1
	s_and_b64 vcc, exec, s[4:5]
	s_cbranch_vccnz .LBB70_69
.LBB70_5:
	s_load_dwordx2 s[24:25], s[0:1], 0x68
	s_load_dwordx4 s[4:7], s[0:1], 0x58
	s_load_dword s66, s[0:1], 0x50
	s_mul_i32 s8, s22, s23
	s_mul_hi_u32 s9, s22, s22
	s_add_i32 s9, s9, s8
	s_add_i32 s68, s9, s8
	s_lshl_b64 s[2:3], s[2:3], 3
	s_waitcnt lgkmcnt(0)
	s_add_u32 s2, s6, s2
	s_addc_u32 s3, s7, s3
	s_load_dwordx2 s[6:7], s[2:3], 0x0
	s_load_dwordx2 s[26:27], s[0:1], 0x48
	;; [unrolled: 1-line block ×3, first 2 shown]
	s_load_dword s8, s[0:1], 0x0
	v_mad_u64_u32 v[12:13], s[2:3], v10, s22, 0
	v_mov_b32_e32 v14, v13
	v_lshlrev_b32_e32 v6, 2, v10
	v_mov_b32_e32 v4, 0
	s_waitcnt lgkmcnt(0)
	s_sub_u32 s30, s6, s66
	v_lshlrev_b32_e32 v56, 6, v10
	v_mad_u64_u32 v[10:11], s[2:3], v10, s23, v[14:15]
	v_mov_b32_e32 v7, v4
	v_and_b32_e32 v8, 3, v0
	s_subb_u32 s31, s7, 0
	v_mbcnt_lo_u32_b32 v1, -1, 0
	v_mov_b32_e32 v13, v10
	s_movk_i32 s2, 0x80
	v_lshl_add_u64 v[6:7], s[4:5], 0, v[6:7]
	v_mbcnt_hi_u32_b32 v1, -1, v1
	s_cmp_eq_u32 s8, 0
	v_lshl_add_u64 v[10:11], v[12:13], 2, s[4:5]
	v_lshlrev_b32_e32 v58, 3, v0
	v_cmp_gt_u32_e64 s[2:3], s2, v0
	v_cmp_gt_u32_e64 s[4:5], 64, v0
	;; [unrolled: 1-line block ×7, first 2 shown]
	v_cmp_eq_u32_e64 s[16:17], 0, v0
	v_or_b32_e32 v0, v56, v8
	v_lshl_or_b32 v57, v1, 2, 12
	v_lshlrev_b32_e32 v12, 2, v8
	v_mov_b32_e32 v13, v4
	v_lshlrev_b32_e32 v59, 2, v0
	v_mad_u64_u32 v[0:1], s[36:37], v8, s22, 0
	v_lshl_add_u64 v[10:11], v[10:11], 0, v[12:13]
	v_mov_b32_e32 v12, v1
	v_mad_u64_u32 v[12:13], s[36:37], v8, s23, v[12:13]
	v_or_b32_e32 v14, 4, v8
	v_mov_b32_e32 v9, v4
	v_mov_b32_e32 v1, v12
	v_mad_u64_u32 v[12:13], s[38:39], v14, s22, 0
	v_cmp_gt_i64_e32 vcc, s[22:23], v[8:9]
	v_mov_b32_e32 v15, v4
	v_mov_b32_e32 v16, v13
	s_cselect_b64 s[0:1], -1, 0
	s_and_b64 s[34:35], s[18:19], vcc
	v_cmp_gt_i64_e32 vcc, s[22:23], v[14:15]
	v_mad_u64_u32 v[14:15], s[38:39], v14, s23, v[16:17]
	v_or_b32_e32 v16, 8, v8
	v_mov_b32_e32 v13, v14
	v_mad_u64_u32 v[14:15], s[40:41], v16, s22, 0
	v_mov_b32_e32 v17, v4
	v_mov_b32_e32 v18, v15
	s_and_b64 s[36:37], s[18:19], vcc
	v_cmp_gt_i64_e32 vcc, s[22:23], v[16:17]
	v_mad_u64_u32 v[16:17], s[40:41], v16, s23, v[18:19]
	v_or_b32_e32 v18, 12, v8
	v_mov_b32_e32 v15, v16
	v_mad_u64_u32 v[16:17], s[42:43], v18, s22, 0
	v_mov_b32_e32 v19, v4
	v_mov_b32_e32 v20, v17
	s_and_b64 s[38:39], s[18:19], vcc
	v_cmp_gt_i64_e32 vcc, s[22:23], v[18:19]
	v_mad_u64_u32 v[18:19], s[42:43], v18, s23, v[20:21]
	v_or_b32_e32 v20, 16, v8
	v_mov_b32_e32 v17, v18
	v_mad_u64_u32 v[18:19], s[44:45], v20, s22, 0
	v_mov_b32_e32 v21, v4
	v_mov_b32_e32 v22, v19
	s_and_b64 s[40:41], s[18:19], vcc
	v_cmp_gt_i64_e32 vcc, s[22:23], v[20:21]
	v_mad_u64_u32 v[20:21], s[44:45], v20, s23, v[22:23]
	v_or_b32_e32 v22, 20, v8
	v_mov_b32_e32 v19, v20
	v_mad_u64_u32 v[20:21], s[46:47], v22, s22, 0
	v_mov_b32_e32 v23, v4
	v_mov_b32_e32 v24, v21
	s_and_b64 s[42:43], s[18:19], vcc
	v_cmp_gt_i64_e32 vcc, s[22:23], v[22:23]
	v_mad_u64_u32 v[22:23], s[46:47], v22, s23, v[24:25]
	v_or_b32_e32 v24, 24, v8
	v_mov_b32_e32 v21, v22
	v_mad_u64_u32 v[22:23], s[48:49], v24, s22, 0
	v_mov_b32_e32 v25, v4
	v_mov_b32_e32 v26, v23
	s_and_b64 s[44:45], s[18:19], vcc
	v_cmp_gt_i64_e32 vcc, s[22:23], v[24:25]
	v_mad_u64_u32 v[24:25], s[48:49], v24, s23, v[26:27]
	v_or_b32_e32 v26, 28, v8
	v_mov_b32_e32 v23, v24
	v_mad_u64_u32 v[24:25], s[50:51], v26, s22, 0
	v_mov_b32_e32 v27, v4
	v_mov_b32_e32 v28, v25
	s_and_b64 s[46:47], s[18:19], vcc
	v_cmp_gt_i64_e32 vcc, s[22:23], v[26:27]
	v_mad_u64_u32 v[26:27], s[50:51], v26, s23, v[28:29]
	v_or_b32_e32 v28, 32, v8
	v_mov_b32_e32 v25, v26
	v_mad_u64_u32 v[26:27], s[52:53], v28, s22, 0
	v_mov_b32_e32 v29, v4
	v_mov_b32_e32 v30, v27
	s_and_b64 s[48:49], s[18:19], vcc
	v_cmp_gt_i64_e32 vcc, s[22:23], v[28:29]
	v_mad_u64_u32 v[28:29], s[52:53], v28, s23, v[30:31]
	v_or_b32_e32 v30, 36, v8
	v_mov_b32_e32 v27, v28
	v_mad_u64_u32 v[28:29], s[54:55], v30, s22, 0
	v_mov_b32_e32 v31, v4
	v_mov_b32_e32 v32, v29
	s_and_b64 s[50:51], s[18:19], vcc
	v_cmp_gt_i64_e32 vcc, s[22:23], v[30:31]
	v_mad_u64_u32 v[30:31], s[54:55], v30, s23, v[32:33]
	v_or_b32_e32 v32, 40, v8
	v_mov_b32_e32 v29, v30
	v_mad_u64_u32 v[30:31], s[56:57], v32, s22, 0
	v_mov_b32_e32 v33, v4
	v_mov_b32_e32 v34, v31
	s_and_b64 s[52:53], s[18:19], vcc
	v_cmp_gt_i64_e32 vcc, s[22:23], v[32:33]
	v_mad_u64_u32 v[32:33], s[56:57], v32, s23, v[34:35]
	v_or_b32_e32 v34, 44, v8
	v_mov_b32_e32 v31, v32
	v_mad_u64_u32 v[32:33], s[58:59], v34, s22, 0
	v_mov_b32_e32 v35, v4
	v_mov_b32_e32 v36, v33
	s_and_b64 s[54:55], s[18:19], vcc
	v_cmp_gt_i64_e32 vcc, s[22:23], v[34:35]
	v_mad_u64_u32 v[34:35], s[58:59], v34, s23, v[36:37]
	v_or_b32_e32 v36, 48, v8
	v_mov_b32_e32 v33, v34
	v_mad_u64_u32 v[34:35], s[60:61], v36, s22, 0
	v_mov_b32_e32 v37, v4
	v_mov_b32_e32 v38, v35
	s_and_b64 s[56:57], s[18:19], vcc
	v_cmp_gt_i64_e32 vcc, s[22:23], v[36:37]
	v_mad_u64_u32 v[36:37], s[60:61], v36, s23, v[38:39]
	v_or_b32_e32 v38, 52, v8
	v_mov_b32_e32 v35, v36
	v_mad_u64_u32 v[36:37], s[62:63], v38, s22, 0
	v_mov_b32_e32 v39, v4
	v_mov_b32_e32 v40, v37
	s_and_b64 s[58:59], s[18:19], vcc
	v_cmp_gt_i64_e32 vcc, s[22:23], v[38:39]
	v_mad_u64_u32 v[38:39], s[62:63], v38, s23, v[40:41]
	v_or_b32_e32 v40, 56, v8
	v_mov_b32_e32 v37, v38
	v_mad_u64_u32 v[38:39], s[64:65], v40, s22, 0
	v_mov_b32_e32 v41, v4
	v_mov_b32_e32 v44, v39
	s_and_b64 s[60:61], s[18:19], vcc
	v_cmp_gt_i64_e32 vcc, s[22:23], v[40:41]
	v_mad_u64_u32 v[40:41], s[64:65], v40, s23, v[44:45]
	v_or_b32_e32 v44, 60, v8
	v_mov_b32_e32 v45, v4
	s_and_b64 s[62:63], s[18:19], vcc
	v_cmp_gt_i64_e32 vcc, s[22:23], v[44:45]
	v_mov_b32_e32 v39, v40
	s_and_b64 s[64:65], s[18:19], vcc
	v_mad_u64_u32 v[40:41], s[18:19], v44, s22, 0
	v_mov_b32_e32 v46, v41
	v_mad_u64_u32 v[44:45], s[18:19], v44, s23, v[46:47]
	s_mov_b32 s67, 0
	s_mul_i32 s69, s22, s22
	v_mov_b32_e32 v41, v44
	s_mov_b64 s[88:89], 0
	s_mov_b64 s[72:73], 0x80
	;; [unrolled: 1-line block ×9, first 2 shown]
	v_mov_b32_e32 v60, 1
	s_branch .LBB70_7
.LBB70_6:                               ;   in Loop: Header=BB70_7 Depth=1
	s_or_b64 exec, exec, s[88:89]
	s_waitcnt lgkmcnt(0)
	s_barrier
	ds_read_b64 v[44:45], v4
	s_add_u32 s30, s18, s30
	s_addc_u32 s31, s19, s31
	s_waitcnt lgkmcnt(0)
	s_barrier
	v_cmp_gt_i64_e32 vcc, s[20:21], v[44:45]
	v_readfirstlane_b32 s88, v44
	v_readfirstlane_b32 s89, v45
	s_cbranch_vccz .LBB70_69
.LBB70_7:                               ; =>This Loop Header: Depth=1
                                        ;     Child Loop BB70_10 Depth 2
	v_lshl_add_u64 v[42:43], v[42:43], 0, v[8:9]
	v_cmp_lt_i64_e32 vcc, v[42:43], v[2:3]
	v_mov_b64_e32 v[44:45], s[20:21]
	v_mov_b64_e32 v[54:55], v[2:3]
	ds_write_b8 v4, v4 offset:16384
	ds_write2_b32 v59, v4, v4 offset1:4
	ds_write2_b32 v59, v4, v4 offset0:8 offset1:12
	ds_write2_b32 v59, v4, v4 offset0:16 offset1:20
	;; [unrolled: 1-line block ×7, first 2 shown]
	s_waitcnt lgkmcnt(0)
	s_barrier
	s_and_saveexec_b64 s[90:91], vcc
	s_cbranch_execz .LBB70_19
; %bb.8:                                ;   in Loop: Header=BB70_7 Depth=1
	s_mul_i32 s70, s88, s22
	v_lshl_add_u64 v[46:47], v[42:43], 2, s[28:29]
	v_lshl_add_u64 v[48:49], v[42:43], 3, s[26:27]
	s_mov_b64 s[92:93], 0
	v_mov_b64_e32 v[44:45], s[20:21]
	v_mov_b64_e32 v[50:51], v[2:3]
	s_branch .LBB70_10
.LBB70_9:                               ;   in Loop: Header=BB70_10 Depth=2
	s_or_b64 exec, exec, s[18:19]
	v_lshl_add_u64 v[42:43], v[42:43], 0, 4
	v_cmp_ge_i64_e64 s[18:19], v[42:43], v[2:3]
	s_xor_b64 s[94:95], vcc, -1
	s_or_b64 s[18:19], s[94:95], s[18:19]
	s_and_b64 s[18:19], exec, s[18:19]
	v_lshl_add_u64 v[46:47], v[46:47], 0, 16
	v_lshl_add_u64 v[48:49], v[48:49], 0, 32
	s_or_b64 s[92:93], s[18:19], s[92:93]
	v_mov_b64_e32 v[50:51], v[54:55]
	s_andn2_b64 exec, exec, s[92:93]
	s_cbranch_execz .LBB70_18
.LBB70_10:                              ;   Parent Loop BB70_7 Depth=1
                                        ; =>  This Inner Loop Header: Depth=2
	global_load_dwordx2 v[52:53], v[48:49], off
	v_mov_b32_e32 v5, s67
                                        ; implicit-def: $vgpr54_vgpr55
	s_waitcnt vmcnt(0)
	v_subrev_co_u32_e32 v52, vcc, s33, v52
	s_nop 1
	v_subb_co_u32_e32 v53, vcc, v53, v5, vcc
	v_or_b32_e32 v5, s23, v53
	v_cmp_ne_u64_e32 vcc, 0, v[4:5]
	s_and_saveexec_b64 s[18:19], vcc
	s_xor_b64 s[94:95], exec, s[18:19]
	s_cbranch_execz .LBB70_12
; %bb.11:                               ;   in Loop: Header=BB70_10 Depth=2
	s_ashr_i32 s96, s23, 31
	s_add_u32 s18, s22, s96
	s_mov_b32 s97, s96
	s_addc_u32 s19, s23, s96
	s_xor_b64 s[98:99], s[18:19], s[96:97]
	v_cvt_f32_u32_e32 v5, s98
	v_cvt_f32_u32_e32 v54, s99
	s_sub_u32 s18, 0, s98
	s_subb_u32 s19, 0, s99
	v_mov_b32_e32 v63, v4
	v_fmac_f32_e32 v5, 0x4f800000, v54
	v_rcp_f32_e32 v5, v5
	s_nop 0
	v_mul_f32_e32 v5, 0x5f7ffffc, v5
	v_mul_f32_e32 v54, 0x2f800000, v5
	v_trunc_f32_e32 v54, v54
	v_fmac_f32_e32 v5, 0xcf800000, v54
	v_cvt_u32_f32_e32 v61, v54
	v_cvt_u32_f32_e32 v5, v5
	v_mul_lo_u32 v54, s18, v61
	v_mul_hi_u32 v62, s18, v5
	v_mul_lo_u32 v55, s19, v5
	v_add_u32_e32 v54, v62, v54
	v_mul_lo_u32 v64, s18, v5
	v_add_u32_e32 v65, v54, v55
	v_mul_hi_u32 v55, v5, v65
	v_mul_lo_u32 v54, v5, v65
	v_mul_hi_u32 v62, v5, v64
	v_lshl_add_u64 v[54:55], v[62:63], 0, v[54:55]
	v_mul_hi_u32 v63, v61, v64
	v_mul_lo_u32 v64, v61, v64
	v_add_co_u32_e32 v54, vcc, v54, v64
	v_mul_hi_u32 v62, v61, v65
	s_nop 0
	v_addc_co_u32_e32 v54, vcc, v55, v63, vcc
	v_mov_b32_e32 v55, v4
	s_nop 0
	v_addc_co_u32_e32 v63, vcc, 0, v62, vcc
	v_mul_lo_u32 v62, v61, v65
	v_lshl_add_u64 v[54:55], v[54:55], 0, v[62:63]
	v_add_co_u32_e32 v5, vcc, v5, v54
	v_mul_lo_u32 v62, s18, v5
	s_nop 0
	v_addc_co_u32_e32 v61, vcc, v61, v55, vcc
	v_mul_lo_u32 v54, s18, v61
	v_mul_hi_u32 v55, s18, v5
	v_add_u32_e32 v54, v55, v54
	v_mul_lo_u32 v55, s19, v5
	v_add_u32_e32 v64, v54, v55
	v_mul_hi_u32 v66, v61, v62
	v_mul_lo_u32 v67, v61, v62
	v_mul_hi_u32 v55, v5, v64
	v_mul_lo_u32 v54, v5, v64
	v_mul_hi_u32 v62, v5, v62
	v_mov_b32_e32 v63, v4
	v_lshl_add_u64 v[54:55], v[62:63], 0, v[54:55]
	v_add_co_u32_e32 v54, vcc, v54, v67
	v_mul_hi_u32 v65, v61, v64
	s_nop 0
	v_addc_co_u32_e32 v54, vcc, v55, v66, vcc
	v_mul_lo_u32 v62, v61, v64
	s_nop 0
	v_addc_co_u32_e32 v63, vcc, 0, v65, vcc
	v_mov_b32_e32 v55, v4
	v_lshl_add_u64 v[54:55], v[54:55], 0, v[62:63]
	v_add_co_u32_e32 v5, vcc, v5, v54
	v_ashrrev_i32_e32 v54, 31, v53
	s_nop 0
	v_addc_co_u32_e32 v61, vcc, v61, v55, vcc
	v_mov_b32_e32 v55, v54
	v_lshl_add_u64 v[62:63], v[52:53], 0, v[54:55]
	v_xor_b32_e32 v55, v62, v54
	v_xor_b32_e32 v53, v63, v54
	v_mad_u64_u32 v[62:63], s[18:19], v55, v61, 0
	v_mul_hi_u32 v64, v55, v5
	v_mov_b32_e32 v65, v4
	v_lshl_add_u64 v[62:63], v[64:65], 0, v[62:63]
	v_mad_u64_u32 v[66:67], s[18:19], v53, v5, 0
	v_add_co_u32_e32 v5, vcc, v62, v66
	v_mad_u64_u32 v[64:65], s[18:19], v53, v61, 0
	s_nop 0
	v_addc_co_u32_e32 v62, vcc, v63, v67, vcc
	v_mov_b32_e32 v63, v4
	s_nop 0
	v_addc_co_u32_e32 v65, vcc, 0, v65, vcc
	v_lshl_add_u64 v[62:63], v[62:63], 0, v[64:65]
	v_mul_lo_u32 v5, s99, v62
	v_mul_lo_u32 v61, s98, v63
	v_mad_u64_u32 v[64:65], s[18:19], s98, v62, 0
	v_add3_u32 v5, v65, v61, v5
	v_sub_u32_e32 v61, v53, v5
	v_mov_b32_e32 v65, s99
	v_sub_co_u32_e32 v55, vcc, v55, v64
	v_lshl_add_u64 v[66:67], v[62:63], 0, 1
	s_nop 0
	v_subb_co_u32_e64 v61, s[18:19], v61, v65, vcc
	v_subrev_co_u32_e64 v64, s[18:19], s98, v55
	v_subb_co_u32_e32 v5, vcc, v53, v5, vcc
	s_nop 0
	v_subbrev_co_u32_e64 v61, s[18:19], 0, v61, s[18:19]
	v_cmp_le_u32_e64 s[18:19], s99, v61
	v_cmp_le_u32_e32 vcc, s99, v5
	s_nop 0
	v_cndmask_b32_e64 v65, 0, -1, s[18:19]
	v_cmp_le_u32_e64 s[18:19], s98, v64
	v_cndmask_b32_e64 v53, 0, -1, vcc
	v_cmp_le_u32_e32 vcc, s98, v55
	v_cndmask_b32_e64 v64, 0, -1, s[18:19]
	v_cmp_eq_u32_e64 s[18:19], s99, v61
	v_cndmask_b32_e64 v55, 0, -1, vcc
	v_cmp_eq_u32_e32 vcc, s99, v5
	v_cndmask_b32_e64 v61, v65, v64, s[18:19]
	v_lshl_add_u64 v[64:65], v[62:63], 0, 2
	v_cmp_ne_u32_e64 s[18:19], 0, v61
	v_cndmask_b32_e32 v5, v53, v55, vcc
	v_cmp_ne_u32_e32 vcc, 0, v5
	v_cndmask_b32_e64 v53, v66, v64, s[18:19]
	v_cndmask_b32_e64 v61, v67, v65, s[18:19]
	v_cndmask_b32_e32 v53, v62, v53, vcc
	v_xor_b32_e32 v55, s96, v54
	v_cndmask_b32_e32 v5, v63, v61, vcc
	v_xor_b32_e32 v53, v53, v55
	v_xor_b32_e32 v5, v5, v55
	v_sub_co_u32_e32 v54, vcc, v53, v55
	s_nop 1
	v_subb_co_u32_e32 v55, vcc, v5, v55, vcc
.LBB70_12:                              ;   in Loop: Header=BB70_10 Depth=2
	s_andn2_saveexec_b64 s[18:19], s[94:95]
	s_cbranch_execz .LBB70_14
; %bb.13:                               ;   in Loop: Header=BB70_10 Depth=2
	v_cvt_f32_u32_e32 v5, s22
	s_sub_i32 s71, 0, s22
	v_rcp_iflag_f32_e32 v5, v5
	s_nop 0
	v_mul_f32_e32 v5, 0x4f7ffffe, v5
	v_cvt_u32_f32_e32 v5, v5
	v_mul_lo_u32 v53, s71, v5
	v_mul_hi_u32 v53, v5, v53
	v_add_u32_e32 v5, v5, v53
	v_mul_hi_u32 v5, v52, v5
	v_mul_lo_u32 v53, v5, s22
	v_sub_u32_e32 v53, v52, v53
	v_add_u32_e32 v54, 1, v5
	v_subrev_u32_e32 v55, s22, v53
	v_cmp_le_u32_e32 vcc, s22, v53
	s_nop 1
	v_cndmask_b32_e32 v53, v53, v55, vcc
	v_cndmask_b32_e32 v5, v5, v54, vcc
	v_add_u32_e32 v54, 1, v5
	v_cmp_le_u32_e32 vcc, s22, v53
	v_mov_b32_e32 v55, v4
	s_nop 0
	v_cndmask_b32_e32 v54, v5, v54, vcc
.LBB70_14:                              ;   in Loop: Header=BB70_10 Depth=2
	s_or_b64 exec, exec, s[18:19]
	v_cmp_eq_u64_e32 vcc, s[88:89], v[54:55]
	v_cmp_ne_u64_e64 s[18:19], s[88:89], v[54:55]
	s_and_saveexec_b64 s[94:95], s[18:19]
	s_xor_b64 s[94:95], exec, s[94:95]
; %bb.15:                               ;   in Loop: Header=BB70_10 Depth=2
	v_cmp_lt_i64_e64 s[18:19], v[54:55], v[44:45]
                                        ; implicit-def: $vgpr52_vgpr53
                                        ; implicit-def: $vgpr50_vgpr51
	s_nop 1
	v_cndmask_b32_e64 v45, v45, v55, s[18:19]
	v_cndmask_b32_e64 v44, v44, v54, s[18:19]
; %bb.16:                               ;   in Loop: Header=BB70_10 Depth=2
	s_or_saveexec_b64 s[18:19], s[94:95]
	v_mov_b64_e32 v[54:55], v[42:43]
	s_xor_b64 exec, exec, s[18:19]
	s_cbranch_execz .LBB70_9
; %bb.17:                               ;   in Loop: Header=BB70_10 Depth=2
	global_load_dword v5, v[46:47], off
	v_subrev_u32_e32 v52, s70, v52
	v_add_lshl_u32 v52, v56, v52, 2
	v_mov_b64_e32 v[54:55], v[50:51]
	ds_write_b8 v4, v60 offset:16384
	s_waitcnt vmcnt(0)
	ds_write_b32 v52, v5
	s_branch .LBB70_9
.LBB70_18:                              ;   in Loop: Header=BB70_7 Depth=1
	s_or_b64 exec, exec, s[92:93]
.LBB70_19:                              ;   in Loop: Header=BB70_7 Depth=1
	s_or_b64 exec, exec, s[90:91]
	v_mov_b32_dpp v42, v54 row_shr:1 row_mask:0xf bank_mask:0xf
	v_mov_b32_dpp v43, v55 row_shr:1 row_mask:0xf bank_mask:0xf
	v_cmp_lt_i64_e32 vcc, v[42:43], v[54:55]
	s_waitcnt lgkmcnt(0)
	s_barrier
	v_cndmask_b32_e32 v43, v55, v43, vcc
	v_cndmask_b32_e32 v42, v54, v42, vcc
	s_nop 0
	v_mov_b32_dpp v47, v43 row_shr:2 row_mask:0xf bank_mask:0xf
	v_mov_b32_dpp v46, v42 row_shr:2 row_mask:0xf bank_mask:0xf
	v_cmp_lt_i64_e32 vcc, v[46:47], v[42:43]
	s_mov_b64 s[18:19], 0
	s_nop 0
	v_cndmask_b32_e32 v5, v43, v47, vcc
	ds_read_u8 v47, v4 offset:16384
	v_cndmask_b32_e32 v42, v42, v46, vcc
	ds_bpermute_b32 v42, v57, v42
	ds_bpermute_b32 v43, v57, v5
	s_waitcnt lgkmcnt(2)
	v_cmp_eq_u32_e32 vcc, 0, v47
	s_cbranch_vccnz .LBB70_38
; %bb.20:                               ;   in Loop: Header=BB70_7 Depth=1
	s_add_u32 s18, s88, s66
	s_addc_u32 s19, s89, 0
	s_lshl_b64 s[70:71], s[30:31], 3
	s_add_u32 s70, s24, s70
	v_mov_b64_e32 v[46:47], s[18:19]
	s_mul_i32 s18, s69, s31
	s_mul_hi_u32 s19, s69, s30
	s_addc_u32 s71, s25, s71
	s_add_i32 s18, s19, s18
	s_mul_i32 s19, s68, s30
	s_add_i32 s19, s18, s19
	s_mul_i32 s18, s69, s30
	s_lshl_b64 s[18:19], s[18:19], 2
	global_store_dwordx2 v4, v[46:47], s[70:71]
	v_lshl_add_u64 v[46:47], v[6:7], 0, s[18:19]
	v_lshl_add_u64 v[48:49], v[10:11], 0, s[18:19]
	s_and_saveexec_b64 s[18:19], s[34:35]
	s_cbranch_execnz .LBB70_54
; %bb.21:                               ;   in Loop: Header=BB70_7 Depth=1
	s_or_b64 exec, exec, s[18:19]
	s_and_saveexec_b64 s[18:19], s[36:37]
	s_cbranch_execnz .LBB70_55
.LBB70_22:                              ;   in Loop: Header=BB70_7 Depth=1
	s_or_b64 exec, exec, s[18:19]
	s_and_saveexec_b64 s[18:19], s[38:39]
	s_cbranch_execnz .LBB70_56
.LBB70_23:                              ;   in Loop: Header=BB70_7 Depth=1
	s_or_b64 exec, exec, s[18:19]
	s_and_saveexec_b64 s[18:19], s[40:41]
	s_cbranch_execnz .LBB70_57
.LBB70_24:                              ;   in Loop: Header=BB70_7 Depth=1
	s_or_b64 exec, exec, s[18:19]
	s_and_saveexec_b64 s[18:19], s[42:43]
	s_cbranch_execnz .LBB70_58
.LBB70_25:                              ;   in Loop: Header=BB70_7 Depth=1
	s_or_b64 exec, exec, s[18:19]
	s_and_saveexec_b64 s[18:19], s[44:45]
	s_cbranch_execnz .LBB70_59
.LBB70_26:                              ;   in Loop: Header=BB70_7 Depth=1
	s_or_b64 exec, exec, s[18:19]
	s_and_saveexec_b64 s[18:19], s[46:47]
	s_cbranch_execnz .LBB70_60
.LBB70_27:                              ;   in Loop: Header=BB70_7 Depth=1
	s_or_b64 exec, exec, s[18:19]
	s_and_saveexec_b64 s[18:19], s[48:49]
	s_cbranch_execnz .LBB70_61
.LBB70_28:                              ;   in Loop: Header=BB70_7 Depth=1
	s_or_b64 exec, exec, s[18:19]
	s_and_saveexec_b64 s[18:19], s[50:51]
	s_cbranch_execnz .LBB70_62
.LBB70_29:                              ;   in Loop: Header=BB70_7 Depth=1
	s_or_b64 exec, exec, s[18:19]
	s_and_saveexec_b64 s[18:19], s[52:53]
	s_cbranch_execnz .LBB70_63
.LBB70_30:                              ;   in Loop: Header=BB70_7 Depth=1
	s_or_b64 exec, exec, s[18:19]
	s_and_saveexec_b64 s[18:19], s[54:55]
	s_cbranch_execnz .LBB70_64
.LBB70_31:                              ;   in Loop: Header=BB70_7 Depth=1
	s_or_b64 exec, exec, s[18:19]
	s_and_saveexec_b64 s[18:19], s[56:57]
	s_cbranch_execnz .LBB70_65
.LBB70_32:                              ;   in Loop: Header=BB70_7 Depth=1
	s_or_b64 exec, exec, s[18:19]
	s_and_saveexec_b64 s[18:19], s[58:59]
	s_cbranch_execnz .LBB70_66
.LBB70_33:                              ;   in Loop: Header=BB70_7 Depth=1
	s_or_b64 exec, exec, s[18:19]
	s_and_saveexec_b64 s[18:19], s[60:61]
	s_cbranch_execnz .LBB70_67
.LBB70_34:                              ;   in Loop: Header=BB70_7 Depth=1
	s_or_b64 exec, exec, s[18:19]
	s_and_saveexec_b64 s[18:19], s[62:63]
	s_cbranch_execnz .LBB70_68
.LBB70_35:                              ;   in Loop: Header=BB70_7 Depth=1
	s_or_b64 exec, exec, s[18:19]
	s_and_saveexec_b64 s[18:19], s[64:65]
	s_cbranch_execz .LBB70_37
.LBB70_36:                              ;   in Loop: Header=BB70_7 Depth=1
	ds_read_b32 v5, v59 offset:240
	v_lshl_add_u64 v[48:49], v[48:49], 0, s[86:87]
	v_lshl_add_u64 v[46:47], v[40:41], 2, v[46:47]
	v_cndmask_b32_e64 v47, v47, v49, s[0:1]
	v_cndmask_b32_e64 v46, v46, v48, s[0:1]
	s_waitcnt lgkmcnt(0)
	global_store_dword v[46:47], v5, off
.LBB70_37:                              ;   in Loop: Header=BB70_7 Depth=1
	s_or_b64 exec, exec, s[18:19]
	s_mov_b64 s[18:19], 1
.LBB70_38:                              ;   in Loop: Header=BB70_7 Depth=1
	s_waitcnt lgkmcnt(0)
	s_barrier
	ds_write_b64 v58, v[44:45]
	s_waitcnt lgkmcnt(0)
	s_barrier
	s_and_saveexec_b64 s[88:89], s[2:3]
	s_cbranch_execz .LBB70_40
; %bb.39:                               ;   in Loop: Header=BB70_7 Depth=1
	ds_read2st64_b64 v[44:47], v58 offset1:2
	s_waitcnt lgkmcnt(0)
	v_cmp_lt_i64_e32 vcc, v[46:47], v[44:45]
	s_nop 1
	v_cndmask_b32_e32 v45, v45, v47, vcc
	v_cndmask_b32_e32 v44, v44, v46, vcc
	ds_write_b64 v58, v[44:45]
.LBB70_40:                              ;   in Loop: Header=BB70_7 Depth=1
	s_or_b64 exec, exec, s[88:89]
	s_waitcnt lgkmcnt(0)
	s_barrier
	s_and_saveexec_b64 s[88:89], s[4:5]
	s_cbranch_execz .LBB70_42
; %bb.41:                               ;   in Loop: Header=BB70_7 Depth=1
	ds_read2st64_b64 v[44:47], v58 offset1:1
	s_waitcnt lgkmcnt(0)
	v_cmp_lt_i64_e32 vcc, v[46:47], v[44:45]
	s_nop 1
	v_cndmask_b32_e32 v45, v45, v47, vcc
	v_cndmask_b32_e32 v44, v44, v46, vcc
	ds_write_b64 v58, v[44:45]
.LBB70_42:                              ;   in Loop: Header=BB70_7 Depth=1
	s_or_b64 exec, exec, s[88:89]
	s_waitcnt lgkmcnt(0)
	s_barrier
	s_and_saveexec_b64 s[88:89], s[6:7]
	s_cbranch_execz .LBB70_44
; %bb.43:                               ;   in Loop: Header=BB70_7 Depth=1
	ds_read2_b64 v[44:47], v58 offset1:32
	s_waitcnt lgkmcnt(0)
	v_cmp_lt_i64_e32 vcc, v[46:47], v[44:45]
	s_nop 1
	v_cndmask_b32_e32 v45, v45, v47, vcc
	v_cndmask_b32_e32 v44, v44, v46, vcc
	ds_write_b64 v58, v[44:45]
.LBB70_44:                              ;   in Loop: Header=BB70_7 Depth=1
	s_or_b64 exec, exec, s[88:89]
	s_waitcnt lgkmcnt(0)
	s_barrier
	s_and_saveexec_b64 s[88:89], s[8:9]
	s_cbranch_execz .LBB70_46
; %bb.45:                               ;   in Loop: Header=BB70_7 Depth=1
	ds_read2_b64 v[44:47], v58 offset1:16
	s_waitcnt lgkmcnt(0)
	v_cmp_lt_i64_e32 vcc, v[46:47], v[44:45]
	s_nop 1
	v_cndmask_b32_e32 v45, v45, v47, vcc
	v_cndmask_b32_e32 v44, v44, v46, vcc
	ds_write_b64 v58, v[44:45]
.LBB70_46:                              ;   in Loop: Header=BB70_7 Depth=1
	;; [unrolled: 14-line block ×5, first 2 shown]
	s_or_b64 exec, exec, s[88:89]
	s_waitcnt lgkmcnt(0)
	s_barrier
	s_and_saveexec_b64 s[88:89], s[16:17]
	s_cbranch_execz .LBB70_6
; %bb.53:                               ;   in Loop: Header=BB70_7 Depth=1
	ds_read_b128 v[44:47], v4
	s_waitcnt lgkmcnt(0)
	v_cmp_lt_i64_e32 vcc, v[46:47], v[44:45]
	s_nop 1
	v_cndmask_b32_e32 v45, v45, v47, vcc
	v_cndmask_b32_e32 v44, v44, v46, vcc
	ds_write_b64 v4, v[44:45]
	s_branch .LBB70_6
.LBB70_54:                              ;   in Loop: Header=BB70_7 Depth=1
	ds_read_b32 v5, v59
	v_lshl_add_u64 v[50:51], v[0:1], 2, v[46:47]
	v_cndmask_b32_e64 v51, v51, v49, s[0:1]
	v_cndmask_b32_e64 v50, v50, v48, s[0:1]
	s_waitcnt lgkmcnt(0)
	global_store_dword v[50:51], v5, off
	s_or_b64 exec, exec, s[18:19]
	s_and_saveexec_b64 s[18:19], s[36:37]
	s_cbranch_execz .LBB70_22
.LBB70_55:                              ;   in Loop: Header=BB70_7 Depth=1
	ds_read_b32 v5, v59 offset:16
	v_lshl_add_u64 v[50:51], v[48:49], 0, 16
	v_lshl_add_u64 v[52:53], v[12:13], 2, v[46:47]
	v_cndmask_b32_e64 v51, v53, v51, s[0:1]
	v_cndmask_b32_e64 v50, v52, v50, s[0:1]
	s_waitcnt lgkmcnt(0)
	global_store_dword v[50:51], v5, off
	s_or_b64 exec, exec, s[18:19]
	s_and_saveexec_b64 s[18:19], s[38:39]
	s_cbranch_execz .LBB70_23
.LBB70_56:                              ;   in Loop: Header=BB70_7 Depth=1
	ds_read_b32 v5, v59 offset:32
	v_lshl_add_u64 v[50:51], v[48:49], 0, 32
	v_lshl_add_u64 v[52:53], v[14:15], 2, v[46:47]
	v_cndmask_b32_e64 v51, v53, v51, s[0:1]
	v_cndmask_b32_e64 v50, v52, v50, s[0:1]
	s_waitcnt lgkmcnt(0)
	global_store_dword v[50:51], v5, off
	s_or_b64 exec, exec, s[18:19]
	s_and_saveexec_b64 s[18:19], s[40:41]
	s_cbranch_execz .LBB70_24
.LBB70_57:                              ;   in Loop: Header=BB70_7 Depth=1
	ds_read_b32 v5, v59 offset:48
	v_lshl_add_u64 v[50:51], v[48:49], 0, 48
	v_lshl_add_u64 v[52:53], v[16:17], 2, v[46:47]
	v_cndmask_b32_e64 v51, v53, v51, s[0:1]
	v_cndmask_b32_e64 v50, v52, v50, s[0:1]
	s_waitcnt lgkmcnt(0)
	global_store_dword v[50:51], v5, off
	s_or_b64 exec, exec, s[18:19]
	s_and_saveexec_b64 s[18:19], s[42:43]
	s_cbranch_execz .LBB70_25
.LBB70_58:                              ;   in Loop: Header=BB70_7 Depth=1
	ds_read_b32 v5, v59 offset:64
	v_lshl_add_u64 v[50:51], v[48:49], 0, 64
	v_lshl_add_u64 v[52:53], v[18:19], 2, v[46:47]
	v_cndmask_b32_e64 v51, v53, v51, s[0:1]
	v_cndmask_b32_e64 v50, v52, v50, s[0:1]
	s_waitcnt lgkmcnt(0)
	global_store_dword v[50:51], v5, off
	s_or_b64 exec, exec, s[18:19]
	s_and_saveexec_b64 s[18:19], s[44:45]
	s_cbranch_execz .LBB70_26
.LBB70_59:                              ;   in Loop: Header=BB70_7 Depth=1
	ds_read_b32 v5, v59 offset:80
	s_mov_b64 s[70:71], 0x50
	v_lshl_add_u64 v[50:51], v[48:49], 0, s[70:71]
	v_lshl_add_u64 v[52:53], v[20:21], 2, v[46:47]
	v_cndmask_b32_e64 v51, v53, v51, s[0:1]
	v_cndmask_b32_e64 v50, v52, v50, s[0:1]
	s_waitcnt lgkmcnt(0)
	global_store_dword v[50:51], v5, off
	s_or_b64 exec, exec, s[18:19]
	s_and_saveexec_b64 s[18:19], s[46:47]
	s_cbranch_execz .LBB70_27
.LBB70_60:                              ;   in Loop: Header=BB70_7 Depth=1
	ds_read_b32 v5, v59 offset:96
	s_mov_b64 s[70:71], 0x60
	v_lshl_add_u64 v[50:51], v[48:49], 0, s[70:71]
	v_lshl_add_u64 v[52:53], v[22:23], 2, v[46:47]
	v_cndmask_b32_e64 v51, v53, v51, s[0:1]
	v_cndmask_b32_e64 v50, v52, v50, s[0:1]
	s_waitcnt lgkmcnt(0)
	global_store_dword v[50:51], v5, off
	s_or_b64 exec, exec, s[18:19]
	s_and_saveexec_b64 s[18:19], s[48:49]
	s_cbranch_execz .LBB70_28
.LBB70_61:                              ;   in Loop: Header=BB70_7 Depth=1
	ds_read_b32 v5, v59 offset:112
	s_mov_b64 s[70:71], 0x70
	v_lshl_add_u64 v[50:51], v[48:49], 0, s[70:71]
	v_lshl_add_u64 v[52:53], v[24:25], 2, v[46:47]
	v_cndmask_b32_e64 v51, v53, v51, s[0:1]
	v_cndmask_b32_e64 v50, v52, v50, s[0:1]
	s_waitcnt lgkmcnt(0)
	global_store_dword v[50:51], v5, off
	s_or_b64 exec, exec, s[18:19]
	s_and_saveexec_b64 s[18:19], s[50:51]
	s_cbranch_execz .LBB70_29
.LBB70_62:                              ;   in Loop: Header=BB70_7 Depth=1
	ds_read_b32 v5, v59 offset:128
	v_lshl_add_u64 v[50:51], v[48:49], 0, s[72:73]
	v_lshl_add_u64 v[52:53], v[26:27], 2, v[46:47]
	v_cndmask_b32_e64 v51, v53, v51, s[0:1]
	v_cndmask_b32_e64 v50, v52, v50, s[0:1]
	s_waitcnt lgkmcnt(0)
	global_store_dword v[50:51], v5, off
	s_or_b64 exec, exec, s[18:19]
	s_and_saveexec_b64 s[18:19], s[52:53]
	s_cbranch_execz .LBB70_30
.LBB70_63:                              ;   in Loop: Header=BB70_7 Depth=1
	ds_read_b32 v5, v59 offset:144
	v_lshl_add_u64 v[50:51], v[48:49], 0, s[74:75]
	v_lshl_add_u64 v[52:53], v[28:29], 2, v[46:47]
	v_cndmask_b32_e64 v51, v53, v51, s[0:1]
	v_cndmask_b32_e64 v50, v52, v50, s[0:1]
	s_waitcnt lgkmcnt(0)
	global_store_dword v[50:51], v5, off
	s_or_b64 exec, exec, s[18:19]
	s_and_saveexec_b64 s[18:19], s[54:55]
	s_cbranch_execz .LBB70_31
.LBB70_64:                              ;   in Loop: Header=BB70_7 Depth=1
	ds_read_b32 v5, v59 offset:160
	v_lshl_add_u64 v[50:51], v[48:49], 0, s[76:77]
	v_lshl_add_u64 v[52:53], v[30:31], 2, v[46:47]
	v_cndmask_b32_e64 v51, v53, v51, s[0:1]
	v_cndmask_b32_e64 v50, v52, v50, s[0:1]
	s_waitcnt lgkmcnt(0)
	global_store_dword v[50:51], v5, off
	s_or_b64 exec, exec, s[18:19]
	s_and_saveexec_b64 s[18:19], s[56:57]
	s_cbranch_execz .LBB70_32
.LBB70_65:                              ;   in Loop: Header=BB70_7 Depth=1
	ds_read_b32 v5, v59 offset:176
	v_lshl_add_u64 v[50:51], v[48:49], 0, s[78:79]
	v_lshl_add_u64 v[52:53], v[32:33], 2, v[46:47]
	v_cndmask_b32_e64 v51, v53, v51, s[0:1]
	v_cndmask_b32_e64 v50, v52, v50, s[0:1]
	s_waitcnt lgkmcnt(0)
	global_store_dword v[50:51], v5, off
	s_or_b64 exec, exec, s[18:19]
	s_and_saveexec_b64 s[18:19], s[58:59]
	s_cbranch_execz .LBB70_33
.LBB70_66:                              ;   in Loop: Header=BB70_7 Depth=1
	ds_read_b32 v5, v59 offset:192
	v_lshl_add_u64 v[50:51], v[48:49], 0, s[80:81]
	v_lshl_add_u64 v[52:53], v[34:35], 2, v[46:47]
	v_cndmask_b32_e64 v51, v53, v51, s[0:1]
	v_cndmask_b32_e64 v50, v52, v50, s[0:1]
	s_waitcnt lgkmcnt(0)
	global_store_dword v[50:51], v5, off
	s_or_b64 exec, exec, s[18:19]
	s_and_saveexec_b64 s[18:19], s[60:61]
	s_cbranch_execz .LBB70_34
.LBB70_67:                              ;   in Loop: Header=BB70_7 Depth=1
	ds_read_b32 v5, v59 offset:208
	v_lshl_add_u64 v[50:51], v[48:49], 0, s[82:83]
	v_lshl_add_u64 v[52:53], v[36:37], 2, v[46:47]
	v_cndmask_b32_e64 v51, v53, v51, s[0:1]
	v_cndmask_b32_e64 v50, v52, v50, s[0:1]
	s_waitcnt lgkmcnt(0)
	global_store_dword v[50:51], v5, off
	s_or_b64 exec, exec, s[18:19]
	s_and_saveexec_b64 s[18:19], s[62:63]
	s_cbranch_execz .LBB70_35
.LBB70_68:                              ;   in Loop: Header=BB70_7 Depth=1
	ds_read_b32 v5, v59 offset:224
	v_lshl_add_u64 v[50:51], v[48:49], 0, s[84:85]
	v_lshl_add_u64 v[52:53], v[38:39], 2, v[46:47]
	v_cndmask_b32_e64 v51, v53, v51, s[0:1]
	v_cndmask_b32_e64 v50, v52, v50, s[0:1]
	s_waitcnt lgkmcnt(0)
	global_store_dword v[50:51], v5, off
	s_or_b64 exec, exec, s[18:19]
	s_and_saveexec_b64 s[18:19], s[64:65]
	s_cbranch_execnz .LBB70_36
	s_branch .LBB70_37
.LBB70_69:
	s_endpgm
	.section	.rodata,"a",@progbits
	.p2align	6, 0x0
	.amdhsa_kernel _ZN9rocsparseL38csr2bsr_block_per_row_multipass_kernelILj256ELj64EfllEEv20rocsparse_direction_T3_S2_S2_S2_S2_21rocsparse_index_base_PKT1_PKT2_PKS2_S3_PS4_PS7_PS2_
		.amdhsa_group_segment_fixed_size 16388
		.amdhsa_private_segment_fixed_size 0
		.amdhsa_kernarg_size 112
		.amdhsa_user_sgpr_count 2
		.amdhsa_user_sgpr_dispatch_ptr 0
		.amdhsa_user_sgpr_queue_ptr 0
		.amdhsa_user_sgpr_kernarg_segment_ptr 1
		.amdhsa_user_sgpr_dispatch_id 0
		.amdhsa_user_sgpr_kernarg_preload_length 0
		.amdhsa_user_sgpr_kernarg_preload_offset 0
		.amdhsa_user_sgpr_private_segment_size 0
		.amdhsa_uses_dynamic_stack 0
		.amdhsa_enable_private_segment 0
		.amdhsa_system_sgpr_workgroup_id_x 1
		.amdhsa_system_sgpr_workgroup_id_y 0
		.amdhsa_system_sgpr_workgroup_id_z 0
		.amdhsa_system_sgpr_workgroup_info 0
		.amdhsa_system_vgpr_workitem_id 0
		.amdhsa_next_free_vgpr 68
		.amdhsa_next_free_sgpr 100
		.amdhsa_accum_offset 68
		.amdhsa_reserve_vcc 1
		.amdhsa_float_round_mode_32 0
		.amdhsa_float_round_mode_16_64 0
		.amdhsa_float_denorm_mode_32 3
		.amdhsa_float_denorm_mode_16_64 3
		.amdhsa_dx10_clamp 1
		.amdhsa_ieee_mode 1
		.amdhsa_fp16_overflow 0
		.amdhsa_tg_split 0
		.amdhsa_exception_fp_ieee_invalid_op 0
		.amdhsa_exception_fp_denorm_src 0
		.amdhsa_exception_fp_ieee_div_zero 0
		.amdhsa_exception_fp_ieee_overflow 0
		.amdhsa_exception_fp_ieee_underflow 0
		.amdhsa_exception_fp_ieee_inexact 0
		.amdhsa_exception_int_div_zero 0
	.end_amdhsa_kernel
	.section	.text._ZN9rocsparseL38csr2bsr_block_per_row_multipass_kernelILj256ELj64EfllEEv20rocsparse_direction_T3_S2_S2_S2_S2_21rocsparse_index_base_PKT1_PKT2_PKS2_S3_PS4_PS7_PS2_,"axG",@progbits,_ZN9rocsparseL38csr2bsr_block_per_row_multipass_kernelILj256ELj64EfllEEv20rocsparse_direction_T3_S2_S2_S2_S2_21rocsparse_index_base_PKT1_PKT2_PKS2_S3_PS4_PS7_PS2_,comdat
.Lfunc_end70:
	.size	_ZN9rocsparseL38csr2bsr_block_per_row_multipass_kernelILj256ELj64EfllEEv20rocsparse_direction_T3_S2_S2_S2_S2_21rocsparse_index_base_PKT1_PKT2_PKS2_S3_PS4_PS7_PS2_, .Lfunc_end70-_ZN9rocsparseL38csr2bsr_block_per_row_multipass_kernelILj256ELj64EfllEEv20rocsparse_direction_T3_S2_S2_S2_S2_21rocsparse_index_base_PKT1_PKT2_PKS2_S3_PS4_PS7_PS2_
                                        ; -- End function
	.section	.AMDGPU.csdata,"",@progbits
; Kernel info:
; codeLenInByte = 4416
; NumSgprs: 106
; NumVgprs: 68
; NumAgprs: 0
; TotalNumVgprs: 68
; ScratchSize: 0
; MemoryBound: 0
; FloatMode: 240
; IeeeMode: 1
; LDSByteSize: 16388 bytes/workgroup (compile time only)
; SGPRBlocks: 13
; VGPRBlocks: 8
; NumSGPRsForWavesPerEU: 106
; NumVGPRsForWavesPerEU: 68
; AccumOffset: 68
; Occupancy: 3
; WaveLimiterHint : 1
; COMPUTE_PGM_RSRC2:SCRATCH_EN: 0
; COMPUTE_PGM_RSRC2:USER_SGPR: 2
; COMPUTE_PGM_RSRC2:TRAP_HANDLER: 0
; COMPUTE_PGM_RSRC2:TGID_X_EN: 1
; COMPUTE_PGM_RSRC2:TGID_Y_EN: 0
; COMPUTE_PGM_RSRC2:TGID_Z_EN: 0
; COMPUTE_PGM_RSRC2:TIDIG_COMP_CNT: 0
; COMPUTE_PGM_RSRC3_GFX90A:ACCUM_OFFSET: 16
; COMPUTE_PGM_RSRC3_GFX90A:TG_SPLIT: 0
	.section	.text._ZN9rocsparseL21csr2bsr_65_inf_kernelILj32EfllEEv20rocsparse_direction_T2_S2_S2_S2_S2_S2_21rocsparse_index_base_PKT0_PKT1_PKS2_S3_PS4_PS7_PS2_SD_SE_SC_,"axG",@progbits,_ZN9rocsparseL21csr2bsr_65_inf_kernelILj32EfllEEv20rocsparse_direction_T2_S2_S2_S2_S2_S2_21rocsparse_index_base_PKT0_PKT1_PKS2_S3_PS4_PS7_PS2_SD_SE_SC_,comdat
	.globl	_ZN9rocsparseL21csr2bsr_65_inf_kernelILj32EfllEEv20rocsparse_direction_T2_S2_S2_S2_S2_S2_21rocsparse_index_base_PKT0_PKT1_PKS2_S3_PS4_PS7_PS2_SD_SE_SC_ ; -- Begin function _ZN9rocsparseL21csr2bsr_65_inf_kernelILj32EfllEEv20rocsparse_direction_T2_S2_S2_S2_S2_S2_21rocsparse_index_base_PKT0_PKT1_PKS2_S3_PS4_PS7_PS2_SD_SE_SC_
	.p2align	8
	.type	_ZN9rocsparseL21csr2bsr_65_inf_kernelILj32EfllEEv20rocsparse_direction_T2_S2_S2_S2_S2_S2_21rocsparse_index_base_PKT0_PKT1_PKS2_S3_PS4_PS7_PS2_SD_SE_SC_,@function
_ZN9rocsparseL21csr2bsr_65_inf_kernelILj32EfllEEv20rocsparse_direction_T2_S2_S2_S2_S2_S2_21rocsparse_index_base_PKT0_PKT1_PKS2_S3_PS4_PS7_PS2_SD_SE_SC_: ; @_ZN9rocsparseL21csr2bsr_65_inf_kernelILj32EfllEEv20rocsparse_direction_T2_S2_S2_S2_S2_S2_21rocsparse_index_base_PKT0_PKT1_PKS2_S3_PS4_PS7_PS2_SD_SE_SC_
; %bb.0:
	s_load_dwordx2 s[4:5], s[0:1], 0x18
	s_load_dwordx4 s[8:11], s[0:1], 0x8
	s_mov_b32 s3, 0
	s_mov_b64 s[6:7], 0
	s_waitcnt lgkmcnt(0)
	v_mov_b32_e32 v2, s4
	v_mov_b32_e32 v3, s5
	s_load_dwordx2 s[4:5], s[0:1], 0x78
	s_load_dword s16, s[0:1], 0x58
	v_cmp_ge_i64_e32 vcc, s[2:3], v[2:3]
	s_cbranch_vccnz .LBB71_2
; %bb.1:
	s_load_dwordx2 s[6:7], s[0:1], 0x68
	s_lshl_b64 s[12:13], s[2:3], 3
	s_waitcnt lgkmcnt(0)
	s_add_u32 s6, s6, s12
	s_addc_u32 s7, s7, s13
	s_load_dwordx2 s[6:7], s[6:7], 0x0
	s_waitcnt lgkmcnt(0)
	s_sub_u32 s6, s6, s16
	s_subb_u32 s7, s7, 0
.LBB71_2:
	s_load_dwordx4 s[12:15], s[0:1], 0x28
	s_load_dword s33, s[0:1], 0x38
	v_mov_b32_e32 v1, 0
	s_waitcnt lgkmcnt(0)
	s_mul_i32 s3, s2, s15
	s_mul_hi_u32 s17, s2, s14
	s_mul_i32 s18, s2, s14
	s_add_i32 s19, s17, s3
	s_lshl_b64 s[18:19], s[18:19], 9
	s_add_u32 s4, s4, s18
	s_addc_u32 s5, s5, s19
	v_mad_u64_u32 v[8:9], s[18:19], v0, s14, 0
	v_mov_b32_e32 v2, v9
	v_mad_u64_u32 v[2:3], s[18:19], v0, s15, v[2:3]
	v_mov_b32_e32 v9, v2
	v_lshlrev_b64 v[4:5], 3, v[8:9]
	s_lshl_b64 s[18:19], s[14:15], 8
	v_lshl_add_u64 v[2:3], s[4:5], 0, v[4:5]
	s_add_u32 s4, s4, s18
	s_addc_u32 s5, s5, s19
	v_lshl_add_u64 v[4:5], s[4:5], 0, v[4:5]
	v_cmp_lt_i64_e64 s[4:5], s[14:15], 1
	v_cmp_gt_i64_e64 s[36:37], s[14:15], 0
	s_and_b64 vcc, exec, s[4:5]
	s_cbranch_vccnz .LBB71_7
; %bb.3:
	s_load_dwordx2 s[4:5], s[0:1], 0x48
	v_mov_b32_e32 v6, s12
	s_mul_i32 s17, s2, s13
	s_mul_hi_u32 s3, s2, s12
	v_mad_u64_u32 v[6:7], s[20:21], s2, v6, v[0:1]
	s_add_i32 s19, s3, s17
	s_mov_b32 s3, 0
	v_add_u32_e32 v7, s17, v7
	s_waitcnt lgkmcnt(0)
	v_lshl_add_u64 v[6:7], v[6:7], 3, s[4:5]
	s_mov_b32 s4, s3
	s_mov_b32 s5, s3
	s_mul_i32 s18, s2, s12
	v_lshl_add_u64 v[6:7], v[6:7], 0, 8
	v_mov_b64_e32 v[10:11], s[4:5]
	s_mov_b64 s[20:21], 0x100
	v_mov_b64_e32 v[12:13], v[4:5]
	v_mov_b64_e32 v[14:15], v[2:3]
	;; [unrolled: 1-line block ×3, first 2 shown]
	s_mov_b64 s[22:23], s[14:15]
	s_branch .LBB71_5
.LBB71_4:                               ;   in Loop: Header=BB71_5 Depth=1
	s_or_b64 exec, exec, s[4:5]
	s_add_u32 s22, s22, -1
	s_addc_u32 s23, s23, -1
	v_lshl_add_u64 v[16:17], v[16:17], 0, 32
	v_lshl_add_u64 v[14:15], v[14:15], 0, 8
	;; [unrolled: 1-line block ×3, first 2 shown]
	s_cmp_eq_u64 s[22:23], 0
	v_lshl_add_u64 v[12:13], v[12:13], 0, 8
	s_cbranch_scc1 .LBB71_7
.LBB71_5:                               ; =>This Inner Loop Header: Depth=1
	v_lshl_add_u64 v[18:19], s[18:19], 0, v[16:17]
	v_cmp_gt_i64_e32 vcc, s[8:9], v[18:19]
	v_cmp_gt_i64_e64 s[4:5], s[12:13], v[16:17]
	s_and_b64 s[24:25], vcc, s[4:5]
	global_store_dwordx2 v[14:15], v[10:11], off
	global_store_dwordx2 v[12:13], v[10:11], off
	s_and_saveexec_b64 s[4:5], s[24:25]
	s_cbranch_execz .LBB71_4
; %bb.6:                                ;   in Loop: Header=BB71_5 Depth=1
	global_load_dwordx4 v[18:21], v[6:7], off offset:-8
	v_mov_b32_e32 v22, s3
	s_waitcnt vmcnt(0)
	v_subrev_co_u32_e32 v18, vcc, s33, v18
	s_nop 1
	v_subb_co_u32_e32 v19, vcc, v19, v22, vcc
	v_subrev_co_u32_e32 v20, vcc, s33, v20
	s_nop 1
	v_subb_co_u32_e32 v21, vcc, v21, v22, vcc
	global_store_dwordx2 v[14:15], v[18:19], off
	global_store_dwordx2 v[12:13], v[20:21], off
	s_branch .LBB71_4
.LBB71_7:
	v_cmp_lt_i64_e64 s[4:5], s[10:11], 1
	s_and_b64 vcc, exec, s[4:5]
	s_cbranch_vccnz .LBB71_52
; %bb.8:
	s_load_dwordx4 s[20:23], s[0:1], 0x80
	s_load_dwordx2 s[4:5], s[0:1], 0x70
	s_lshl_b64 s[8:9], s[14:15], 5
	s_mul_i32 s3, s9, s2
	s_mul_hi_u32 s9, s8, s2
	s_add_i32 s3, s9, s3
	s_mul_i32 s2, s8, s2
	s_lshl_b64 s[8:9], s[2:3], 3
	s_waitcnt lgkmcnt(0)
	s_add_u32 s8, s20, s8
	s_addc_u32 s9, s21, s9
	s_lshl_b64 s[2:3], s[2:3], 2
	v_lshl_add_u64 v[6:7], v[8:9], 3, s[8:9]
	s_add_u32 s2, s22, s2
	s_load_dwordx2 s[8:9], s[0:1], 0x60
	s_load_dwordx2 s[18:19], s[0:1], 0x50
	;; [unrolled: 1-line block ×3, first 2 shown]
	s_load_dword s24, s[0:1], 0x0
	s_addc_u32 s3, s23, s3
	v_lshl_add_u64 v[8:9], v[8:9], 2, s[2:3]
	s_lshl_b64 s[2:3], s[6:7], 3
	s_add_u32 s22, s4, s2
	s_addc_u32 s23, s5, s3
	v_mbcnt_lo_u32_b32 v11, -1, 0
	v_mov_b32_e32 v10, 0
	v_mbcnt_hi_u32_b32 v11, -1, v11
	v_mov_b32_e32 v12, 0x7c
	s_waitcnt lgkmcnt(0)
	s_cmp_lg_u32 s24, 0
	s_mov_b32 s48, 0
	v_lshl_or_b32 v38, v11, 2, v12
	s_cselect_b64 s[24:25], -1, 0
	s_add_u32 s26, s6, -1
	v_lshlrev_b32_e32 v12, 2, v0
	v_mov_b32_e32 v13, v10
	v_mov_b64_e32 v[18:19], 0
	v_cndmask_b32_e64 v11, 0, 1, s[36:37]
	v_cmp_eq_u32_e64 s[0:1], 31, v0
	s_mov_b32 s17, s48
	s_addc_u32 s27, s7, -1
	s_lshl_b64 s[28:29], s[12:13], 2
	s_lshl_b64 s[30:31], s[12:13], 7
	v_lshl_add_u64 v[12:13], s[8:9], 0, v[12:13]
	s_mov_b64 s[34:35], 0
	v_cmp_ne_u32_e64 s[2:3], 1, v11
	s_mov_b64 s[36:37], 0x80
	v_mov_b64_e32 v[16:17], v[18:19]
	v_mov_b64_e32 v[14:15], v[18:19]
	s_branch .LBB71_10
.LBB71_9:                               ;   in Loop: Header=BB71_10 Depth=1
	s_waitcnt lgkmcnt(2)
	v_lshl_add_u64 v[18:19], v[18:19], 0, 1
	v_cmp_le_i64_e32 vcc, s[10:11], v[18:19]
	s_or_b64 s[34:35], vcc, s[34:35]
	s_andn2_b64 exec, exec, s[34:35]
	s_cbranch_execz .LBB71_52
.LBB71_10:                              ; =>This Loop Header: Depth=1
                                        ;     Child Loop BB71_14 Depth 2
                                        ;       Child Loop BB71_17 Depth 3
                                        ;     Child Loop BB71_33 Depth 2
	s_and_b64 vcc, exec, s[2:3]
	v_mov_b64_e32 v[20:21], s[10:11]
	s_cbranch_vccnz .LBB71_23
; %bb.11:                               ;   in Loop: Header=BB71_10 Depth=1
	s_mov_b64 s[4:5], 0
	v_mov_b64_e32 v[20:21], s[10:11]
	s_branch .LBB71_14
.LBB71_12:                              ;   in Loop: Header=BB71_14 Depth=2
	s_or_b64 exec, exec, s[38:39]
.LBB71_13:                              ;   in Loop: Header=BB71_14 Depth=2
	s_or_b64 exec, exec, s[6:7]
	s_add_u32 s4, s4, 1
	s_addc_u32 s5, s5, 0
	s_cmp_eq_u64 s[4:5], s[14:15]
	s_cbranch_scc1 .LBB71_23
.LBB71_14:                              ;   Parent Loop BB71_10 Depth=1
                                        ; =>  This Loop Header: Depth=2
                                        ;       Child Loop BB71_17 Depth 3
	s_lshl_b64 s[6:7], s[4:5], 3
	v_lshl_add_u64 v[22:23], v[2:3], 0, s[6:7]
	v_lshl_add_u64 v[24:25], v[4:5], 0, s[6:7]
	global_load_dwordx2 v[34:35], v[22:23], off
	global_load_dwordx2 v[32:33], v[24:25], off
	v_lshl_add_u64 v[24:25], s[4:5], 2, v[8:9]
	v_lshl_add_u64 v[26:27], v[6:7], 0, s[6:7]
	v_mov_b64_e32 v[28:29], s[10:11]
	global_store_dword v[24:25], v10, off
	global_store_dwordx2 v[26:27], v[28:29], off
	s_waitcnt vmcnt(2)
	v_cmp_lt_i64_e32 vcc, v[34:35], v[32:33]
	s_and_saveexec_b64 s[6:7], vcc
	s_cbranch_execz .LBB71_13
; %bb.15:                               ;   in Loop: Header=BB71_14 Depth=2
	v_lshl_add_u64 v[36:37], v[34:35], 3, s[18:19]
	s_mov_b64 s[38:39], 0
                                        ; implicit-def: $sgpr40_sgpr41
                                        ; implicit-def: $sgpr44_sgpr45
                                        ; implicit-def: $sgpr42_sgpr43
	s_branch .LBB71_17
.LBB71_16:                              ;   in Loop: Header=BB71_17 Depth=3
	s_or_b64 exec, exec, s[46:47]
	s_and_b64 s[46:47], exec, s[44:45]
	s_or_b64 s[38:39], s[46:47], s[38:39]
	s_andn2_b64 s[40:41], s[40:41], exec
	s_and_b64 s[46:47], s[42:43], exec
	s_or_b64 s[40:41], s[40:41], s[46:47]
	s_andn2_b64 exec, exec, s[38:39]
	s_cbranch_execz .LBB71_19
.LBB71_17:                              ;   Parent Loop BB71_10 Depth=1
                                        ;     Parent Loop BB71_14 Depth=2
                                        ; =>    This Inner Loop Header: Depth=3
	global_load_dwordx2 v[30:31], v[36:37], off
	v_mov_b32_e32 v11, s48
	v_mov_b64_e32 v[28:29], v[34:35]
	s_or_b64 s[42:43], s[42:43], exec
	s_or_b64 s[44:45], s[44:45], exec
                                        ; implicit-def: $vgpr34_vgpr35
	s_waitcnt vmcnt(0)
	v_subrev_co_u32_e32 v30, vcc, s33, v30
	s_nop 1
	v_subb_co_u32_e32 v31, vcc, v31, v11, vcc
	v_cmp_lt_i64_e32 vcc, v[30:31], v[18:19]
	s_and_saveexec_b64 s[46:47], vcc
	s_cbranch_execz .LBB71_16
; %bb.18:                               ;   in Loop: Header=BB71_17 Depth=3
	v_lshl_add_u64 v[34:35], v[28:29], 0, 1
	v_cmp_ge_i64_e32 vcc, v[34:35], v[32:33]
	s_andn2_b64 s[44:45], s[44:45], exec
	s_and_b64 s[50:51], vcc, exec
	v_lshl_add_u64 v[36:37], v[36:37], 0, 8
	s_andn2_b64 s[42:43], s[42:43], exec
	s_or_b64 s[44:45], s[44:45], s[50:51]
	s_branch .LBB71_16
.LBB71_19:                              ;   in Loop: Header=BB71_14 Depth=2
	s_or_b64 exec, exec, s[38:39]
	s_xor_b64 s[38:39], s[40:41], -1
	v_lshl_add_u64 v[32:33], v[28:29], 2, s[20:21]
	s_and_saveexec_b64 s[40:41], s[38:39]
	s_xor_b64 s[38:39], exec, s[40:41]
	s_cbranch_execz .LBB71_21
; %bb.20:                               ;   in Loop: Header=BB71_14 Depth=2
	global_load_dword v11, v[32:33], off
                                        ; implicit-def: $vgpr32_vgpr33
                                        ; implicit-def: $vgpr22_vgpr23
	s_waitcnt vmcnt(0)
	global_store_dword v[24:25], v11, off
	global_store_dwordx2 v[26:27], v[30:31], off
                                        ; implicit-def: $vgpr24_vgpr25
                                        ; implicit-def: $vgpr26_vgpr27
.LBB71_21:                              ;   in Loop: Header=BB71_14 Depth=2
	s_andn2_saveexec_b64 s[38:39], s[38:39]
	s_cbranch_execz .LBB71_12
; %bb.22:                               ;   in Loop: Header=BB71_14 Depth=2
	global_load_dword v11, v[32:33], off
	v_cmp_lt_i64_e32 vcc, v[30:31], v[20:21]
	global_store_dwordx2 v[26:27], v[30:31], off
	s_waitcnt vmcnt(1)
	global_store_dword v[24:25], v11, off
	global_store_dwordx2 v[22:23], v[28:29], off
	v_cndmask_b32_e32 v21, v21, v31, vcc
	v_cndmask_b32_e32 v20, v20, v30, vcc
	s_branch .LBB71_12
.LBB71_23:                              ;   in Loop: Header=BB71_10 Depth=1
	s_nop 0
	v_mov_b32_dpp v18, v20 row_shr:1 row_mask:0xf bank_mask:0xf
	v_mov_b32_dpp v19, v21 row_shr:1 row_mask:0xf bank_mask:0xf
	v_cmp_lt_i64_e32 vcc, v[18:19], v[20:21]
	s_nop 1
	v_cndmask_b32_e32 v19, v21, v19, vcc
	v_cndmask_b32_e32 v18, v20, v18, vcc
	s_nop 0
	v_mov_b32_dpp v21, v19 row_shr:2 row_mask:0xf bank_mask:0xf
	v_mov_b32_dpp v20, v18 row_shr:2 row_mask:0xf bank_mask:0xf
	v_cmp_lt_i64_e32 vcc, v[20:21], v[18:19]
	s_nop 1
	v_cndmask_b32_e32 v19, v19, v21, vcc
	v_cndmask_b32_e32 v18, v18, v20, vcc
	;; [unrolled: 7-line block ×4, first 2 shown]
	s_nop 0
	v_mov_b32_dpp v21, v19 row_bcast:15 row_mask:0xa bank_mask:0xf
	v_mov_b32_dpp v20, v18 row_bcast:15 row_mask:0xa bank_mask:0xf
	v_cmp_lt_i64_e32 vcc, v[20:21], v[18:19]
	s_nop 1
	v_cndmask_b32_e32 v19, v19, v21, vcc
	v_cndmask_b32_e32 v18, v18, v20, vcc
	v_cmp_gt_i64_e32 vcc, s[10:11], v[18:19]
	s_and_b64 s[4:5], s[0:1], vcc
	s_and_saveexec_b64 s[6:7], s[4:5]
	s_cbranch_execz .LBB71_29
; %bb.24:                               ;   in Loop: Header=BB71_10 Depth=1
	v_or_b32_e32 v11, s13, v19
	v_cmp_ne_u64_e32 vcc, 0, v[10:11]
                                        ; implicit-def: $vgpr20_vgpr21
	s_and_saveexec_b64 s[4:5], vcc
	s_xor_b64 s[38:39], exec, s[4:5]
	s_cbranch_execnz .LBB71_50
; %bb.25:                               ;   in Loop: Header=BB71_10 Depth=1
	s_andn2_saveexec_b64 s[4:5], s[38:39]
	s_cbranch_execnz .LBB71_51
.LBB71_26:                              ;   in Loop: Header=BB71_10 Depth=1
	s_or_b64 exec, exec, s[4:5]
	v_cmp_ge_i64_e32 vcc, v[20:21], v[16:17]
	s_and_saveexec_b64 s[4:5], vcc
	s_cbranch_execz .LBB71_28
.LBB71_27:                              ;   in Loop: Header=BB71_10 Depth=1
	v_lshl_add_u64 v[16:17], v[20:21], 0, s[16:17]
	s_waitcnt lgkmcnt(0)
	v_lshl_add_u64 v[22:23], v[14:15], 3, s[22:23]
	global_store_dwordx2 v[22:23], v[16:17], off
	v_lshl_add_u64 v[14:15], v[14:15], 0, 1
	v_lshl_add_u64 v[16:17], v[20:21], 0, 1
.LBB71_28:                              ;   in Loop: Header=BB71_10 Depth=1
	s_or_b64 exec, exec, s[4:5]
.LBB71_29:                              ;   in Loop: Header=BB71_10 Depth=1
	s_or_b64 exec, exec, s[6:7]
	ds_bpermute_b32 v18, v38, v18
	ds_bpermute_b32 v19, v38, v19
	s_waitcnt lgkmcnt(3)
	ds_bpermute_b32 v14, v38, v14
	s_waitcnt lgkmcnt(3)
	ds_bpermute_b32 v15, v38, v15
	s_and_b64 vcc, exec, s[2:3]
	s_cbranch_vccnz .LBB71_9
; %bb.30:                               ;   in Loop: Header=BB71_10 Depth=1
	s_waitcnt lgkmcnt(0)
	v_lshl_add_u64 v[20:21], s[26:27], 0, v[14:15]
	v_mov_b32_e32 v11, v15
	v_mul_lo_u32 v24, v21, s12
	v_mul_lo_u32 v25, v20, s13
	v_mad_u64_u32 v[20:21], s[4:5], v20, s12, 0
	v_mov_b32_e32 v22, v14
	v_mov_b32_e32 v23, v10
	v_add3_u32 v21, v21, v25, v24
	v_lshl_add_u64 v[24:25], s[26:27], 0, v[10:11]
	v_lshl_add_u64 v[22:23], v[24:25], 0, v[22:23]
	v_mul_lo_u32 v11, s12, v23
	v_mul_lo_u32 v24, s13, v22
	v_mad_u64_u32 v[22:23], s[4:5], s12, v22, v[0:1]
	v_add3_u32 v11, v24, v23, v11
	v_mov_b64_e32 v[24:25], s[8:9]
	v_mul_lo_u32 v11, s28, v11
	v_mul_lo_u32 v26, s29, v22
	v_mad_u64_u32 v[22:23], s[4:5], s28, v22, v[24:25]
	v_add3_u32 v23, v26, v23, v11
	v_mov_b64_e32 v[24:25], v[6:7]
	v_mov_b64_e32 v[26:27], v[8:9]
	;; [unrolled: 1-line block ×3, first 2 shown]
	s_mov_b64 s[38:39], s[14:15]
	s_branch .LBB71_33
.LBB71_31:                              ;   in Loop: Header=BB71_33 Depth=2
	s_or_b64 exec, exec, s[4:5]
	global_load_dword v11, v[26:27], off
	v_lshl_add_u64 v[30:31], v[32:33], 2, v[22:23]
	s_waitcnt vmcnt(0)
	global_store_dword v[30:31], v11, off
.LBB71_32:                              ;   in Loop: Header=BB71_33 Depth=2
	s_or_b64 exec, exec, s[40:41]
	s_add_u32 s38, s38, -1
	s_addc_u32 s39, s39, -1
	v_lshl_add_u64 v[22:23], v[22:23], 0, s[30:31]
	v_lshl_add_u64 v[28:29], v[28:29], 0, s[36:37]
	;; [unrolled: 1-line block ×3, first 2 shown]
	s_cmp_eq_u64 s[38:39], 0
	v_lshl_add_u64 v[24:25], v[24:25], 0, 8
	s_cbranch_scc1 .LBB71_9
.LBB71_33:                              ;   Parent Loop BB71_10 Depth=1
                                        ; =>  This Inner Loop Header: Depth=2
	global_load_dwordx2 v[30:31], v[24:25], off
	s_waitcnt vmcnt(0)
	v_cmp_gt_i64_e32 vcc, s[10:11], v[30:31]
	s_and_saveexec_b64 s[40:41], vcc
	s_cbranch_execz .LBB71_32
; %bb.34:                               ;   in Loop: Header=BB71_33 Depth=2
	v_or_b32_e32 v36, s13, v31
	v_mov_b32_e32 v11, v36
	v_cmp_ne_u64_e32 vcc, 0, v[10:11]
                                        ; implicit-def: $vgpr32_vgpr33
	s_and_saveexec_b64 s[4:5], vcc
	s_xor_b64 s[6:7], exec, s[4:5]
	s_cbranch_execz .LBB71_36
; %bb.35:                               ;   in Loop: Header=BB71_33 Depth=2
	s_ashr_i32 s42, s13, 31
	s_add_u32 s4, s12, s42
	s_mov_b32 s43, s42
	s_addc_u32 s5, s13, s42
	s_xor_b64 s[44:45], s[4:5], s[42:43]
	v_cvt_f32_u32_e32 v11, s44
	v_cvt_f32_u32_e32 v32, s45
	s_sub_u32 s4, 0, s44
	s_subb_u32 s5, 0, s45
	v_mov_b32_e32 v35, v10
	v_fmac_f32_e32 v11, 0x4f800000, v32
	v_rcp_f32_e32 v11, v11
	s_nop 0
	v_mul_f32_e32 v11, 0x5f7ffffc, v11
	v_mul_f32_e32 v32, 0x2f800000, v11
	v_trunc_f32_e32 v32, v32
	v_fmac_f32_e32 v11, 0xcf800000, v32
	v_cvt_u32_f32_e32 v37, v32
	v_cvt_u32_f32_e32 v11, v11
	v_mul_lo_u32 v32, s4, v37
	v_mul_hi_u32 v34, s4, v11
	v_mul_lo_u32 v33, s5, v11
	v_add_u32_e32 v32, v34, v32
	v_mul_lo_u32 v39, s4, v11
	v_add_u32_e32 v40, v32, v33
	v_mul_hi_u32 v33, v11, v40
	v_mul_lo_u32 v32, v11, v40
	v_mul_hi_u32 v34, v11, v39
	v_lshl_add_u64 v[32:33], v[34:35], 0, v[32:33]
	v_mul_hi_u32 v35, v37, v39
	v_mul_lo_u32 v39, v37, v39
	v_add_co_u32_e32 v32, vcc, v32, v39
	v_mul_hi_u32 v34, v37, v40
	s_nop 0
	v_addc_co_u32_e32 v32, vcc, v33, v35, vcc
	v_mov_b32_e32 v33, v10
	s_nop 0
	v_addc_co_u32_e32 v35, vcc, 0, v34, vcc
	v_mul_lo_u32 v34, v37, v40
	v_lshl_add_u64 v[32:33], v[32:33], 0, v[34:35]
	v_add_co_u32_e32 v11, vcc, v11, v32
	v_mul_lo_u32 v34, s4, v11
	s_nop 0
	v_addc_co_u32_e32 v37, vcc, v37, v33, vcc
	v_mul_lo_u32 v32, s4, v37
	v_mul_hi_u32 v33, s4, v11
	v_add_u32_e32 v32, v33, v32
	v_mul_lo_u32 v33, s5, v11
	v_add_u32_e32 v39, v32, v33
	v_mul_hi_u32 v41, v37, v34
	v_mul_lo_u32 v42, v37, v34
	v_mul_hi_u32 v33, v11, v39
	v_mul_lo_u32 v32, v11, v39
	v_mul_hi_u32 v34, v11, v34
	v_mov_b32_e32 v35, v10
	v_lshl_add_u64 v[32:33], v[34:35], 0, v[32:33]
	v_add_co_u32_e32 v32, vcc, v32, v42
	v_mul_hi_u32 v40, v37, v39
	s_nop 0
	v_addc_co_u32_e32 v32, vcc, v33, v41, vcc
	v_mul_lo_u32 v34, v37, v39
	s_nop 0
	v_addc_co_u32_e32 v35, vcc, 0, v40, vcc
	v_mov_b32_e32 v33, v10
	v_lshl_add_u64 v[32:33], v[32:33], 0, v[34:35]
	v_add_co_u32_e32 v11, vcc, v11, v32
	v_ashrrev_i32_e32 v32, 31, v31
	s_nop 0
	v_addc_co_u32_e32 v37, vcc, v37, v33, vcc
	v_mov_b32_e32 v33, v32
	v_lshl_add_u64 v[34:35], v[30:31], 0, v[32:33]
	v_xor_b32_e32 v39, v34, v32
	v_xor_b32_e32 v33, v35, v32
	v_mad_u64_u32 v[34:35], s[4:5], v39, v37, 0
	v_mul_hi_u32 v40, v39, v11
	v_mov_b32_e32 v41, v10
	v_lshl_add_u64 v[34:35], v[40:41], 0, v[34:35]
	v_mad_u64_u32 v[42:43], s[4:5], v33, v11, 0
	v_add_co_u32_e32 v11, vcc, v34, v42
	v_mad_u64_u32 v[40:41], s[4:5], v33, v37, 0
	s_nop 0
	v_addc_co_u32_e32 v34, vcc, v35, v43, vcc
	v_mov_b32_e32 v35, v10
	s_nop 0
	v_addc_co_u32_e32 v41, vcc, 0, v41, vcc
	v_lshl_add_u64 v[34:35], v[34:35], 0, v[40:41]
	v_mul_lo_u32 v11, s45, v34
	v_mul_lo_u32 v37, s44, v35
	v_mad_u64_u32 v[40:41], s[4:5], s44, v34, 0
	v_add3_u32 v11, v41, v37, v11
	v_sub_u32_e32 v37, v33, v11
	v_mov_b32_e32 v41, s45
	v_sub_co_u32_e32 v39, vcc, v39, v40
	v_lshl_add_u64 v[42:43], v[34:35], 0, 1
	s_nop 0
	v_subb_co_u32_e64 v37, s[4:5], v37, v41, vcc
	v_subrev_co_u32_e64 v40, s[4:5], s44, v39
	v_subb_co_u32_e32 v11, vcc, v33, v11, vcc
	s_nop 0
	v_subbrev_co_u32_e64 v37, s[4:5], 0, v37, s[4:5]
	v_cmp_le_u32_e64 s[4:5], s45, v37
	v_cmp_le_u32_e32 vcc, s45, v11
	s_nop 0
	v_cndmask_b32_e64 v41, 0, -1, s[4:5]
	v_cmp_le_u32_e64 s[4:5], s44, v40
	v_cndmask_b32_e64 v33, 0, -1, vcc
	v_cmp_le_u32_e32 vcc, s44, v39
	v_cndmask_b32_e64 v40, 0, -1, s[4:5]
	v_cmp_eq_u32_e64 s[4:5], s45, v37
	v_cndmask_b32_e64 v39, 0, -1, vcc
	v_cmp_eq_u32_e32 vcc, s45, v11
	v_cndmask_b32_e64 v37, v41, v40, s[4:5]
	v_lshl_add_u64 v[40:41], v[34:35], 0, 2
	v_cmp_ne_u32_e64 s[4:5], 0, v37
	v_cndmask_b32_e32 v11, v33, v39, vcc
	v_cmp_ne_u32_e32 vcc, 0, v11
	v_cndmask_b32_e64 v33, v42, v40, s[4:5]
	v_cndmask_b32_e64 v37, v43, v41, s[4:5]
	v_cndmask_b32_e32 v33, v34, v33, vcc
	v_xor_b32_e32 v34, s42, v32
	v_cndmask_b32_e32 v11, v35, v37, vcc
	v_xor_b32_e32 v32, v33, v34
	v_xor_b32_e32 v11, v11, v34
	v_sub_co_u32_e32 v32, vcc, v32, v34
	s_nop 1
	v_subb_co_u32_e32 v33, vcc, v11, v34, vcc
.LBB71_36:                              ;   in Loop: Header=BB71_33 Depth=2
	s_andn2_saveexec_b64 s[4:5], s[6:7]
	s_cbranch_execz .LBB71_38
; %bb.37:                               ;   in Loop: Header=BB71_33 Depth=2
	v_cvt_f32_u32_e32 v11, s12
	s_sub_i32 s6, 0, s12
	v_rcp_iflag_f32_e32 v11, v11
	s_nop 0
	v_mul_f32_e32 v11, 0x4f7ffffe, v11
	v_cvt_u32_f32_e32 v11, v11
	v_mul_lo_u32 v32, s6, v11
	v_mul_hi_u32 v32, v11, v32
	v_add_u32_e32 v11, v11, v32
	v_mul_hi_u32 v11, v30, v11
	v_mul_lo_u32 v32, v11, s12
	v_sub_u32_e32 v32, v30, v32
	v_add_u32_e32 v33, 1, v11
	v_subrev_u32_e32 v34, s12, v32
	v_cmp_le_u32_e32 vcc, s12, v32
	s_nop 1
	v_cndmask_b32_e32 v32, v32, v34, vcc
	v_cndmask_b32_e32 v11, v11, v33, vcc
	v_add_u32_e32 v33, 1, v11
	v_cmp_le_u32_e32 vcc, s12, v32
	s_nop 1
	v_cndmask_b32_e32 v32, v11, v33, vcc
	v_mov_b32_e32 v33, v10
.LBB71_38:                              ;   in Loop: Header=BB71_33 Depth=2
	s_or_b64 exec, exec, s[4:5]
	v_or_b32_e32 v11, s13, v19
	v_cmp_ne_u64_e32 vcc, 0, v[10:11]
                                        ; implicit-def: $vgpr34_vgpr35
	s_and_saveexec_b64 s[4:5], vcc
	s_xor_b64 s[6:7], exec, s[4:5]
	s_cbranch_execnz .LBB71_41
; %bb.39:                               ;   in Loop: Header=BB71_33 Depth=2
	s_andn2_saveexec_b64 s[4:5], s[6:7]
	s_cbranch_execnz .LBB71_42
.LBB71_40:                              ;   in Loop: Header=BB71_33 Depth=2
	s_or_b64 exec, exec, s[4:5]
	v_cmp_eq_u64_e32 vcc, v[32:33], v[34:35]
	s_and_b64 exec, exec, vcc
	s_cbranch_execz .LBB71_32
	s_branch .LBB71_43
.LBB71_41:                              ;   in Loop: Header=BB71_33 Depth=2
	s_ashr_i32 s42, s13, 31
	s_add_u32 s4, s12, s42
	s_mov_b32 s43, s42
	s_addc_u32 s5, s13, s42
	s_xor_b64 s[44:45], s[4:5], s[42:43]
	v_cvt_f32_u32_e32 v11, s44
	v_cvt_f32_u32_e32 v34, s45
	s_sub_u32 s4, 0, s44
	s_subb_u32 s5, 0, s45
	v_mov_b32_e32 v41, v10
	v_fmac_f32_e32 v11, 0x4f800000, v34
	v_rcp_f32_e32 v11, v11
	s_nop 0
	v_mul_f32_e32 v11, 0x5f7ffffc, v11
	v_mul_f32_e32 v34, 0x2f800000, v11
	v_trunc_f32_e32 v34, v34
	v_fmac_f32_e32 v11, 0xcf800000, v34
	v_cvt_u32_f32_e32 v37, v34
	v_cvt_u32_f32_e32 v11, v11
	v_mul_lo_u32 v34, s4, v37
	v_mul_hi_u32 v39, s4, v11
	v_mul_lo_u32 v35, s5, v11
	v_add_u32_e32 v34, v39, v34
	v_mul_lo_u32 v42, s4, v11
	v_add_u32_e32 v39, v34, v35
	v_mul_hi_u32 v35, v11, v39
	v_mul_lo_u32 v34, v11, v39
	v_mul_hi_u32 v40, v11, v42
	v_lshl_add_u64 v[34:35], v[40:41], 0, v[34:35]
	v_mul_hi_u32 v41, v37, v42
	v_mul_lo_u32 v42, v37, v42
	v_add_co_u32_e32 v34, vcc, v34, v42
	v_mul_hi_u32 v40, v37, v39
	s_nop 0
	v_addc_co_u32_e32 v34, vcc, v35, v41, vcc
	v_mov_b32_e32 v35, v10
	s_nop 0
	v_addc_co_u32_e32 v41, vcc, 0, v40, vcc
	v_mul_lo_u32 v40, v37, v39
	v_lshl_add_u64 v[34:35], v[34:35], 0, v[40:41]
	v_add_co_u32_e32 v11, vcc, v11, v34
	v_mul_lo_u32 v40, s4, v11
	s_nop 0
	v_addc_co_u32_e32 v37, vcc, v37, v35, vcc
	v_mul_lo_u32 v34, s4, v37
	v_mul_hi_u32 v35, s4, v11
	v_add_u32_e32 v34, v35, v34
	v_mul_lo_u32 v35, s5, v11
	v_add_u32_e32 v39, v34, v35
	v_mul_hi_u32 v43, v37, v40
	v_mul_lo_u32 v44, v37, v40
	v_mul_hi_u32 v35, v11, v39
	v_mul_lo_u32 v34, v11, v39
	v_mul_hi_u32 v40, v11, v40
	v_mov_b32_e32 v41, v10
	v_lshl_add_u64 v[34:35], v[40:41], 0, v[34:35]
	v_add_co_u32_e32 v34, vcc, v34, v44
	v_mul_hi_u32 v42, v37, v39
	s_nop 0
	v_addc_co_u32_e32 v34, vcc, v35, v43, vcc
	v_mul_lo_u32 v40, v37, v39
	s_nop 0
	v_addc_co_u32_e32 v41, vcc, 0, v42, vcc
	v_mov_b32_e32 v35, v10
	v_lshl_add_u64 v[34:35], v[34:35], 0, v[40:41]
	v_add_co_u32_e32 v11, vcc, v11, v34
	v_ashrrev_i32_e32 v34, 31, v19
	s_nop 0
	v_addc_co_u32_e32 v37, vcc, v37, v35, vcc
	v_mov_b32_e32 v35, v34
	v_lshl_add_u64 v[40:41], v[18:19], 0, v[34:35]
	v_xor_b32_e32 v39, v40, v34
	v_xor_b32_e32 v35, v41, v34
	v_mad_u64_u32 v[40:41], s[4:5], v39, v37, 0
	v_mul_hi_u32 v42, v39, v11
	v_mov_b32_e32 v43, v10
	v_lshl_add_u64 v[40:41], v[42:43], 0, v[40:41]
	v_mad_u64_u32 v[44:45], s[4:5], v35, v11, 0
	v_add_co_u32_e32 v11, vcc, v40, v44
	v_mad_u64_u32 v[42:43], s[4:5], v35, v37, 0
	s_nop 0
	v_addc_co_u32_e32 v40, vcc, v41, v45, vcc
	v_mov_b32_e32 v41, v10
	s_nop 0
	v_addc_co_u32_e32 v43, vcc, 0, v43, vcc
	v_lshl_add_u64 v[40:41], v[40:41], 0, v[42:43]
	v_mul_lo_u32 v11, s45, v40
	v_mul_lo_u32 v37, s44, v41
	v_mad_u64_u32 v[42:43], s[4:5], s44, v40, 0
	v_add3_u32 v11, v43, v37, v11
	v_sub_u32_e32 v37, v35, v11
	v_mov_b32_e32 v43, s45
	v_sub_co_u32_e32 v39, vcc, v39, v42
	v_lshl_add_u64 v[44:45], v[40:41], 0, 1
	s_nop 0
	v_subb_co_u32_e64 v37, s[4:5], v37, v43, vcc
	v_subrev_co_u32_e64 v42, s[4:5], s44, v39
	v_subb_co_u32_e32 v11, vcc, v35, v11, vcc
	s_nop 0
	v_subbrev_co_u32_e64 v37, s[4:5], 0, v37, s[4:5]
	v_cmp_le_u32_e64 s[4:5], s45, v37
	v_cmp_le_u32_e32 vcc, s45, v11
	s_nop 0
	v_cndmask_b32_e64 v43, 0, -1, s[4:5]
	v_cmp_le_u32_e64 s[4:5], s44, v42
	v_cndmask_b32_e64 v35, 0, -1, vcc
	v_cmp_le_u32_e32 vcc, s44, v39
	v_cndmask_b32_e64 v42, 0, -1, s[4:5]
	v_cmp_eq_u32_e64 s[4:5], s45, v37
	v_cndmask_b32_e64 v39, 0, -1, vcc
	v_cmp_eq_u32_e32 vcc, s45, v11
	v_cndmask_b32_e64 v37, v43, v42, s[4:5]
	v_lshl_add_u64 v[42:43], v[40:41], 0, 2
	v_cmp_ne_u32_e64 s[4:5], 0, v37
	v_cndmask_b32_e32 v11, v35, v39, vcc
	v_cmp_ne_u32_e32 vcc, 0, v11
	v_cndmask_b32_e64 v37, v45, v43, s[4:5]
	v_cndmask_b32_e64 v35, v44, v42, s[4:5]
	v_cndmask_b32_e32 v11, v41, v37, vcc
	v_cndmask_b32_e32 v35, v40, v35, vcc
	v_xor_b32_e32 v37, s42, v34
	v_xor_b32_e32 v34, v35, v37
	;; [unrolled: 1-line block ×3, first 2 shown]
	v_sub_co_u32_e32 v34, vcc, v34, v37
	s_nop 1
	v_subb_co_u32_e32 v35, vcc, v11, v37, vcc
	s_andn2_saveexec_b64 s[4:5], s[6:7]
	s_cbranch_execz .LBB71_40
.LBB71_42:                              ;   in Loop: Header=BB71_33 Depth=2
	v_cvt_f32_u32_e32 v11, s12
	s_sub_i32 s6, 0, s12
	v_rcp_iflag_f32_e32 v11, v11
	s_nop 0
	v_mul_f32_e32 v11, 0x4f7ffffe, v11
	v_cvt_u32_f32_e32 v11, v11
	v_mul_lo_u32 v34, s6, v11
	v_mul_hi_u32 v34, v11, v34
	v_add_u32_e32 v11, v11, v34
	v_mul_hi_u32 v11, v18, v11
	v_mul_lo_u32 v34, v11, s12
	v_sub_u32_e32 v34, v18, v34
	v_add_u32_e32 v35, 1, v11
	v_subrev_u32_e32 v37, s12, v34
	v_cmp_le_u32_e32 vcc, s12, v34
	s_nop 1
	v_cndmask_b32_e32 v34, v34, v37, vcc
	v_cndmask_b32_e32 v11, v11, v35, vcc
	v_add_u32_e32 v35, 1, v11
	v_cmp_le_u32_e32 vcc, s12, v34
	s_nop 1
	v_cndmask_b32_e32 v34, v11, v35, vcc
	v_mov_b32_e32 v35, v10
	s_or_b64 exec, exec, s[4:5]
	v_cmp_eq_u64_e32 vcc, v[32:33], v[34:35]
	s_and_b64 exec, exec, vcc
	s_cbranch_execz .LBB71_32
.LBB71_43:                              ;   in Loop: Header=BB71_33 Depth=2
	s_and_b64 vcc, exec, s[24:25]
	s_cbranch_vccz .LBB71_45
; %bb.44:                               ;   in Loop: Header=BB71_33 Depth=2
	global_load_dword v11, v[26:27], off
	v_mul_lo_u32 v34, v33, s12
	v_mul_lo_u32 v35, v32, s13
	v_mad_u64_u32 v[32:33], s[4:5], v32, s12, 0
	v_add3_u32 v33, v33, v35, v34
	v_sub_co_u32_e32 v32, vcc, v30, v32
	s_nop 1
	v_subb_co_u32_e32 v33, vcc, v31, v33, vcc
	v_lshl_add_u64 v[32:33], v[32:33], 0, v[20:21]
	v_mul_lo_u32 v34, s28, v33
	v_mul_lo_u32 v35, s29, v32
	v_mad_u64_u32 v[32:33], s[4:5], s28, v32, v[28:29]
	v_add3_u32 v33, v35, v33, v34
	s_waitcnt vmcnt(0)
	global_store_dword v[32:33], v11, off
	s_cbranch_execnz .LBB71_32
	s_branch .LBB71_46
.LBB71_45:                              ;   in Loop: Header=BB71_33 Depth=2
.LBB71_46:                              ;   in Loop: Header=BB71_33 Depth=2
	v_mov_b32_e32 v11, v36
	v_cmp_ne_u64_e32 vcc, 0, v[10:11]
                                        ; implicit-def: $vgpr32_vgpr33
	s_and_saveexec_b64 s[4:5], vcc
	s_xor_b64 s[42:43], exec, s[4:5]
	s_cbranch_execz .LBB71_48
; %bb.47:                               ;   in Loop: Header=BB71_33 Depth=2
	s_ashr_i32 s4, s13, 31
	s_add_u32 s6, s12, s4
	s_mov_b32 s5, s4
	s_addc_u32 s7, s13, s4
	s_xor_b64 s[44:45], s[6:7], s[4:5]
	v_cvt_f32_u32_e32 v11, s44
	v_cvt_f32_u32_e32 v32, s45
	s_sub_u32 s4, 0, s44
	s_subb_u32 s5, 0, s45
	v_mov_b32_e32 v35, v10
	v_fmac_f32_e32 v11, 0x4f800000, v32
	v_rcp_f32_e32 v11, v11
	s_nop 0
	v_mul_f32_e32 v11, 0x5f7ffffc, v11
	v_mul_f32_e32 v32, 0x2f800000, v11
	v_trunc_f32_e32 v32, v32
	v_fmac_f32_e32 v11, 0xcf800000, v32
	v_cvt_u32_f32_e32 v36, v32
	v_cvt_u32_f32_e32 v11, v11
	v_mul_lo_u32 v32, s4, v36
	v_mul_hi_u32 v34, s4, v11
	v_mul_lo_u32 v33, s5, v11
	v_add_u32_e32 v32, v34, v32
	v_mul_lo_u32 v37, s4, v11
	v_add_u32_e32 v39, v32, v33
	v_mul_hi_u32 v33, v11, v39
	v_mul_lo_u32 v32, v11, v39
	v_mul_hi_u32 v34, v11, v37
	v_lshl_add_u64 v[32:33], v[34:35], 0, v[32:33]
	v_mul_hi_u32 v35, v36, v37
	v_mul_lo_u32 v37, v36, v37
	v_add_co_u32_e32 v32, vcc, v32, v37
	v_mul_hi_u32 v34, v36, v39
	s_nop 0
	v_addc_co_u32_e32 v32, vcc, v33, v35, vcc
	v_mov_b32_e32 v33, v10
	s_nop 0
	v_addc_co_u32_e32 v35, vcc, 0, v34, vcc
	v_mul_lo_u32 v34, v36, v39
	v_lshl_add_u64 v[32:33], v[32:33], 0, v[34:35]
	v_add_co_u32_e32 v11, vcc, v11, v32
	v_mul_lo_u32 v34, s4, v11
	s_nop 0
	v_addc_co_u32_e32 v36, vcc, v36, v33, vcc
	v_mul_lo_u32 v32, s4, v36
	v_mul_hi_u32 v33, s4, v11
	v_add_u32_e32 v32, v33, v32
	v_mul_lo_u32 v33, s5, v11
	v_add_u32_e32 v37, v32, v33
	v_mul_hi_u32 v40, v36, v34
	v_mul_lo_u32 v41, v36, v34
	v_mul_hi_u32 v33, v11, v37
	v_mul_lo_u32 v32, v11, v37
	v_mul_hi_u32 v34, v11, v34
	v_mov_b32_e32 v35, v10
	v_lshl_add_u64 v[32:33], v[34:35], 0, v[32:33]
	v_add_co_u32_e32 v32, vcc, v32, v41
	v_mul_hi_u32 v39, v36, v37
	s_nop 0
	v_addc_co_u32_e32 v32, vcc, v33, v40, vcc
	v_mul_lo_u32 v34, v36, v37
	s_nop 0
	v_addc_co_u32_e32 v35, vcc, 0, v39, vcc
	v_mov_b32_e32 v33, v10
	v_lshl_add_u64 v[32:33], v[32:33], 0, v[34:35]
	v_ashrrev_i32_e32 v34, 31, v31
	v_mov_b32_e32 v35, v34
	v_add_co_u32_e32 v11, vcc, v11, v32
	v_lshl_add_u64 v[30:31], v[30:31], 0, v[34:35]
	s_nop 0
	v_addc_co_u32_e32 v36, vcc, v36, v33, vcc
	v_xor_b32_e32 v39, v30, v34
	v_xor_b32_e32 v35, v31, v34
	v_mad_u64_u32 v[30:31], s[4:5], v39, v36, 0
	v_mul_hi_u32 v32, v39, v11
	v_mov_b32_e32 v33, v10
	v_lshl_add_u64 v[30:31], v[32:33], 0, v[30:31]
	v_mad_u64_u32 v[32:33], s[4:5], v35, v36, 0
	v_mad_u64_u32 v[36:37], s[4:5], v35, v11, 0
	v_add_co_u32_e32 v11, vcc, v30, v36
	s_nop 1
	v_addc_co_u32_e32 v30, vcc, v31, v37, vcc
	v_mov_b32_e32 v31, v10
	s_nop 0
	v_addc_co_u32_e32 v33, vcc, 0, v33, vcc
	v_lshl_add_u64 v[30:31], v[30:31], 0, v[32:33]
	v_mul_lo_u32 v11, s45, v30
	v_mul_lo_u32 v32, s44, v31
	v_mad_u64_u32 v[30:31], s[4:5], s44, v30, 0
	v_add3_u32 v11, v31, v32, v11
	v_sub_u32_e32 v31, v35, v11
	v_mov_b32_e32 v32, s45
	v_sub_co_u32_e32 v30, vcc, v39, v30
	s_nop 1
	v_subb_co_u32_e64 v31, s[4:5], v31, v32, vcc
	v_subrev_co_u32_e64 v33, s[4:5], s44, v30
	v_subb_co_u32_e32 v11, vcc, v35, v11, vcc
	s_nop 0
	v_subbrev_co_u32_e64 v36, s[6:7], 0, v31, s[4:5]
	v_cmp_le_u32_e64 s[6:7], s45, v36
	v_subb_co_u32_e64 v31, s[4:5], v31, v32, s[4:5]
	s_nop 0
	v_cndmask_b32_e64 v37, 0, -1, s[6:7]
	v_cmp_le_u32_e64 s[6:7], s44, v33
	v_subrev_co_u32_e64 v32, s[4:5], s44, v33
	s_nop 0
	v_cndmask_b32_e64 v39, 0, -1, s[6:7]
	v_cmp_eq_u32_e64 s[6:7], s45, v36
	v_subbrev_co_u32_e64 v31, s[4:5], 0, v31, s[4:5]
	s_nop 0
	v_cndmask_b32_e64 v37, v37, v39, s[6:7]
	v_cmp_le_u32_e32 vcc, s45, v11
	v_cmp_ne_u32_e64 s[4:5], 0, v37
	s_nop 0
	v_cndmask_b32_e64 v35, 0, -1, vcc
	v_cmp_le_u32_e32 vcc, s44, v30
	v_cndmask_b32_e64 v31, v36, v31, s[4:5]
	s_nop 0
	v_cndmask_b32_e64 v36, 0, -1, vcc
	v_cmp_eq_u32_e32 vcc, s45, v11
	s_nop 1
	v_cndmask_b32_e32 v35, v35, v36, vcc
	v_cmp_ne_u32_e32 vcc, 0, v35
	s_nop 1
	v_cndmask_b32_e32 v11, v11, v31, vcc
	v_cndmask_b32_e64 v31, v33, v32, s[4:5]
	v_cndmask_b32_e32 v30, v30, v31, vcc
	v_xor_b32_e32 v30, v30, v34
	v_xor_b32_e32 v11, v11, v34
	v_sub_co_u32_e32 v32, vcc, v30, v34
                                        ; implicit-def: $vgpr30_vgpr31
	s_nop 1
	v_subb_co_u32_e32 v33, vcc, v11, v34, vcc
.LBB71_48:                              ;   in Loop: Header=BB71_33 Depth=2
	s_andn2_saveexec_b64 s[4:5], s[42:43]
	s_cbranch_execz .LBB71_31
; %bb.49:                               ;   in Loop: Header=BB71_33 Depth=2
	v_cvt_f32_u32_e32 v11, s12
	s_sub_i32 s6, 0, s12
	v_mov_b32_e32 v33, v10
	v_rcp_iflag_f32_e32 v11, v11
	s_nop 0
	v_mul_f32_e32 v11, 0x4f7ffffe, v11
	v_cvt_u32_f32_e32 v11, v11
	v_mul_lo_u32 v31, s6, v11
	v_mul_hi_u32 v31, v11, v31
	v_add_u32_e32 v11, v11, v31
	v_mul_hi_u32 v11, v30, v11
	v_mul_lo_u32 v11, v11, s12
	v_sub_u32_e32 v11, v30, v11
	v_subrev_u32_e32 v30, s12, v11
	v_cmp_le_u32_e32 vcc, s12, v11
	s_nop 1
	v_cndmask_b32_e32 v11, v11, v30, vcc
	v_subrev_u32_e32 v30, s12, v11
	v_cmp_le_u32_e32 vcc, s12, v11
	s_nop 1
	v_cndmask_b32_e32 v32, v11, v30, vcc
	s_branch .LBB71_31
.LBB71_50:                              ;   in Loop: Header=BB71_10 Depth=1
	s_ashr_i32 s40, s13, 31
	s_add_u32 s4, s12, s40
	s_mov_b32 s41, s40
	s_addc_u32 s5, s13, s40
	s_xor_b64 s[42:43], s[4:5], s[40:41]
	v_cvt_f32_u32_e32 v11, s42
	v_cvt_f32_u32_e32 v20, s43
	s_sub_u32 s4, 0, s42
	s_subb_u32 s5, 0, s43
	v_mov_b32_e32 v23, v10
	v_fmac_f32_e32 v11, 0x4f800000, v20
	v_rcp_f32_e32 v11, v11
	s_nop 0
	v_mul_f32_e32 v11, 0x5f7ffffc, v11
	v_mul_f32_e32 v20, 0x2f800000, v11
	v_trunc_f32_e32 v20, v20
	v_fmac_f32_e32 v11, 0xcf800000, v20
	v_cvt_u32_f32_e32 v24, v20
	v_cvt_u32_f32_e32 v11, v11
	v_mul_lo_u32 v20, s4, v24
	v_mul_hi_u32 v22, s4, v11
	v_mul_lo_u32 v21, s5, v11
	v_add_u32_e32 v20, v22, v20
	v_mul_lo_u32 v25, s4, v11
	v_add_u32_e32 v26, v20, v21
	v_mul_hi_u32 v21, v11, v26
	v_mul_lo_u32 v20, v11, v26
	v_mul_hi_u32 v22, v11, v25
	v_lshl_add_u64 v[20:21], v[22:23], 0, v[20:21]
	v_mul_hi_u32 v23, v24, v25
	v_mul_lo_u32 v25, v24, v25
	v_add_co_u32_e32 v20, vcc, v20, v25
	v_mul_hi_u32 v22, v24, v26
	s_nop 0
	v_addc_co_u32_e32 v20, vcc, v21, v23, vcc
	v_mov_b32_e32 v21, v10
	s_nop 0
	v_addc_co_u32_e32 v23, vcc, 0, v22, vcc
	v_mul_lo_u32 v22, v24, v26
	v_lshl_add_u64 v[20:21], v[20:21], 0, v[22:23]
	v_add_co_u32_e32 v11, vcc, v11, v20
	v_mul_lo_u32 v22, s4, v11
	s_nop 0
	v_addc_co_u32_e32 v24, vcc, v24, v21, vcc
	v_mul_lo_u32 v20, s4, v24
	v_mul_hi_u32 v21, s4, v11
	v_add_u32_e32 v20, v21, v20
	v_mul_lo_u32 v21, s5, v11
	v_add_u32_e32 v25, v20, v21
	v_mul_hi_u32 v27, v24, v22
	v_mul_lo_u32 v28, v24, v22
	v_mul_hi_u32 v21, v11, v25
	v_mul_lo_u32 v20, v11, v25
	v_mul_hi_u32 v22, v11, v22
	v_mov_b32_e32 v23, v10
	v_lshl_add_u64 v[20:21], v[22:23], 0, v[20:21]
	v_add_co_u32_e32 v20, vcc, v20, v28
	v_mul_hi_u32 v26, v24, v25
	s_nop 0
	v_addc_co_u32_e32 v20, vcc, v21, v27, vcc
	v_mul_lo_u32 v22, v24, v25
	s_nop 0
	v_addc_co_u32_e32 v23, vcc, 0, v26, vcc
	v_mov_b32_e32 v21, v10
	v_lshl_add_u64 v[20:21], v[20:21], 0, v[22:23]
	v_add_co_u32_e32 v11, vcc, v11, v20
	v_ashrrev_i32_e32 v20, 31, v19
	s_nop 0
	v_addc_co_u32_e32 v26, vcc, v24, v21, vcc
	v_mov_b32_e32 v21, v20
	v_lshl_add_u64 v[22:23], v[18:19], 0, v[20:21]
	v_xor_b32_e32 v28, v22, v20
	v_xor_b32_e32 v21, v23, v20
	v_mad_u64_u32 v[22:23], s[4:5], v28, v26, 0
	v_mul_hi_u32 v24, v28, v11
	v_mov_b32_e32 v25, v10
	v_lshl_add_u64 v[22:23], v[24:25], 0, v[22:23]
	v_mad_u64_u32 v[24:25], s[4:5], v21, v26, 0
	v_mad_u64_u32 v[26:27], s[4:5], v21, v11, 0
	v_add_co_u32_e32 v11, vcc, v22, v26
	s_nop 1
	v_addc_co_u32_e32 v22, vcc, v23, v27, vcc
	v_mov_b32_e32 v23, v10
	s_nop 0
	v_addc_co_u32_e32 v25, vcc, 0, v25, vcc
	v_lshl_add_u64 v[22:23], v[22:23], 0, v[24:25]
	v_mul_lo_u32 v11, s43, v22
	v_mul_lo_u32 v26, s42, v23
	v_mad_u64_u32 v[24:25], s[4:5], s42, v22, 0
	v_add3_u32 v11, v25, v26, v11
	v_sub_u32_e32 v25, v21, v11
	v_mov_b32_e32 v26, s43
	v_sub_co_u32_e32 v28, vcc, v28, v24
	s_nop 1
	v_subb_co_u32_e64 v24, s[4:5], v25, v26, vcc
	v_subrev_co_u32_e64 v25, s[4:5], s42, v28
	v_subb_co_u32_e32 v11, vcc, v21, v11, vcc
	s_nop 0
	v_subbrev_co_u32_e64 v24, s[4:5], 0, v24, s[4:5]
	v_cmp_le_u32_e64 s[4:5], s43, v24
	v_cmp_le_u32_e32 vcc, s43, v11
	s_nop 0
	v_cndmask_b32_e64 v26, 0, -1, s[4:5]
	v_cmp_le_u32_e64 s[4:5], s42, v25
	v_cndmask_b32_e64 v21, 0, -1, vcc
	v_cmp_le_u32_e32 vcc, s42, v28
	v_cndmask_b32_e64 v25, 0, -1, s[4:5]
	v_cmp_eq_u32_e64 s[4:5], s43, v24
	s_nop 1
	v_cndmask_b32_e64 v29, v26, v25, s[4:5]
	v_lshl_add_u64 v[24:25], v[22:23], 0, 2
	v_lshl_add_u64 v[26:27], v[22:23], 0, 1
	v_cmp_ne_u32_e64 s[4:5], 0, v29
	s_nop 1
	v_cndmask_b32_e64 v25, v27, v25, s[4:5]
	v_cndmask_b32_e64 v27, 0, -1, vcc
	v_cmp_eq_u32_e32 vcc, s43, v11
	s_nop 1
	v_cndmask_b32_e32 v11, v21, v27, vcc
	v_cmp_ne_u32_e32 vcc, 0, v11
	v_cndmask_b32_e64 v21, v26, v24, s[4:5]
	s_nop 0
	v_cndmask_b32_e32 v21, v22, v21, vcc
	v_xor_b32_e32 v22, s40, v20
	v_cndmask_b32_e32 v11, v23, v25, vcc
	v_xor_b32_e32 v20, v21, v22
	v_xor_b32_e32 v11, v11, v22
	v_sub_co_u32_e32 v20, vcc, v20, v22
	s_nop 1
	v_subb_co_u32_e32 v21, vcc, v11, v22, vcc
	s_andn2_saveexec_b64 s[4:5], s[38:39]
	s_cbranch_execz .LBB71_26
.LBB71_51:                              ;   in Loop: Header=BB71_10 Depth=1
	v_cvt_f32_u32_e32 v11, s12
	s_sub_i32 s38, 0, s12
	v_rcp_iflag_f32_e32 v11, v11
	s_nop 0
	v_mul_f32_e32 v11, 0x4f7ffffe, v11
	v_cvt_u32_f32_e32 v11, v11
	v_mul_lo_u32 v20, s38, v11
	v_mul_hi_u32 v20, v11, v20
	v_add_u32_e32 v11, v11, v20
	v_mul_hi_u32 v11, v18, v11
	v_mul_lo_u32 v20, v11, s12
	v_sub_u32_e32 v20, v18, v20
	v_add_u32_e32 v21, 1, v11
	v_subrev_u32_e32 v22, s12, v20
	v_cmp_le_u32_e32 vcc, s12, v20
	s_nop 1
	v_cndmask_b32_e32 v20, v20, v22, vcc
	v_cndmask_b32_e32 v11, v11, v21, vcc
	v_add_u32_e32 v21, 1, v11
	v_cmp_le_u32_e32 vcc, s12, v20
	s_nop 1
	v_cndmask_b32_e32 v20, v11, v21, vcc
	v_mov_b32_e32 v21, v10
	s_or_b64 exec, exec, s[4:5]
	v_cmp_ge_i64_e32 vcc, v[20:21], v[16:17]
	s_and_saveexec_b64 s[4:5], vcc
	s_cbranch_execnz .LBB71_27
	s_branch .LBB71_28
.LBB71_52:
	s_endpgm
	.section	.rodata,"a",@progbits
	.p2align	6, 0x0
	.amdhsa_kernel _ZN9rocsparseL21csr2bsr_65_inf_kernelILj32EfllEEv20rocsparse_direction_T2_S2_S2_S2_S2_S2_21rocsparse_index_base_PKT0_PKT1_PKS2_S3_PS4_PS7_PS2_SD_SE_SC_
		.amdhsa_group_segment_fixed_size 0
		.amdhsa_private_segment_fixed_size 0
		.amdhsa_kernarg_size 144
		.amdhsa_user_sgpr_count 2
		.amdhsa_user_sgpr_dispatch_ptr 0
		.amdhsa_user_sgpr_queue_ptr 0
		.amdhsa_user_sgpr_kernarg_segment_ptr 1
		.amdhsa_user_sgpr_dispatch_id 0
		.amdhsa_user_sgpr_kernarg_preload_length 0
		.amdhsa_user_sgpr_kernarg_preload_offset 0
		.amdhsa_user_sgpr_private_segment_size 0
		.amdhsa_uses_dynamic_stack 0
		.amdhsa_enable_private_segment 0
		.amdhsa_system_sgpr_workgroup_id_x 1
		.amdhsa_system_sgpr_workgroup_id_y 0
		.amdhsa_system_sgpr_workgroup_id_z 0
		.amdhsa_system_sgpr_workgroup_info 0
		.amdhsa_system_vgpr_workitem_id 0
		.amdhsa_next_free_vgpr 46
		.amdhsa_next_free_sgpr 52
		.amdhsa_accum_offset 48
		.amdhsa_reserve_vcc 1
		.amdhsa_float_round_mode_32 0
		.amdhsa_float_round_mode_16_64 0
		.amdhsa_float_denorm_mode_32 3
		.amdhsa_float_denorm_mode_16_64 3
		.amdhsa_dx10_clamp 1
		.amdhsa_ieee_mode 1
		.amdhsa_fp16_overflow 0
		.amdhsa_tg_split 0
		.amdhsa_exception_fp_ieee_invalid_op 0
		.amdhsa_exception_fp_denorm_src 0
		.amdhsa_exception_fp_ieee_div_zero 0
		.amdhsa_exception_fp_ieee_overflow 0
		.amdhsa_exception_fp_ieee_underflow 0
		.amdhsa_exception_fp_ieee_inexact 0
		.amdhsa_exception_int_div_zero 0
	.end_amdhsa_kernel
	.section	.text._ZN9rocsparseL21csr2bsr_65_inf_kernelILj32EfllEEv20rocsparse_direction_T2_S2_S2_S2_S2_S2_21rocsparse_index_base_PKT0_PKT1_PKS2_S3_PS4_PS7_PS2_SD_SE_SC_,"axG",@progbits,_ZN9rocsparseL21csr2bsr_65_inf_kernelILj32EfllEEv20rocsparse_direction_T2_S2_S2_S2_S2_S2_21rocsparse_index_base_PKT0_PKT1_PKS2_S3_PS4_PS7_PS2_SD_SE_SC_,comdat
.Lfunc_end71:
	.size	_ZN9rocsparseL21csr2bsr_65_inf_kernelILj32EfllEEv20rocsparse_direction_T2_S2_S2_S2_S2_S2_21rocsparse_index_base_PKT0_PKT1_PKS2_S3_PS4_PS7_PS2_SD_SE_SC_, .Lfunc_end71-_ZN9rocsparseL21csr2bsr_65_inf_kernelILj32EfllEEv20rocsparse_direction_T2_S2_S2_S2_S2_S2_21rocsparse_index_base_PKT0_PKT1_PKS2_S3_PS4_PS7_PS2_SD_SE_SC_
                                        ; -- End function
	.section	.AMDGPU.csdata,"",@progbits
; Kernel info:
; codeLenInByte = 5516
; NumSgprs: 58
; NumVgprs: 46
; NumAgprs: 0
; TotalNumVgprs: 46
; ScratchSize: 0
; MemoryBound: 0
; FloatMode: 240
; IeeeMode: 1
; LDSByteSize: 0 bytes/workgroup (compile time only)
; SGPRBlocks: 7
; VGPRBlocks: 5
; NumSGPRsForWavesPerEU: 58
; NumVGPRsForWavesPerEU: 46
; AccumOffset: 48
; Occupancy: 8
; WaveLimiterHint : 1
; COMPUTE_PGM_RSRC2:SCRATCH_EN: 0
; COMPUTE_PGM_RSRC2:USER_SGPR: 2
; COMPUTE_PGM_RSRC2:TRAP_HANDLER: 0
; COMPUTE_PGM_RSRC2:TGID_X_EN: 1
; COMPUTE_PGM_RSRC2:TGID_Y_EN: 0
; COMPUTE_PGM_RSRC2:TGID_Z_EN: 0
; COMPUTE_PGM_RSRC2:TIDIG_COMP_CNT: 0
; COMPUTE_PGM_RSRC3_GFX90A:ACCUM_OFFSET: 11
; COMPUTE_PGM_RSRC3_GFX90A:TG_SPLIT: 0
	.section	.text._ZN9rocsparseL35csr2bsr_block_dim_equals_one_kernelILj256E21rocsparse_complex_numIfEiiEEvT2_S3_S3_S3_21rocsparse_index_base_PKT0_PKT1_PKS3_S4_PS5_PS8_PS3_,"axG",@progbits,_ZN9rocsparseL35csr2bsr_block_dim_equals_one_kernelILj256E21rocsparse_complex_numIfEiiEEvT2_S3_S3_S3_21rocsparse_index_base_PKT0_PKT1_PKS3_S4_PS5_PS8_PS3_,comdat
	.globl	_ZN9rocsparseL35csr2bsr_block_dim_equals_one_kernelILj256E21rocsparse_complex_numIfEiiEEvT2_S3_S3_S3_21rocsparse_index_base_PKT0_PKT1_PKS3_S4_PS5_PS8_PS3_ ; -- Begin function _ZN9rocsparseL35csr2bsr_block_dim_equals_one_kernelILj256E21rocsparse_complex_numIfEiiEEvT2_S3_S3_S3_21rocsparse_index_base_PKT0_PKT1_PKS3_S4_PS5_PS8_PS3_
	.p2align	8
	.type	_ZN9rocsparseL35csr2bsr_block_dim_equals_one_kernelILj256E21rocsparse_complex_numIfEiiEEvT2_S3_S3_S3_21rocsparse_index_base_PKT0_PKT1_PKS3_S4_PS5_PS8_PS3_,@function
_ZN9rocsparseL35csr2bsr_block_dim_equals_one_kernelILj256E21rocsparse_complex_numIfEiiEEvT2_S3_S3_S3_21rocsparse_index_base_PKT0_PKT1_PKS3_S4_PS5_PS8_PS3_: ; @_ZN9rocsparseL35csr2bsr_block_dim_equals_one_kernelILj256E21rocsparse_complex_numIfEiiEEvT2_S3_S3_S3_21rocsparse_index_base_PKT0_PKT1_PKS3_S4_PS5_PS8_PS3_
; %bb.0:
	s_load_dword s8, s[0:1], 0x0
	s_load_dwordx4 s[4:7], s[0:1], 0x18
	v_lshl_or_b32 v0, s2, 8, v0
	s_waitcnt lgkmcnt(0)
	s_ashr_i32 s9, s8, 31
	s_lshl_b64 s[8:9], s[8:9], 2
	s_add_u32 s8, s6, s8
	s_addc_u32 s9, s7, s9
	s_load_dword s3, s[8:9], 0x0
	s_load_dword s10, s[6:7], 0x0
	s_waitcnt lgkmcnt(0)
	s_sub_i32 s10, s3, s10
	v_cmp_gt_i32_e32 vcc, s10, v0
	s_and_saveexec_b64 s[2:3], vcc
	s_cbranch_execz .LBB72_3
; %bb.1:
	s_load_dword s11, s[0:1], 0x30
	s_load_dwordx2 s[2:3], s[0:1], 0x38
	s_load_dword s12, s[0:1], 0x10
	s_load_dword s13, s[0:1], 0x50
	s_load_dwordx2 s[6:7], s[0:1], 0x28
	s_load_dwordx2 s[8:9], s[0:1], 0x48
	s_mov_b64 s[0:1], 0
	s_waitcnt lgkmcnt(0)
	s_sub_i32 s11, s11, s12
	s_lshl_b32 s12, s13, 8
.LBB72_2:                               ; =>This Inner Loop Header: Depth=1
	v_ashrrev_i32_e32 v1, 31, v0
	v_lshlrev_b64 v[2:3], 2, v[0:1]
	v_lshl_add_u64 v[4:5], s[6:7], 0, v[2:3]
	global_load_dword v6, v[4:5], off
	v_lshlrev_b64 v[4:5], 3, v[0:1]
	v_lshl_add_u64 v[2:3], s[8:9], 0, v[2:3]
	v_add_u32_e32 v0, s12, v0
	v_cmp_le_i32_e32 vcc, s10, v0
	s_or_b64 s[0:1], vcc, s[0:1]
	s_waitcnt vmcnt(0)
	v_add_u32_e32 v1, s11, v6
	global_store_dword v[2:3], v1, off
	v_lshl_add_u64 v[2:3], s[4:5], 0, v[4:5]
	global_load_dwordx2 v[2:3], v[2:3], off
	v_lshl_add_u64 v[4:5], s[2:3], 0, v[4:5]
	s_waitcnt vmcnt(0)
	global_store_dwordx2 v[4:5], v[2:3], off
	s_andn2_b64 exec, exec, s[0:1]
	s_cbranch_execnz .LBB72_2
.LBB72_3:
	s_endpgm
	.section	.rodata,"a",@progbits
	.p2align	6, 0x0
	.amdhsa_kernel _ZN9rocsparseL35csr2bsr_block_dim_equals_one_kernelILj256E21rocsparse_complex_numIfEiiEEvT2_S3_S3_S3_21rocsparse_index_base_PKT0_PKT1_PKS3_S4_PS5_PS8_PS3_
		.amdhsa_group_segment_fixed_size 0
		.amdhsa_private_segment_fixed_size 0
		.amdhsa_kernarg_size 336
		.amdhsa_user_sgpr_count 2
		.amdhsa_user_sgpr_dispatch_ptr 0
		.amdhsa_user_sgpr_queue_ptr 0
		.amdhsa_user_sgpr_kernarg_segment_ptr 1
		.amdhsa_user_sgpr_dispatch_id 0
		.amdhsa_user_sgpr_kernarg_preload_length 0
		.amdhsa_user_sgpr_kernarg_preload_offset 0
		.amdhsa_user_sgpr_private_segment_size 0
		.amdhsa_uses_dynamic_stack 0
		.amdhsa_enable_private_segment 0
		.amdhsa_system_sgpr_workgroup_id_x 1
		.amdhsa_system_sgpr_workgroup_id_y 0
		.amdhsa_system_sgpr_workgroup_id_z 0
		.amdhsa_system_sgpr_workgroup_info 0
		.amdhsa_system_vgpr_workitem_id 0
		.amdhsa_next_free_vgpr 7
		.amdhsa_next_free_sgpr 14
		.amdhsa_accum_offset 8
		.amdhsa_reserve_vcc 1
		.amdhsa_float_round_mode_32 0
		.amdhsa_float_round_mode_16_64 0
		.amdhsa_float_denorm_mode_32 3
		.amdhsa_float_denorm_mode_16_64 3
		.amdhsa_dx10_clamp 1
		.amdhsa_ieee_mode 1
		.amdhsa_fp16_overflow 0
		.amdhsa_tg_split 0
		.amdhsa_exception_fp_ieee_invalid_op 0
		.amdhsa_exception_fp_denorm_src 0
		.amdhsa_exception_fp_ieee_div_zero 0
		.amdhsa_exception_fp_ieee_overflow 0
		.amdhsa_exception_fp_ieee_underflow 0
		.amdhsa_exception_fp_ieee_inexact 0
		.amdhsa_exception_int_div_zero 0
	.end_amdhsa_kernel
	.section	.text._ZN9rocsparseL35csr2bsr_block_dim_equals_one_kernelILj256E21rocsparse_complex_numIfEiiEEvT2_S3_S3_S3_21rocsparse_index_base_PKT0_PKT1_PKS3_S4_PS5_PS8_PS3_,"axG",@progbits,_ZN9rocsparseL35csr2bsr_block_dim_equals_one_kernelILj256E21rocsparse_complex_numIfEiiEEvT2_S3_S3_S3_21rocsparse_index_base_PKT0_PKT1_PKS3_S4_PS5_PS8_PS3_,comdat
.Lfunc_end72:
	.size	_ZN9rocsparseL35csr2bsr_block_dim_equals_one_kernelILj256E21rocsparse_complex_numIfEiiEEvT2_S3_S3_S3_21rocsparse_index_base_PKT0_PKT1_PKS3_S4_PS5_PS8_PS3_, .Lfunc_end72-_ZN9rocsparseL35csr2bsr_block_dim_equals_one_kernelILj256E21rocsparse_complex_numIfEiiEEvT2_S3_S3_S3_21rocsparse_index_base_PKT0_PKT1_PKS3_S4_PS5_PS8_PS3_
                                        ; -- End function
	.section	.AMDGPU.csdata,"",@progbits
; Kernel info:
; codeLenInByte = 264
; NumSgprs: 20
; NumVgprs: 7
; NumAgprs: 0
; TotalNumVgprs: 7
; ScratchSize: 0
; MemoryBound: 0
; FloatMode: 240
; IeeeMode: 1
; LDSByteSize: 0 bytes/workgroup (compile time only)
; SGPRBlocks: 2
; VGPRBlocks: 0
; NumSGPRsForWavesPerEU: 20
; NumVGPRsForWavesPerEU: 7
; AccumOffset: 8
; Occupancy: 8
; WaveLimiterHint : 0
; COMPUTE_PGM_RSRC2:SCRATCH_EN: 0
; COMPUTE_PGM_RSRC2:USER_SGPR: 2
; COMPUTE_PGM_RSRC2:TRAP_HANDLER: 0
; COMPUTE_PGM_RSRC2:TGID_X_EN: 1
; COMPUTE_PGM_RSRC2:TGID_Y_EN: 0
; COMPUTE_PGM_RSRC2:TGID_Z_EN: 0
; COMPUTE_PGM_RSRC2:TIDIG_COMP_CNT: 0
; COMPUTE_PGM_RSRC3_GFX90A:ACCUM_OFFSET: 1
; COMPUTE_PGM_RSRC3_GFX90A:TG_SPLIT: 0
	.section	.text._ZN9rocsparseL42csr2bsr_wavefront_per_row_multipass_kernelILj256ELj16ELj4E21rocsparse_complex_numIfEiiEEv20rocsparse_direction_T4_S4_S4_S4_S4_21rocsparse_index_base_PKT2_PKT3_PKS4_S5_PS6_PS9_PS4_,"axG",@progbits,_ZN9rocsparseL42csr2bsr_wavefront_per_row_multipass_kernelILj256ELj16ELj4E21rocsparse_complex_numIfEiiEEv20rocsparse_direction_T4_S4_S4_S4_S4_21rocsparse_index_base_PKT2_PKT3_PKS4_S5_PS6_PS9_PS4_,comdat
	.globl	_ZN9rocsparseL42csr2bsr_wavefront_per_row_multipass_kernelILj256ELj16ELj4E21rocsparse_complex_numIfEiiEEv20rocsparse_direction_T4_S4_S4_S4_S4_21rocsparse_index_base_PKT2_PKT3_PKS4_S5_PS6_PS9_PS4_ ; -- Begin function _ZN9rocsparseL42csr2bsr_wavefront_per_row_multipass_kernelILj256ELj16ELj4E21rocsparse_complex_numIfEiiEEv20rocsparse_direction_T4_S4_S4_S4_S4_21rocsparse_index_base_PKT2_PKT3_PKS4_S5_PS6_PS9_PS4_
	.p2align	8
	.type	_ZN9rocsparseL42csr2bsr_wavefront_per_row_multipass_kernelILj256ELj16ELj4E21rocsparse_complex_numIfEiiEEv20rocsparse_direction_T4_S4_S4_S4_S4_21rocsparse_index_base_PKT2_PKT3_PKS4_S5_PS6_PS9_PS4_,@function
_ZN9rocsparseL42csr2bsr_wavefront_per_row_multipass_kernelILj256ELj16ELj4E21rocsparse_complex_numIfEiiEEv20rocsparse_direction_T4_S4_S4_S4_S4_21rocsparse_index_base_PKT2_PKT3_PKS4_S5_PS6_PS9_PS4_: ; @_ZN9rocsparseL42csr2bsr_wavefront_per_row_multipass_kernelILj256ELj16ELj4E21rocsparse_complex_numIfEiiEEv20rocsparse_direction_T4_S4_S4_S4_S4_21rocsparse_index_base_PKT2_PKT3_PKS4_S5_PS6_PS9_PS4_
; %bb.0:
	s_load_dwordx2 s[14:15], s[0:1], 0x0
	s_load_dwordx4 s[4:7], s[0:1], 0xc
	s_load_dwordx2 s[8:9], s[0:1], 0x28
	v_lshrrev_b32_e32 v8, 4, v0
	v_bfe_u32 v4, v0, 2, 2
	v_lshl_or_b32 v6, s2, 4, v8
	s_waitcnt lgkmcnt(0)
	v_mad_u64_u32 v[2:3], s[2:3], v6, s6, v[4:5]
	v_cmp_gt_i32_e64 s[2:3], s15, v2
	v_cmp_gt_i32_e32 vcc, s6, v4
	s_and_b64 s[2:3], vcc, s[2:3]
	v_mov_b32_e32 v9, 0
	v_mov_b32_e32 v17, 0
	s_and_saveexec_b64 s[10:11], s[2:3]
	s_cbranch_execz .LBB73_2
; %bb.1:
	v_ashrrev_i32_e32 v3, 31, v2
	v_lshl_add_u64 v[10:11], v[2:3], 2, s[8:9]
	global_load_dword v1, v[10:11], off
	s_waitcnt vmcnt(0)
	v_subrev_u32_e32 v17, s7, v1
.LBB73_2:
	s_or_b64 exec, exec, s[10:11]
	s_and_saveexec_b64 s[10:11], s[2:3]
	s_cbranch_execz .LBB73_4
; %bb.3:
	v_ashrrev_i32_e32 v3, 31, v2
	v_lshl_add_u64 v[2:3], v[2:3], 2, s[8:9]
	global_load_dword v1, v[2:3], off offset:4
	s_waitcnt vmcnt(0)
	v_subrev_u32_e32 v9, s7, v1
.LBB73_4:
	s_or_b64 exec, exec, s[10:11]
	s_load_dword s20, s[0:1], 0x38
	v_cmp_gt_i32_e64 s[2:3], s4, v6
	v_mov_b32_e32 v2, 0
	s_and_saveexec_b64 s[8:9], s[2:3]
	s_cbranch_execz .LBB73_6
; %bb.5:
	s_load_dwordx2 s[2:3], s[0:1], 0x48
	v_ashrrev_i32_e32 v7, 31, v6
	s_waitcnt lgkmcnt(0)
	v_lshl_add_u64 v[2:3], v[6:7], 2, s[2:3]
	global_load_dword v1, v[2:3], off
	s_waitcnt vmcnt(0)
	v_subrev_u32_e32 v2, s20, v1
.LBB73_6:
	s_or_b64 exec, exec, s[8:9]
	s_cmp_lt_i32 s5, 1
	s_cbranch_scc1 .LBB73_21
; %bb.7:
	v_and_b32_e32 v10, 3, v0
	s_load_dwordx2 s[2:3], s[0:1], 0x20
	s_load_dwordx2 s[8:9], s[0:1], 0x50
	;; [unrolled: 1-line block ×4, first 2 shown]
	v_cmp_gt_u32_e64 s[0:1], s6, v10
	s_and_b64 s[12:13], vcc, s[0:1]
	s_cmp_eq_u32 s14, 0
	s_cselect_b64 vcc, -1, 0
	s_abs_i32 s4, s6
	v_cvt_f32_u32_e32 v3, s4
	v_and_b32_e32 v0, 0xf0, v0
	v_lshl_or_b32 v11, v4, 2, v0
	v_or_b32_e32 v0, v11, v10
	v_lshlrev_b32_e32 v12, 3, v0
	v_mov_b32_e32 v0, 0
	v_rcp_iflag_f32_e32 v3, v3
	v_mbcnt_lo_u32_b32 v1, -1, 0
	v_mul_lo_u32 v6, v10, s6
	v_mov_b32_e32 v7, v0
	v_mbcnt_hi_u32_b32 v1, -1, v1
	s_waitcnt lgkmcnt(0)
	v_lshl_add_u64 v[6:7], v[6:7], 3, s[16:17]
	v_lshlrev_b32_e32 v14, 3, v4
	v_mov_b32_e32 v15, v0
	v_mul_lo_u32 v4, v4, s6
	v_mov_b32_e32 v5, v0
	v_lshl_add_u64 v[6:7], v[6:7], 0, v[14:15]
	v_lshl_add_u64 v[4:5], v[4:5], 3, s[16:17]
	v_lshlrev_b32_e32 v14, 3, v10
	v_lshlrev_b32_e32 v1, 2, v1
	v_lshl_add_u64 v[4:5], v[4:5], 0, v[14:15]
	v_or_b32_e32 v13, 12, v1
	v_or_b32_e32 v14, 60, v1
	v_mul_f32_e32 v1, 0x4f7ffffe, v3
	v_cvt_u32_f32_e32 v1, v1
	s_sub_i32 s0, 0, s4
	s_mul_hi_u32 s21, s6, s6
	s_mul_i32 s22, s6, s6
	v_mul_lo_u32 v3, s0, v1
	v_mul_hi_u32 v3, v1, v3
	v_cndmask_b32_e32 v5, v7, v5, vcc
	v_cndmask_b32_e32 v4, v6, v4, vcc
	s_ashr_i32 s23, s6, 31
	v_add_u32_e32 v15, v1, v3
	s_mov_b64 s[14:15], 0
	v_mov_b32_e32 v1, v0
	v_mov_b32_e32 v16, 1
	;; [unrolled: 1-line block ×3, first 2 shown]
	s_branch .LBB73_10
.LBB73_8:                               ;   in Loop: Header=BB73_10 Depth=1
	s_or_b64 exec, exec, s[16:17]
	v_mov_b32_e32 v6, 1
.LBB73_9:                               ;   in Loop: Header=BB73_10 Depth=1
	s_or_b64 exec, exec, s[0:1]
	v_mov_b32_dpp v3, v18 row_shr:1 row_mask:0xf bank_mask:0xf
	v_min_i32_e32 v3, v3, v18
	v_add_u32_e32 v2, v6, v2
	s_waitcnt lgkmcnt(0)
	v_mov_b32_dpp v7, v3 row_shr:2 row_mask:0xf bank_mask:0xf
	v_min_i32_e32 v3, v7, v3
	s_nop 1
	v_mov_b32_dpp v7, v3 row_shr:4 row_mask:0xf bank_mask:0xe
	v_min_i32_e32 v3, v7, v3
	s_nop 1
	v_mov_b32_dpp v7, v3 row_shr:8 row_mask:0xf bank_mask:0xc
	v_min_i32_e32 v3, v7, v3
	ds_bpermute_b32 v3, v14, v3
	s_waitcnt lgkmcnt(0)
	v_cmp_le_i32_e32 vcc, s5, v3
	s_or_b64 s[14:15], vcc, s[14:15]
	s_andn2_b64 exec, exec, s[14:15]
	s_cbranch_execz .LBB73_21
.LBB73_10:                              ; =>This Loop Header: Depth=1
                                        ;     Child Loop BB73_13 Depth 2
	v_add_u32_e32 v6, v17, v10
	v_cmp_lt_i32_e32 vcc, v6, v9
	v_mov_b32_e32 v18, s5
	v_mov_b32_e32 v19, v9
	ds_write_b8 v8, v0 offset:2048
	ds_write_b64 v12, v[0:1]
	s_waitcnt lgkmcnt(0)
	s_and_saveexec_b64 s[16:17], vcc
	s_cbranch_execz .LBB73_18
; %bb.11:                               ;   in Loop: Header=BB73_10 Depth=1
	v_mul_lo_u32 v17, v3, s6
	s_mov_b64 s[18:19], 0
	v_mov_b32_e32 v18, s5
	v_mov_b32_e32 v19, v9
	s_branch .LBB73_13
.LBB73_12:                              ;   in Loop: Header=BB73_13 Depth=2
	s_or_b64 exec, exec, s[0:1]
	v_add_u32_e32 v6, 4, v6
	v_cmp_ge_i32_e64 s[0:1], v6, v9
	s_xor_b64 s[24:25], vcc, -1
	s_or_b64 s[0:1], s[24:25], s[0:1]
	s_and_b64 s[0:1], exec, s[0:1]
	s_or_b64 s[18:19], s[0:1], s[18:19]
	s_andn2_b64 exec, exec, s[18:19]
	s_cbranch_execz .LBB73_17
.LBB73_13:                              ;   Parent Loop BB73_10 Depth=1
                                        ; =>  This Inner Loop Header: Depth=2
	v_ashrrev_i32_e32 v7, 31, v6
	v_lshl_add_u64 v[20:21], v[6:7], 2, s[10:11]
	global_load_dword v20, v[20:21], off
	s_waitcnt vmcnt(0)
	v_subrev_u32_e32 v20, s7, v20
	v_sub_u32_e32 v22, 0, v20
	v_max_i32_e32 v22, v20, v22
	v_mul_hi_u32 v23, v22, v15
	v_mul_lo_u32 v24, v23, s4
	v_sub_u32_e32 v22, v22, v24
	v_add_u32_e32 v25, 1, v23
	v_cmp_le_u32_e32 vcc, s4, v22
	v_subrev_u32_e32 v24, s4, v22
	v_ashrrev_i32_e32 v21, 31, v20
	v_cndmask_b32_e32 v23, v23, v25, vcc
	v_cndmask_b32_e32 v22, v22, v24, vcc
	v_add_u32_e32 v24, 1, v23
	v_cmp_le_u32_e32 vcc, s4, v22
	v_xor_b32_e32 v21, s23, v21
	s_nop 0
	v_cndmask_b32_e32 v22, v23, v24, vcc
	v_xor_b32_e32 v22, v22, v21
	v_sub_u32_e32 v22, v22, v21
	v_cmp_eq_u32_e32 vcc, v22, v3
	v_cmp_ne_u32_e64 s[0:1], v22, v3
	v_mov_b32_e32 v21, v19
	s_and_saveexec_b64 s[24:25], s[0:1]
	s_xor_b64 s[0:1], exec, s[24:25]
; %bb.14:                               ;   in Loop: Header=BB73_13 Depth=2
	v_min_i32_e32 v18, v22, v18
                                        ; implicit-def: $vgpr20
                                        ; implicit-def: $vgpr21
; %bb.15:                               ;   in Loop: Header=BB73_13 Depth=2
	s_or_saveexec_b64 s[0:1], s[0:1]
	v_mov_b32_e32 v19, v6
	s_xor_b64 exec, exec, s[0:1]
	s_cbranch_execz .LBB73_12
; %bb.16:                               ;   in Loop: Header=BB73_13 Depth=2
	v_lshl_add_u64 v[22:23], v[6:7], 3, s[2:3]
	global_load_dwordx2 v[22:23], v[22:23], off
	v_sub_u32_e32 v7, v20, v17
	v_add_lshl_u32 v7, v7, v11, 3
	v_mov_b32_e32 v19, v21
	ds_write_b8 v8, v16 offset:2048
	s_waitcnt vmcnt(0)
	ds_write_b64 v7, v[22:23]
	s_branch .LBB73_12
.LBB73_17:                              ;   in Loop: Header=BB73_10 Depth=1
	s_or_b64 exec, exec, s[18:19]
.LBB73_18:                              ;   in Loop: Header=BB73_10 Depth=1
	s_or_b64 exec, exec, s[16:17]
	v_mov_b32_dpp v6, v19 row_shr:1 row_mask:0xf bank_mask:0xf
	v_min_i32_e32 v6, v6, v19
	s_waitcnt lgkmcnt(0)
	ds_read_u8 v7, v8 offset:2048
	v_mov_b32_dpp v17, v6 row_shr:2 row_mask:0xf bank_mask:0xf
	v_min_i32_e32 v6, v17, v6
	ds_bpermute_b32 v17, v13, v6
	s_waitcnt lgkmcnt(1)
	v_and_b32_e32 v6, 1, v7
	v_cmp_eq_u32_e32 vcc, 1, v6
	v_mov_b32_e32 v6, 0
	s_and_saveexec_b64 s[0:1], vcc
	s_cbranch_execz .LBB73_9
; %bb.19:                               ;   in Loop: Header=BB73_10 Depth=1
	v_add_u32_e32 v19, s20, v3
	v_ashrrev_i32_e32 v3, 31, v2
	v_lshl_add_u64 v[6:7], v[2:3], 2, s[8:9]
	global_store_dword v[6:7], v19, off
	s_and_saveexec_b64 s[16:17], s[12:13]
	s_cbranch_execz .LBB73_8
; %bb.20:                               ;   in Loop: Header=BB73_10 Depth=1
	ds_read_b64 v[6:7], v12
	v_mul_lo_u32 v19, s21, v2
	v_mul_lo_u32 v3, s22, v3
	v_mad_u64_u32 v[20:21], s[18:19], s22, v2, 0
	v_add3_u32 v21, v21, v3, v19
	v_lshl_add_u64 v[20:21], v[20:21], 3, v[4:5]
	s_waitcnt lgkmcnt(0)
	global_store_dwordx2 v[20:21], v[6:7], off
	s_branch .LBB73_8
.LBB73_21:
	s_endpgm
	.section	.rodata,"a",@progbits
	.p2align	6, 0x0
	.amdhsa_kernel _ZN9rocsparseL42csr2bsr_wavefront_per_row_multipass_kernelILj256ELj16ELj4E21rocsparse_complex_numIfEiiEEv20rocsparse_direction_T4_S4_S4_S4_S4_21rocsparse_index_base_PKT2_PKT3_PKS4_S5_PS6_PS9_PS4_
		.amdhsa_group_segment_fixed_size 2064
		.amdhsa_private_segment_fixed_size 0
		.amdhsa_kernarg_size 88
		.amdhsa_user_sgpr_count 2
		.amdhsa_user_sgpr_dispatch_ptr 0
		.amdhsa_user_sgpr_queue_ptr 0
		.amdhsa_user_sgpr_kernarg_segment_ptr 1
		.amdhsa_user_sgpr_dispatch_id 0
		.amdhsa_user_sgpr_kernarg_preload_length 0
		.amdhsa_user_sgpr_kernarg_preload_offset 0
		.amdhsa_user_sgpr_private_segment_size 0
		.amdhsa_uses_dynamic_stack 0
		.amdhsa_enable_private_segment 0
		.amdhsa_system_sgpr_workgroup_id_x 1
		.amdhsa_system_sgpr_workgroup_id_y 0
		.amdhsa_system_sgpr_workgroup_id_z 0
		.amdhsa_system_sgpr_workgroup_info 0
		.amdhsa_system_vgpr_workitem_id 0
		.amdhsa_next_free_vgpr 26
		.amdhsa_next_free_sgpr 26
		.amdhsa_accum_offset 28
		.amdhsa_reserve_vcc 1
		.amdhsa_float_round_mode_32 0
		.amdhsa_float_round_mode_16_64 0
		.amdhsa_float_denorm_mode_32 3
		.amdhsa_float_denorm_mode_16_64 3
		.amdhsa_dx10_clamp 1
		.amdhsa_ieee_mode 1
		.amdhsa_fp16_overflow 0
		.amdhsa_tg_split 0
		.amdhsa_exception_fp_ieee_invalid_op 0
		.amdhsa_exception_fp_denorm_src 0
		.amdhsa_exception_fp_ieee_div_zero 0
		.amdhsa_exception_fp_ieee_overflow 0
		.amdhsa_exception_fp_ieee_underflow 0
		.amdhsa_exception_fp_ieee_inexact 0
		.amdhsa_exception_int_div_zero 0
	.end_amdhsa_kernel
	.section	.text._ZN9rocsparseL42csr2bsr_wavefront_per_row_multipass_kernelILj256ELj16ELj4E21rocsparse_complex_numIfEiiEEv20rocsparse_direction_T4_S4_S4_S4_S4_21rocsparse_index_base_PKT2_PKT3_PKS4_S5_PS6_PS9_PS4_,"axG",@progbits,_ZN9rocsparseL42csr2bsr_wavefront_per_row_multipass_kernelILj256ELj16ELj4E21rocsparse_complex_numIfEiiEEv20rocsparse_direction_T4_S4_S4_S4_S4_21rocsparse_index_base_PKT2_PKT3_PKS4_S5_PS6_PS9_PS4_,comdat
.Lfunc_end73:
	.size	_ZN9rocsparseL42csr2bsr_wavefront_per_row_multipass_kernelILj256ELj16ELj4E21rocsparse_complex_numIfEiiEEv20rocsparse_direction_T4_S4_S4_S4_S4_21rocsparse_index_base_PKT2_PKT3_PKS4_S5_PS6_PS9_PS4_, .Lfunc_end73-_ZN9rocsparseL42csr2bsr_wavefront_per_row_multipass_kernelILj256ELj16ELj4E21rocsparse_complex_numIfEiiEEv20rocsparse_direction_T4_S4_S4_S4_S4_21rocsparse_index_base_PKT2_PKT3_PKS4_S5_PS6_PS9_PS4_
                                        ; -- End function
	.section	.AMDGPU.csdata,"",@progbits
; Kernel info:
; codeLenInByte = 1108
; NumSgprs: 32
; NumVgprs: 26
; NumAgprs: 0
; TotalNumVgprs: 26
; ScratchSize: 0
; MemoryBound: 0
; FloatMode: 240
; IeeeMode: 1
; LDSByteSize: 2064 bytes/workgroup (compile time only)
; SGPRBlocks: 3
; VGPRBlocks: 3
; NumSGPRsForWavesPerEU: 32
; NumVGPRsForWavesPerEU: 26
; AccumOffset: 28
; Occupancy: 8
; WaveLimiterHint : 0
; COMPUTE_PGM_RSRC2:SCRATCH_EN: 0
; COMPUTE_PGM_RSRC2:USER_SGPR: 2
; COMPUTE_PGM_RSRC2:TRAP_HANDLER: 0
; COMPUTE_PGM_RSRC2:TGID_X_EN: 1
; COMPUTE_PGM_RSRC2:TGID_Y_EN: 0
; COMPUTE_PGM_RSRC2:TGID_Z_EN: 0
; COMPUTE_PGM_RSRC2:TIDIG_COMP_CNT: 0
; COMPUTE_PGM_RSRC3_GFX90A:ACCUM_OFFSET: 6
; COMPUTE_PGM_RSRC3_GFX90A:TG_SPLIT: 0
	.section	.text._ZN9rocsparseL42csr2bsr_wavefront_per_row_multipass_kernelILj256ELj64ELj8E21rocsparse_complex_numIfEiiEEv20rocsparse_direction_T4_S4_S4_S4_S4_21rocsparse_index_base_PKT2_PKT3_PKS4_S5_PS6_PS9_PS4_,"axG",@progbits,_ZN9rocsparseL42csr2bsr_wavefront_per_row_multipass_kernelILj256ELj64ELj8E21rocsparse_complex_numIfEiiEEv20rocsparse_direction_T4_S4_S4_S4_S4_21rocsparse_index_base_PKT2_PKT3_PKS4_S5_PS6_PS9_PS4_,comdat
	.globl	_ZN9rocsparseL42csr2bsr_wavefront_per_row_multipass_kernelILj256ELj64ELj8E21rocsparse_complex_numIfEiiEEv20rocsparse_direction_T4_S4_S4_S4_S4_21rocsparse_index_base_PKT2_PKT3_PKS4_S5_PS6_PS9_PS4_ ; -- Begin function _ZN9rocsparseL42csr2bsr_wavefront_per_row_multipass_kernelILj256ELj64ELj8E21rocsparse_complex_numIfEiiEEv20rocsparse_direction_T4_S4_S4_S4_S4_21rocsparse_index_base_PKT2_PKT3_PKS4_S5_PS6_PS9_PS4_
	.p2align	8
	.type	_ZN9rocsparseL42csr2bsr_wavefront_per_row_multipass_kernelILj256ELj64ELj8E21rocsparse_complex_numIfEiiEEv20rocsparse_direction_T4_S4_S4_S4_S4_21rocsparse_index_base_PKT2_PKT3_PKS4_S5_PS6_PS9_PS4_,@function
_ZN9rocsparseL42csr2bsr_wavefront_per_row_multipass_kernelILj256ELj64ELj8E21rocsparse_complex_numIfEiiEEv20rocsparse_direction_T4_S4_S4_S4_S4_21rocsparse_index_base_PKT2_PKT3_PKS4_S5_PS6_PS9_PS4_: ; @_ZN9rocsparseL42csr2bsr_wavefront_per_row_multipass_kernelILj256ELj64ELj8E21rocsparse_complex_numIfEiiEEv20rocsparse_direction_T4_S4_S4_S4_S4_21rocsparse_index_base_PKT2_PKT3_PKS4_S5_PS6_PS9_PS4_
; %bb.0:
	s_load_dwordx2 s[14:15], s[0:1], 0x0
	s_load_dwordx4 s[4:7], s[0:1], 0xc
	s_load_dwordx2 s[8:9], s[0:1], 0x28
	v_lshrrev_b32_e32 v8, 6, v0
	v_bfe_u32 v4, v0, 3, 3
	v_lshl_or_b32 v6, s2, 2, v8
	s_waitcnt lgkmcnt(0)
	v_mad_u64_u32 v[2:3], s[2:3], v6, s6, v[4:5]
	v_cmp_gt_i32_e64 s[2:3], s15, v2
	v_cmp_gt_i32_e32 vcc, s6, v4
	s_and_b64 s[2:3], vcc, s[2:3]
	v_mov_b32_e32 v9, 0
	v_mov_b32_e32 v17, 0
	s_and_saveexec_b64 s[10:11], s[2:3]
	s_cbranch_execz .LBB74_2
; %bb.1:
	v_ashrrev_i32_e32 v3, 31, v2
	v_lshl_add_u64 v[10:11], v[2:3], 2, s[8:9]
	global_load_dword v1, v[10:11], off
	s_waitcnt vmcnt(0)
	v_subrev_u32_e32 v17, s7, v1
.LBB74_2:
	s_or_b64 exec, exec, s[10:11]
	s_and_saveexec_b64 s[10:11], s[2:3]
	s_cbranch_execz .LBB74_4
; %bb.3:
	v_ashrrev_i32_e32 v3, 31, v2
	v_lshl_add_u64 v[2:3], v[2:3], 2, s[8:9]
	global_load_dword v1, v[2:3], off offset:4
	s_waitcnt vmcnt(0)
	v_subrev_u32_e32 v9, s7, v1
.LBB74_4:
	s_or_b64 exec, exec, s[10:11]
	s_load_dword s20, s[0:1], 0x38
	v_cmp_gt_i32_e64 s[2:3], s4, v6
	v_mov_b32_e32 v2, 0
	s_and_saveexec_b64 s[8:9], s[2:3]
	s_cbranch_execz .LBB74_6
; %bb.5:
	s_load_dwordx2 s[2:3], s[0:1], 0x48
	v_ashrrev_i32_e32 v7, 31, v6
	s_waitcnt lgkmcnt(0)
	v_lshl_add_u64 v[2:3], v[6:7], 2, s[2:3]
	global_load_dword v1, v[2:3], off
	s_waitcnt vmcnt(0)
	v_subrev_u32_e32 v2, s20, v1
.LBB74_6:
	s_or_b64 exec, exec, s[8:9]
	s_cmp_lt_i32 s5, 1
	s_cbranch_scc1 .LBB74_21
; %bb.7:
	s_load_dwordx2 s[2:3], s[0:1], 0x20
	s_load_dwordx2 s[8:9], s[0:1], 0x50
	;; [unrolled: 1-line block ×4, first 2 shown]
	v_and_b32_e32 v10, 7, v0
	v_lshlrev_b32_e32 v6, 3, v4
	s_movk_i32 s0, 0xc0
	v_and_or_b32 v11, v0, s0, v6
	v_cmp_gt_u32_e64 s[0:1], s6, v10
	s_and_b64 s[12:13], vcc, s[0:1]
	s_cmp_eq_u32 s14, 0
	s_cselect_b64 vcc, -1, 0
	s_abs_i32 s4, s6
	v_cvt_f32_u32_e32 v3, s4
	v_or_b32_e32 v0, v11, v10
	v_lshlrev_b32_e32 v12, 3, v0
	v_mov_b32_e32 v0, 0
	v_rcp_iflag_f32_e32 v3, v3
	v_mbcnt_lo_u32_b32 v1, -1, 0
	v_mul_lo_u32 v14, v10, s6
	v_mov_b32_e32 v15, v0
	v_mbcnt_hi_u32_b32 v1, -1, v1
	s_waitcnt lgkmcnt(0)
	v_lshl_add_u64 v[14:15], v[14:15], 3, s[16:17]
	v_mov_b32_e32 v7, v0
	v_mul_lo_u32 v4, v4, s6
	v_mov_b32_e32 v5, v0
	v_lshl_add_u64 v[6:7], v[14:15], 0, v[6:7]
	v_lshl_add_u64 v[4:5], v[4:5], 3, s[16:17]
	v_lshlrev_b32_e32 v14, 3, v10
	v_mov_b32_e32 v15, v0
	v_lshlrev_b32_e32 v1, 2, v1
	v_lshl_add_u64 v[4:5], v[4:5], 0, v[14:15]
	v_or_b32_e32 v13, 28, v1
	v_or_b32_e32 v14, 0xfc, v1
	v_mul_f32_e32 v1, 0x4f7ffffe, v3
	v_cvt_u32_f32_e32 v1, v1
	s_sub_i32 s0, 0, s4
	s_mul_hi_u32 s21, s6, s6
	s_mul_i32 s22, s6, s6
	v_mul_lo_u32 v3, s0, v1
	v_mul_hi_u32 v3, v1, v3
	v_cndmask_b32_e32 v5, v7, v5, vcc
	v_cndmask_b32_e32 v4, v6, v4, vcc
	s_ashr_i32 s23, s6, 31
	v_add_u32_e32 v15, v1, v3
	s_mov_b64 s[14:15], 0
	v_mov_b32_e32 v1, v0
	v_mov_b32_e32 v16, 1
	;; [unrolled: 1-line block ×3, first 2 shown]
	s_branch .LBB74_10
.LBB74_8:                               ;   in Loop: Header=BB74_10 Depth=1
	s_or_b64 exec, exec, s[16:17]
	v_mov_b32_e32 v6, 1
.LBB74_9:                               ;   in Loop: Header=BB74_10 Depth=1
	s_or_b64 exec, exec, s[0:1]
	v_mov_b32_dpp v3, v18 row_shr:1 row_mask:0xf bank_mask:0xf
	v_min_i32_e32 v3, v3, v18
	v_add_u32_e32 v2, v6, v2
	s_waitcnt lgkmcnt(0)
	v_mov_b32_dpp v7, v3 row_shr:2 row_mask:0xf bank_mask:0xf
	v_min_i32_e32 v3, v7, v3
	s_nop 1
	v_mov_b32_dpp v7, v3 row_shr:4 row_mask:0xf bank_mask:0xe
	v_min_i32_e32 v3, v7, v3
	s_nop 1
	;; [unrolled: 3-line block ×3, first 2 shown]
	v_mov_b32_dpp v7, v3 row_bcast:15 row_mask:0xa bank_mask:0xf
	v_min_i32_e32 v3, v7, v3
	s_nop 1
	v_mov_b32_dpp v7, v3 row_bcast:31 row_mask:0xc bank_mask:0xf
	v_min_i32_e32 v3, v7, v3
	ds_bpermute_b32 v3, v14, v3
	s_waitcnt lgkmcnt(0)
	v_cmp_le_i32_e32 vcc, s5, v3
	s_or_b64 s[14:15], vcc, s[14:15]
	s_andn2_b64 exec, exec, s[14:15]
	s_cbranch_execz .LBB74_21
.LBB74_10:                              ; =>This Loop Header: Depth=1
                                        ;     Child Loop BB74_13 Depth 2
	v_add_u32_e32 v6, v17, v10
	v_cmp_lt_i32_e32 vcc, v6, v9
	v_mov_b32_e32 v18, s5
	v_mov_b32_e32 v19, v9
	ds_write_b8 v8, v0 offset:2048
	ds_write_b64 v12, v[0:1]
	s_waitcnt lgkmcnt(0)
	s_and_saveexec_b64 s[16:17], vcc
	s_cbranch_execz .LBB74_18
; %bb.11:                               ;   in Loop: Header=BB74_10 Depth=1
	v_mul_lo_u32 v17, v3, s6
	s_mov_b64 s[18:19], 0
	v_mov_b32_e32 v18, s5
	v_mov_b32_e32 v19, v9
	s_branch .LBB74_13
.LBB74_12:                              ;   in Loop: Header=BB74_13 Depth=2
	s_or_b64 exec, exec, s[0:1]
	v_add_u32_e32 v6, 8, v6
	v_cmp_ge_i32_e64 s[0:1], v6, v9
	s_xor_b64 s[24:25], vcc, -1
	s_or_b64 s[0:1], s[24:25], s[0:1]
	s_and_b64 s[0:1], exec, s[0:1]
	s_or_b64 s[18:19], s[0:1], s[18:19]
	s_andn2_b64 exec, exec, s[18:19]
	s_cbranch_execz .LBB74_17
.LBB74_13:                              ;   Parent Loop BB74_10 Depth=1
                                        ; =>  This Inner Loop Header: Depth=2
	v_ashrrev_i32_e32 v7, 31, v6
	v_lshl_add_u64 v[20:21], v[6:7], 2, s[10:11]
	global_load_dword v20, v[20:21], off
	s_waitcnt vmcnt(0)
	v_subrev_u32_e32 v20, s7, v20
	v_sub_u32_e32 v22, 0, v20
	v_max_i32_e32 v22, v20, v22
	v_mul_hi_u32 v23, v22, v15
	v_mul_lo_u32 v24, v23, s4
	v_sub_u32_e32 v22, v22, v24
	v_add_u32_e32 v25, 1, v23
	v_cmp_le_u32_e32 vcc, s4, v22
	v_subrev_u32_e32 v24, s4, v22
	v_ashrrev_i32_e32 v21, 31, v20
	v_cndmask_b32_e32 v23, v23, v25, vcc
	v_cndmask_b32_e32 v22, v22, v24, vcc
	v_add_u32_e32 v24, 1, v23
	v_cmp_le_u32_e32 vcc, s4, v22
	v_xor_b32_e32 v21, s23, v21
	s_nop 0
	v_cndmask_b32_e32 v22, v23, v24, vcc
	v_xor_b32_e32 v22, v22, v21
	v_sub_u32_e32 v22, v22, v21
	v_cmp_eq_u32_e32 vcc, v22, v3
	v_cmp_ne_u32_e64 s[0:1], v22, v3
	v_mov_b32_e32 v21, v19
	s_and_saveexec_b64 s[24:25], s[0:1]
	s_xor_b64 s[0:1], exec, s[24:25]
; %bb.14:                               ;   in Loop: Header=BB74_13 Depth=2
	v_min_i32_e32 v18, v22, v18
                                        ; implicit-def: $vgpr20
                                        ; implicit-def: $vgpr21
; %bb.15:                               ;   in Loop: Header=BB74_13 Depth=2
	s_or_saveexec_b64 s[0:1], s[0:1]
	v_mov_b32_e32 v19, v6
	s_xor_b64 exec, exec, s[0:1]
	s_cbranch_execz .LBB74_12
; %bb.16:                               ;   in Loop: Header=BB74_13 Depth=2
	v_lshl_add_u64 v[22:23], v[6:7], 3, s[2:3]
	global_load_dwordx2 v[22:23], v[22:23], off
	v_sub_u32_e32 v7, v20, v17
	v_add_lshl_u32 v7, v7, v11, 3
	v_mov_b32_e32 v19, v21
	ds_write_b8 v8, v16 offset:2048
	s_waitcnt vmcnt(0)
	ds_write_b64 v7, v[22:23]
	s_branch .LBB74_12
.LBB74_17:                              ;   in Loop: Header=BB74_10 Depth=1
	s_or_b64 exec, exec, s[18:19]
.LBB74_18:                              ;   in Loop: Header=BB74_10 Depth=1
	s_or_b64 exec, exec, s[16:17]
	v_mov_b32_dpp v6, v19 row_shr:1 row_mask:0xf bank_mask:0xf
	v_min_i32_e32 v6, v6, v19
	s_waitcnt lgkmcnt(0)
	s_nop 0
	v_mov_b32_dpp v7, v6 row_shr:2 row_mask:0xf bank_mask:0xf
	v_min_i32_e32 v6, v7, v6
	ds_read_u8 v7, v8 offset:2048
	s_nop 0
	v_mov_b32_dpp v17, v6 row_shr:4 row_mask:0xf bank_mask:0xe
	v_min_i32_e32 v6, v17, v6
	ds_bpermute_b32 v17, v13, v6
	s_waitcnt lgkmcnt(1)
	v_and_b32_e32 v6, 1, v7
	v_cmp_eq_u32_e32 vcc, 1, v6
	v_mov_b32_e32 v6, 0
	s_and_saveexec_b64 s[0:1], vcc
	s_cbranch_execz .LBB74_9
; %bb.19:                               ;   in Loop: Header=BB74_10 Depth=1
	v_add_u32_e32 v19, s20, v3
	v_ashrrev_i32_e32 v3, 31, v2
	v_lshl_add_u64 v[6:7], v[2:3], 2, s[8:9]
	global_store_dword v[6:7], v19, off
	s_and_saveexec_b64 s[16:17], s[12:13]
	s_cbranch_execz .LBB74_8
; %bb.20:                               ;   in Loop: Header=BB74_10 Depth=1
	ds_read_b64 v[6:7], v12
	v_mul_lo_u32 v19, s21, v2
	v_mul_lo_u32 v3, s22, v3
	v_mad_u64_u32 v[20:21], s[18:19], s22, v2, 0
	v_add3_u32 v21, v21, v3, v19
	v_lshl_add_u64 v[20:21], v[20:21], 3, v[4:5]
	s_waitcnt lgkmcnt(0)
	global_store_dwordx2 v[20:21], v[6:7], off
	s_branch .LBB74_8
.LBB74_21:
	s_endpgm
	.section	.rodata,"a",@progbits
	.p2align	6, 0x0
	.amdhsa_kernel _ZN9rocsparseL42csr2bsr_wavefront_per_row_multipass_kernelILj256ELj64ELj8E21rocsparse_complex_numIfEiiEEv20rocsparse_direction_T4_S4_S4_S4_S4_21rocsparse_index_base_PKT2_PKT3_PKS4_S5_PS6_PS9_PS4_
		.amdhsa_group_segment_fixed_size 2052
		.amdhsa_private_segment_fixed_size 0
		.amdhsa_kernarg_size 88
		.amdhsa_user_sgpr_count 2
		.amdhsa_user_sgpr_dispatch_ptr 0
		.amdhsa_user_sgpr_queue_ptr 0
		.amdhsa_user_sgpr_kernarg_segment_ptr 1
		.amdhsa_user_sgpr_dispatch_id 0
		.amdhsa_user_sgpr_kernarg_preload_length 0
		.amdhsa_user_sgpr_kernarg_preload_offset 0
		.amdhsa_user_sgpr_private_segment_size 0
		.amdhsa_uses_dynamic_stack 0
		.amdhsa_enable_private_segment 0
		.amdhsa_system_sgpr_workgroup_id_x 1
		.amdhsa_system_sgpr_workgroup_id_y 0
		.amdhsa_system_sgpr_workgroup_id_z 0
		.amdhsa_system_sgpr_workgroup_info 0
		.amdhsa_system_vgpr_workitem_id 0
		.amdhsa_next_free_vgpr 26
		.amdhsa_next_free_sgpr 26
		.amdhsa_accum_offset 28
		.amdhsa_reserve_vcc 1
		.amdhsa_float_round_mode_32 0
		.amdhsa_float_round_mode_16_64 0
		.amdhsa_float_denorm_mode_32 3
		.amdhsa_float_denorm_mode_16_64 3
		.amdhsa_dx10_clamp 1
		.amdhsa_ieee_mode 1
		.amdhsa_fp16_overflow 0
		.amdhsa_tg_split 0
		.amdhsa_exception_fp_ieee_invalid_op 0
		.amdhsa_exception_fp_denorm_src 0
		.amdhsa_exception_fp_ieee_div_zero 0
		.amdhsa_exception_fp_ieee_overflow 0
		.amdhsa_exception_fp_ieee_underflow 0
		.amdhsa_exception_fp_ieee_inexact 0
		.amdhsa_exception_int_div_zero 0
	.end_amdhsa_kernel
	.section	.text._ZN9rocsparseL42csr2bsr_wavefront_per_row_multipass_kernelILj256ELj64ELj8E21rocsparse_complex_numIfEiiEEv20rocsparse_direction_T4_S4_S4_S4_S4_21rocsparse_index_base_PKT2_PKT3_PKS4_S5_PS6_PS9_PS4_,"axG",@progbits,_ZN9rocsparseL42csr2bsr_wavefront_per_row_multipass_kernelILj256ELj64ELj8E21rocsparse_complex_numIfEiiEEv20rocsparse_direction_T4_S4_S4_S4_S4_21rocsparse_index_base_PKT2_PKT3_PKS4_S5_PS6_PS9_PS4_,comdat
.Lfunc_end74:
	.size	_ZN9rocsparseL42csr2bsr_wavefront_per_row_multipass_kernelILj256ELj64ELj8E21rocsparse_complex_numIfEiiEEv20rocsparse_direction_T4_S4_S4_S4_S4_21rocsparse_index_base_PKT2_PKT3_PKS4_S5_PS6_PS9_PS4_, .Lfunc_end74-_ZN9rocsparseL42csr2bsr_wavefront_per_row_multipass_kernelILj256ELj64ELj8E21rocsparse_complex_numIfEiiEEv20rocsparse_direction_T4_S4_S4_S4_S4_21rocsparse_index_base_PKT2_PKT3_PKS4_S5_PS6_PS9_PS4_
                                        ; -- End function
	.section	.AMDGPU.csdata,"",@progbits
; Kernel info:
; codeLenInByte = 1164
; NumSgprs: 32
; NumVgprs: 26
; NumAgprs: 0
; TotalNumVgprs: 26
; ScratchSize: 0
; MemoryBound: 0
; FloatMode: 240
; IeeeMode: 1
; LDSByteSize: 2052 bytes/workgroup (compile time only)
; SGPRBlocks: 3
; VGPRBlocks: 3
; NumSGPRsForWavesPerEU: 32
; NumVGPRsForWavesPerEU: 26
; AccumOffset: 28
; Occupancy: 8
; WaveLimiterHint : 0
; COMPUTE_PGM_RSRC2:SCRATCH_EN: 0
; COMPUTE_PGM_RSRC2:USER_SGPR: 2
; COMPUTE_PGM_RSRC2:TRAP_HANDLER: 0
; COMPUTE_PGM_RSRC2:TGID_X_EN: 1
; COMPUTE_PGM_RSRC2:TGID_Y_EN: 0
; COMPUTE_PGM_RSRC2:TGID_Z_EN: 0
; COMPUTE_PGM_RSRC2:TIDIG_COMP_CNT: 0
; COMPUTE_PGM_RSRC3_GFX90A:ACCUM_OFFSET: 6
; COMPUTE_PGM_RSRC3_GFX90A:TG_SPLIT: 0
	.section	.text._ZN9rocsparseL42csr2bsr_wavefront_per_row_multipass_kernelILj256ELj32ELj8E21rocsparse_complex_numIfEiiEEv20rocsparse_direction_T4_S4_S4_S4_S4_21rocsparse_index_base_PKT2_PKT3_PKS4_S5_PS6_PS9_PS4_,"axG",@progbits,_ZN9rocsparseL42csr2bsr_wavefront_per_row_multipass_kernelILj256ELj32ELj8E21rocsparse_complex_numIfEiiEEv20rocsparse_direction_T4_S4_S4_S4_S4_21rocsparse_index_base_PKT2_PKT3_PKS4_S5_PS6_PS9_PS4_,comdat
	.globl	_ZN9rocsparseL42csr2bsr_wavefront_per_row_multipass_kernelILj256ELj32ELj8E21rocsparse_complex_numIfEiiEEv20rocsparse_direction_T4_S4_S4_S4_S4_21rocsparse_index_base_PKT2_PKT3_PKS4_S5_PS6_PS9_PS4_ ; -- Begin function _ZN9rocsparseL42csr2bsr_wavefront_per_row_multipass_kernelILj256ELj32ELj8E21rocsparse_complex_numIfEiiEEv20rocsparse_direction_T4_S4_S4_S4_S4_21rocsparse_index_base_PKT2_PKT3_PKS4_S5_PS6_PS9_PS4_
	.p2align	8
	.type	_ZN9rocsparseL42csr2bsr_wavefront_per_row_multipass_kernelILj256ELj32ELj8E21rocsparse_complex_numIfEiiEEv20rocsparse_direction_T4_S4_S4_S4_S4_21rocsparse_index_base_PKT2_PKT3_PKS4_S5_PS6_PS9_PS4_,@function
_ZN9rocsparseL42csr2bsr_wavefront_per_row_multipass_kernelILj256ELj32ELj8E21rocsparse_complex_numIfEiiEEv20rocsparse_direction_T4_S4_S4_S4_S4_21rocsparse_index_base_PKT2_PKT3_PKS4_S5_PS6_PS9_PS4_: ; @_ZN9rocsparseL42csr2bsr_wavefront_per_row_multipass_kernelILj256ELj32ELj8E21rocsparse_complex_numIfEiiEEv20rocsparse_direction_T4_S4_S4_S4_S4_21rocsparse_index_base_PKT2_PKT3_PKS4_S5_PS6_PS9_PS4_
; %bb.0:
	s_load_dwordx2 s[4:5], s[0:1], 0x0
	s_load_dwordx4 s[8:11], s[0:1], 0xc
	s_load_dwordx2 s[6:7], s[0:1], 0x28
	v_lshrrev_b32_e32 v1, 5, v0
	v_bfe_u32 v8, v0, 2, 3
	v_lshl_or_b32 v4, s2, 3, v1
	s_waitcnt lgkmcnt(0)
	v_mad_u64_u32 v[2:3], s[2:3], v4, s10, v[8:9]
	v_cmp_gt_i32_e32 vcc, s5, v2
	v_cmp_gt_i32_e64 s[2:3], s10, v8
	s_and_b64 s[12:13], s[2:3], vcc
	v_mov_b32_e32 v20, 0
	v_mov_b32_e32 v28, 0
	s_and_saveexec_b64 s[14:15], s[12:13]
	s_cbranch_execz .LBB75_2
; %bb.1:
	v_ashrrev_i32_e32 v3, 31, v2
	v_lshl_add_u64 v[6:7], v[2:3], 2, s[6:7]
	global_load_dword v3, v[6:7], off
	s_waitcnt vmcnt(0)
	v_subrev_u32_e32 v28, s11, v3
.LBB75_2:
	s_or_b64 exec, exec, s[14:15]
	s_and_saveexec_b64 s[14:15], s[12:13]
	s_cbranch_execz .LBB75_4
; %bb.3:
	v_ashrrev_i32_e32 v3, 31, v2
	v_lshl_add_u64 v[2:3], v[2:3], 2, s[6:7]
	global_load_dword v2, v[2:3], off offset:4
	s_waitcnt vmcnt(0)
	v_subrev_u32_e32 v20, s11, v2
.LBB75_4:
	s_or_b64 exec, exec, s[14:15]
	s_load_dword s24, s[0:1], 0x38
	v_cmp_gt_i32_e32 vcc, s8, v4
	v_mov_b32_e32 v2, 0
	s_and_saveexec_b64 s[6:7], vcc
	s_cbranch_execz .LBB75_6
; %bb.5:
	s_load_dwordx2 s[12:13], s[0:1], 0x48
	v_ashrrev_i32_e32 v5, 31, v4
	s_waitcnt lgkmcnt(0)
	v_lshl_add_u64 v[2:3], v[4:5], 2, s[12:13]
	global_load_dword v2, v[2:3], off
	s_waitcnt vmcnt(0)
	v_subrev_u32_e32 v2, s24, v2
.LBB75_6:
	s_or_b64 exec, exec, s[6:7]
	s_cmp_lt_i32 s9, 1
	s_cbranch_scc1 .LBB75_23
; %bb.7:
	v_mbcnt_lo_u32_b32 v3, -1, 0
	v_lshlrev_b32_e32 v4, 3, v8
	v_mbcnt_hi_u32_b32 v3, -1, v3
	v_and_b32_e32 v0, 3, v0
	v_lshl_or_b32 v21, v1, 6, v4
	v_lshlrev_b32_e32 v3, 2, v3
	s_cmp_eq_u32 s4, 0
	v_or_b32_e32 v23, 12, v3
	s_cselect_b64 vcc, -1, 0
	v_or_b32_e32 v24, 0x7c, v3
	v_or_b32_e32 v3, v21, v0
	s_abs_i32 s26, s10
	v_lshlrev_b32_e32 v25, 3, v3
	v_cvt_f32_u32_e32 v3, s26
	s_load_dwordx2 s[6:7], s[0:1], 0x20
	s_load_dwordx2 s[12:13], s[0:1], 0x50
	;; [unrolled: 1-line block ×4, first 2 shown]
	v_mov_b32_e32 v5, 0
	v_cmp_gt_u32_e64 s[0:1], s10, v0
	v_rcp_iflag_f32_e32 v3, v3
	s_waitcnt lgkmcnt(0)
	v_lshl_add_u64 v[6:7], s[16:17], 0, v[4:5]
	v_mul_lo_u32 v4, v8, s10
	v_lshl_add_u64 v[8:9], v[4:5], 3, s[16:17]
	v_mul_f32_e32 v3, 0x4f7ffffe, v3
	v_cvt_u32_f32_e32 v3, v3
	v_or_b32_e32 v4, 4, v0
	s_and_b64 s[16:17], s[0:1], s[2:3]
	s_sub_i32 s0, 0, s26
	s_mov_b32 s20, 0
	v_cmp_gt_u32_e64 s[4:5], s10, v4
	v_mul_lo_u32 v4, s0, v3
	v_mul_lo_u32 v10, v0, s10
	v_mul_hi_u32 v4, v3, v4
	s_mov_b32 s21, s20
	v_mov_b32_e32 v22, 0
	s_mul_hi_u32 s8, s10, s10
	s_mul_i32 s25, s10, s10
	v_mov_b32_e32 v11, v5
	v_lshl_add_u32 v12, s10, 2, v10
	v_mov_b32_e32 v13, v5
	s_and_b64 s[4:5], s[2:3], s[4:5]
	s_ashr_i32 s27, s10, 31
	v_add_u32_e32 v26, v3, v4
	s_mov_b64 s[18:19], 0
	v_mov_b64_e32 v[14:15], s[20:21]
	v_mov_b32_e32 v27, 1
	v_mov_b32_e32 v3, 0
	s_branch .LBB75_10
.LBB75_8:                               ;   in Loop: Header=BB75_10 Depth=1
	s_or_b64 exec, exec, s[0:1]
	v_mov_b32_e32 v4, 1
.LBB75_9:                               ;   in Loop: Header=BB75_10 Depth=1
	s_or_b64 exec, exec, s[2:3]
	v_mov_b32_dpp v3, v29 row_shr:1 row_mask:0xf bank_mask:0xf
	v_min_i32_e32 v3, v3, v29
	v_add_u32_e32 v2, v4, v2
	s_waitcnt lgkmcnt(0)
	v_mov_b32_dpp v16, v3 row_shr:2 row_mask:0xf bank_mask:0xf
	v_min_i32_e32 v3, v16, v3
	s_nop 1
	v_mov_b32_dpp v16, v3 row_shr:4 row_mask:0xf bank_mask:0xe
	v_min_i32_e32 v3, v16, v3
	s_nop 1
	;; [unrolled: 3-line block ×3, first 2 shown]
	v_mov_b32_dpp v16, v3 row_bcast:15 row_mask:0xa bank_mask:0xf
	v_min_i32_e32 v3, v16, v3
	ds_bpermute_b32 v3, v24, v3
	s_waitcnt lgkmcnt(0)
	v_cmp_le_i32_e64 s[0:1], s9, v3
	s_or_b64 s[18:19], s[0:1], s[18:19]
	s_andn2_b64 exec, exec, s[18:19]
	s_cbranch_execz .LBB75_23
.LBB75_10:                              ; =>This Loop Header: Depth=1
                                        ;     Child Loop BB75_13 Depth 2
	v_add_u32_e32 v16, v28, v0
	v_cmp_lt_i32_e64 s[0:1], v16, v20
	v_mov_b32_e32 v29, s9
	v_mov_b32_e32 v18, v20
	ds_write_b8 v1, v22 offset:4096
	ds_write2_b64 v25, v[14:15], v[14:15] offset1:4
	s_waitcnt lgkmcnt(0)
	s_and_saveexec_b64 s[20:21], s[0:1]
	s_cbranch_execz .LBB75_18
; %bb.11:                               ;   in Loop: Header=BB75_10 Depth=1
	v_mul_lo_u32 v4, v3, s10
	s_mov_b64 s[22:23], 0
	v_mov_b32_e32 v29, s9
	v_mov_b32_e32 v18, v20
	s_branch .LBB75_13
.LBB75_12:                              ;   in Loop: Header=BB75_13 Depth=2
	s_or_b64 exec, exec, s[2:3]
	v_add_u32_e32 v16, 4, v16
	v_cmp_ge_i32_e64 s[2:3], v16, v20
	s_xor_b64 s[0:1], s[0:1], -1
	s_or_b64 s[0:1], s[0:1], s[2:3]
	s_and_b64 s[0:1], exec, s[0:1]
	s_or_b64 s[22:23], s[0:1], s[22:23]
	s_andn2_b64 exec, exec, s[22:23]
	s_cbranch_execz .LBB75_17
.LBB75_13:                              ;   Parent Loop BB75_10 Depth=1
                                        ; =>  This Inner Loop Header: Depth=2
	v_ashrrev_i32_e32 v17, 31, v16
	v_lshl_add_u64 v[30:31], v[16:17], 2, s[14:15]
	global_load_dword v19, v[30:31], off
	s_waitcnt vmcnt(0)
	v_subrev_u32_e32 v19, s11, v19
	v_sub_u32_e32 v30, 0, v19
	v_max_i32_e32 v30, v19, v30
	v_mul_hi_u32 v31, v30, v26
	v_mul_lo_u32 v32, v31, s26
	v_sub_u32_e32 v30, v30, v32
	v_add_u32_e32 v33, 1, v31
	v_cmp_le_u32_e64 s[0:1], s26, v30
	v_subrev_u32_e32 v32, s26, v30
	v_ashrrev_i32_e32 v28, 31, v19
	v_cndmask_b32_e64 v31, v31, v33, s[0:1]
	v_cndmask_b32_e64 v30, v30, v32, s[0:1]
	v_add_u32_e32 v32, 1, v31
	v_cmp_le_u32_e64 s[0:1], s26, v30
	v_xor_b32_e32 v28, s27, v28
	s_nop 0
	v_cndmask_b32_e64 v30, v31, v32, s[0:1]
	v_xor_b32_e32 v30, v30, v28
	v_sub_u32_e32 v30, v30, v28
	v_cmp_eq_u32_e64 s[0:1], v30, v3
	v_cmp_ne_u32_e64 s[2:3], v30, v3
	v_mov_b32_e32 v28, v18
	s_and_saveexec_b64 s[28:29], s[2:3]
	s_xor_b64 s[2:3], exec, s[28:29]
; %bb.14:                               ;   in Loop: Header=BB75_13 Depth=2
	v_min_i32_e32 v29, v30, v29
                                        ; implicit-def: $vgpr19
                                        ; implicit-def: $vgpr28
; %bb.15:                               ;   in Loop: Header=BB75_13 Depth=2
	s_or_saveexec_b64 s[2:3], s[2:3]
	v_mov_b32_e32 v18, v16
	s_xor_b64 exec, exec, s[2:3]
	s_cbranch_execz .LBB75_12
; %bb.16:                               ;   in Loop: Header=BB75_13 Depth=2
	v_lshl_add_u64 v[30:31], v[16:17], 3, s[6:7]
	global_load_dwordx2 v[30:31], v[30:31], off
	v_sub_u32_e32 v17, v19, v4
	v_add_lshl_u32 v17, v21, v17, 3
	v_mov_b32_e32 v18, v28
	ds_write_b8 v1, v27 offset:4096
	s_waitcnt vmcnt(0)
	ds_write_b64 v17, v[30:31]
	s_branch .LBB75_12
.LBB75_17:                              ;   in Loop: Header=BB75_10 Depth=1
	s_or_b64 exec, exec, s[22:23]
.LBB75_18:                              ;   in Loop: Header=BB75_10 Depth=1
	s_or_b64 exec, exec, s[20:21]
	v_mov_b32_dpp v4, v18 row_shr:1 row_mask:0xf bank_mask:0xf
	v_min_i32_e32 v4, v4, v18
	s_waitcnt lgkmcnt(0)
	ds_read_u8 v16, v1 offset:4096
	v_mov_b32_dpp v17, v4 row_shr:2 row_mask:0xf bank_mask:0xf
	v_min_i32_e32 v4, v17, v4
	ds_bpermute_b32 v28, v23, v4
	s_waitcnt lgkmcnt(1)
	v_and_b32_e32 v4, 1, v16
	v_cmp_eq_u32_e64 s[0:1], 1, v4
	v_mov_b32_e32 v4, 0
	s_and_saveexec_b64 s[2:3], s[0:1]
	s_cbranch_execz .LBB75_9
; %bb.19:                               ;   in Loop: Header=BB75_10 Depth=1
	v_add_u32_e32 v4, s24, v3
	v_ashrrev_i32_e32 v3, 31, v2
	v_lshl_add_u64 v[16:17], v[2:3], 2, s[12:13]
	global_store_dword v[16:17], v4, off
	v_mul_lo_u32 v4, s8, v2
	v_mul_lo_u32 v3, s25, v3
	v_mad_u64_u32 v[16:17], s[0:1], s25, v2, 0
	v_add3_u32 v17, v17, v3, v4
	v_lshlrev_b64 v[18:19], 3, v[16:17]
	v_lshl_add_u64 v[16:17], v[6:7], 0, v[18:19]
	v_lshl_add_u64 v[18:19], v[8:9], 0, v[18:19]
	v_lshlrev_b32_e32 v4, 3, v0
	s_and_saveexec_b64 s[0:1], s[16:17]
	s_cbranch_execz .LBB75_21
; %bb.20:                               ;   in Loop: Header=BB75_10 Depth=1
	ds_read_b64 v[30:31], v25
	v_lshl_add_u64 v[32:33], v[10:11], 3, v[16:17]
	v_lshl_add_u64 v[34:35], v[18:19], 0, v[4:5]
	v_cndmask_b32_e32 v33, v33, v35, vcc
	v_cndmask_b32_e32 v32, v32, v34, vcc
	s_waitcnt lgkmcnt(0)
	global_store_dwordx2 v[32:33], v[30:31], off
.LBB75_21:                              ;   in Loop: Header=BB75_10 Depth=1
	s_or_b64 exec, exec, s[0:1]
	s_and_saveexec_b64 s[0:1], s[4:5]
	s_cbranch_execz .LBB75_8
; %bb.22:                               ;   in Loop: Header=BB75_10 Depth=1
	ds_read_b64 v[30:31], v25 offset:32
	v_lshl_add_u64 v[18:19], v[18:19], 0, v[4:5]
	v_lshl_add_u64 v[18:19], v[18:19], 0, 32
	;; [unrolled: 1-line block ×3, first 2 shown]
	v_cndmask_b32_e32 v17, v17, v19, vcc
	v_cndmask_b32_e32 v16, v16, v18, vcc
	s_waitcnt lgkmcnt(0)
	global_store_dwordx2 v[16:17], v[30:31], off
	s_branch .LBB75_8
.LBB75_23:
	s_endpgm
	.section	.rodata,"a",@progbits
	.p2align	6, 0x0
	.amdhsa_kernel _ZN9rocsparseL42csr2bsr_wavefront_per_row_multipass_kernelILj256ELj32ELj8E21rocsparse_complex_numIfEiiEEv20rocsparse_direction_T4_S4_S4_S4_S4_21rocsparse_index_base_PKT2_PKT3_PKS4_S5_PS6_PS9_PS4_
		.amdhsa_group_segment_fixed_size 4104
		.amdhsa_private_segment_fixed_size 0
		.amdhsa_kernarg_size 88
		.amdhsa_user_sgpr_count 2
		.amdhsa_user_sgpr_dispatch_ptr 0
		.amdhsa_user_sgpr_queue_ptr 0
		.amdhsa_user_sgpr_kernarg_segment_ptr 1
		.amdhsa_user_sgpr_dispatch_id 0
		.amdhsa_user_sgpr_kernarg_preload_length 0
		.amdhsa_user_sgpr_kernarg_preload_offset 0
		.amdhsa_user_sgpr_private_segment_size 0
		.amdhsa_uses_dynamic_stack 0
		.amdhsa_enable_private_segment 0
		.amdhsa_system_sgpr_workgroup_id_x 1
		.amdhsa_system_sgpr_workgroup_id_y 0
		.amdhsa_system_sgpr_workgroup_id_z 0
		.amdhsa_system_sgpr_workgroup_info 0
		.amdhsa_system_vgpr_workitem_id 0
		.amdhsa_next_free_vgpr 36
		.amdhsa_next_free_sgpr 30
		.amdhsa_accum_offset 36
		.amdhsa_reserve_vcc 1
		.amdhsa_float_round_mode_32 0
		.amdhsa_float_round_mode_16_64 0
		.amdhsa_float_denorm_mode_32 3
		.amdhsa_float_denorm_mode_16_64 3
		.amdhsa_dx10_clamp 1
		.amdhsa_ieee_mode 1
		.amdhsa_fp16_overflow 0
		.amdhsa_tg_split 0
		.amdhsa_exception_fp_ieee_invalid_op 0
		.amdhsa_exception_fp_denorm_src 0
		.amdhsa_exception_fp_ieee_div_zero 0
		.amdhsa_exception_fp_ieee_overflow 0
		.amdhsa_exception_fp_ieee_underflow 0
		.amdhsa_exception_fp_ieee_inexact 0
		.amdhsa_exception_int_div_zero 0
	.end_amdhsa_kernel
	.section	.text._ZN9rocsparseL42csr2bsr_wavefront_per_row_multipass_kernelILj256ELj32ELj8E21rocsparse_complex_numIfEiiEEv20rocsparse_direction_T4_S4_S4_S4_S4_21rocsparse_index_base_PKT2_PKT3_PKS4_S5_PS6_PS9_PS4_,"axG",@progbits,_ZN9rocsparseL42csr2bsr_wavefront_per_row_multipass_kernelILj256ELj32ELj8E21rocsparse_complex_numIfEiiEEv20rocsparse_direction_T4_S4_S4_S4_S4_21rocsparse_index_base_PKT2_PKT3_PKS4_S5_PS6_PS9_PS4_,comdat
.Lfunc_end75:
	.size	_ZN9rocsparseL42csr2bsr_wavefront_per_row_multipass_kernelILj256ELj32ELj8E21rocsparse_complex_numIfEiiEEv20rocsparse_direction_T4_S4_S4_S4_S4_21rocsparse_index_base_PKT2_PKT3_PKS4_S5_PS6_PS9_PS4_, .Lfunc_end75-_ZN9rocsparseL42csr2bsr_wavefront_per_row_multipass_kernelILj256ELj32ELj8E21rocsparse_complex_numIfEiiEEv20rocsparse_direction_T4_S4_S4_S4_S4_21rocsparse_index_base_PKT2_PKT3_PKS4_S5_PS6_PS9_PS4_
                                        ; -- End function
	.section	.AMDGPU.csdata,"",@progbits
; Kernel info:
; codeLenInByte = 1264
; NumSgprs: 36
; NumVgprs: 36
; NumAgprs: 0
; TotalNumVgprs: 36
; ScratchSize: 0
; MemoryBound: 0
; FloatMode: 240
; IeeeMode: 1
; LDSByteSize: 4104 bytes/workgroup (compile time only)
; SGPRBlocks: 4
; VGPRBlocks: 4
; NumSGPRsForWavesPerEU: 36
; NumVGPRsForWavesPerEU: 36
; AccumOffset: 36
; Occupancy: 8
; WaveLimiterHint : 0
; COMPUTE_PGM_RSRC2:SCRATCH_EN: 0
; COMPUTE_PGM_RSRC2:USER_SGPR: 2
; COMPUTE_PGM_RSRC2:TRAP_HANDLER: 0
; COMPUTE_PGM_RSRC2:TGID_X_EN: 1
; COMPUTE_PGM_RSRC2:TGID_Y_EN: 0
; COMPUTE_PGM_RSRC2:TGID_Z_EN: 0
; COMPUTE_PGM_RSRC2:TIDIG_COMP_CNT: 0
; COMPUTE_PGM_RSRC3_GFX90A:ACCUM_OFFSET: 8
; COMPUTE_PGM_RSRC3_GFX90A:TG_SPLIT: 0
	.section	.text._ZN9rocsparseL42csr2bsr_wavefront_per_row_multipass_kernelILj256ELj64ELj16E21rocsparse_complex_numIfEiiEEv20rocsparse_direction_T4_S4_S4_S4_S4_21rocsparse_index_base_PKT2_PKT3_PKS4_S5_PS6_PS9_PS4_,"axG",@progbits,_ZN9rocsparseL42csr2bsr_wavefront_per_row_multipass_kernelILj256ELj64ELj16E21rocsparse_complex_numIfEiiEEv20rocsparse_direction_T4_S4_S4_S4_S4_21rocsparse_index_base_PKT2_PKT3_PKS4_S5_PS6_PS9_PS4_,comdat
	.globl	_ZN9rocsparseL42csr2bsr_wavefront_per_row_multipass_kernelILj256ELj64ELj16E21rocsparse_complex_numIfEiiEEv20rocsparse_direction_T4_S4_S4_S4_S4_21rocsparse_index_base_PKT2_PKT3_PKS4_S5_PS6_PS9_PS4_ ; -- Begin function _ZN9rocsparseL42csr2bsr_wavefront_per_row_multipass_kernelILj256ELj64ELj16E21rocsparse_complex_numIfEiiEEv20rocsparse_direction_T4_S4_S4_S4_S4_21rocsparse_index_base_PKT2_PKT3_PKS4_S5_PS6_PS9_PS4_
	.p2align	8
	.type	_ZN9rocsparseL42csr2bsr_wavefront_per_row_multipass_kernelILj256ELj64ELj16E21rocsparse_complex_numIfEiiEEv20rocsparse_direction_T4_S4_S4_S4_S4_21rocsparse_index_base_PKT2_PKT3_PKS4_S5_PS6_PS9_PS4_,@function
_ZN9rocsparseL42csr2bsr_wavefront_per_row_multipass_kernelILj256ELj64ELj16E21rocsparse_complex_numIfEiiEEv20rocsparse_direction_T4_S4_S4_S4_S4_21rocsparse_index_base_PKT2_PKT3_PKS4_S5_PS6_PS9_PS4_: ; @_ZN9rocsparseL42csr2bsr_wavefront_per_row_multipass_kernelILj256ELj64ELj16E21rocsparse_complex_numIfEiiEEv20rocsparse_direction_T4_S4_S4_S4_S4_21rocsparse_index_base_PKT2_PKT3_PKS4_S5_PS6_PS9_PS4_
; %bb.0:
	s_load_dwordx2 s[4:5], s[0:1], 0x0
	s_load_dwordx4 s[12:15], s[0:1], 0xc
	s_load_dwordx2 s[6:7], s[0:1], 0x28
	v_lshrrev_b32_e32 v1, 6, v0
	v_bfe_u32 v8, v0, 2, 4
	v_lshl_or_b32 v4, s2, 2, v1
	s_waitcnt lgkmcnt(0)
	v_mad_u64_u32 v[2:3], s[2:3], v4, s14, v[8:9]
	v_cmp_gt_i32_e32 vcc, s5, v2
	v_cmp_gt_i32_e64 s[2:3], s14, v8
	s_and_b64 s[8:9], s[2:3], vcc
	v_mov_b32_e32 v24, 0
	v_mov_b32_e32 v32, 0
	s_and_saveexec_b64 s[10:11], s[8:9]
	s_cbranch_execz .LBB76_2
; %bb.1:
	v_ashrrev_i32_e32 v3, 31, v2
	v_lshl_add_u64 v[6:7], v[2:3], 2, s[6:7]
	global_load_dword v3, v[6:7], off
	s_waitcnt vmcnt(0)
	v_subrev_u32_e32 v32, s15, v3
.LBB76_2:
	s_or_b64 exec, exec, s[10:11]
	s_and_saveexec_b64 s[10:11], s[8:9]
	s_cbranch_execz .LBB76_4
; %bb.3:
	v_ashrrev_i32_e32 v3, 31, v2
	v_lshl_add_u64 v[2:3], v[2:3], 2, s[6:7]
	global_load_dword v2, v[2:3], off offset:4
	s_waitcnt vmcnt(0)
	v_subrev_u32_e32 v24, s15, v2
.LBB76_4:
	s_or_b64 exec, exec, s[10:11]
	s_load_dword s30, s[0:1], 0x38
	v_cmp_gt_i32_e32 vcc, s12, v4
	v_mov_b32_e32 v2, 0
	s_and_saveexec_b64 s[6:7], vcc
	s_cbranch_execz .LBB76_6
; %bb.5:
	s_load_dwordx2 s[8:9], s[0:1], 0x48
	v_ashrrev_i32_e32 v5, 31, v4
	s_waitcnt lgkmcnt(0)
	v_lshl_add_u64 v[2:3], v[4:5], 2, s[8:9]
	global_load_dword v2, v[2:3], off
	s_waitcnt vmcnt(0)
	v_subrev_u32_e32 v2, s30, v2
.LBB76_6:
	s_or_b64 exec, exec, s[6:7]
	s_cmp_lt_i32 s13, 1
	s_cbranch_scc1 .LBB76_27
; %bb.7:
	s_load_dwordx2 s[10:11], s[0:1], 0x20
	s_load_dwordx2 s[16:17], s[0:1], 0x50
	;; [unrolled: 1-line block ×4, first 2 shown]
	v_lshlrev_b32_e32 v3, 8, v1
	v_lshl_or_b32 v25, v8, 4, v3
	v_mbcnt_lo_u32_b32 v3, -1, 0
	v_mbcnt_hi_u32_b32 v3, -1, v3
	s_cmp_eq_u32 s4, 0
	v_lshlrev_b32_e32 v4, 3, v8
	v_mov_b32_e32 v5, 0
	v_and_b32_e32 v0, 3, v0
	v_lshlrev_b32_e32 v3, 2, v3
	s_cselect_b64 vcc, -1, 0
	s_waitcnt lgkmcnt(0)
	v_lshl_add_u64 v[6:7], s[6:7], 0, v[4:5]
	v_mul_lo_u32 v4, v8, s14
	s_abs_i32 s33, s14
	v_or_b32_e32 v27, 12, v3
	v_lshl_add_u64 v[8:9], v[4:5], 3, s[6:7]
	v_or_b32_e32 v28, 0xfc, v3
	v_or_b32_e32 v3, v25, v0
	v_cvt_f32_u32_e32 v4, s33
	v_lshlrev_b32_e32 v29, 3, v3
	v_or_b32_e32 v3, 4, v0
	v_cmp_gt_u32_e64 s[4:5], s14, v3
	v_or_b32_e32 v3, 8, v0
	v_cmp_gt_u32_e64 s[6:7], s14, v3
	;; [unrolled: 2-line block ×3, first 2 shown]
	v_rcp_iflag_f32_e32 v3, v4
	v_mul_lo_u32 v10, v0, s14
	s_lshl_b32 s20, s14, 2
	v_add_u32_e32 v12, s20, v10
	v_mul_f32_e32 v3, 0x4f7ffffe, v3
	v_cvt_u32_f32_e32 v3, v3
	v_cmp_gt_u32_e64 s[0:1], s14, v0
	v_add_u32_e32 v14, s20, v12
	v_add_u32_e32 v16, s20, v14
	s_and_b64 s[20:21], s[0:1], s[2:3]
	s_sub_i32 s0, 0, s33
	s_mov_b32 s24, 0
	v_mul_lo_u32 v4, s0, v3
	v_mul_hi_u32 v4, v3, v4
	s_mov_b32 s25, s24
	v_mov_b32_e32 v26, 0
	s_mul_hi_u32 s12, s14, s14
	s_mul_i32 s31, s14, s14
	v_mov_b32_e32 v11, v5
	v_mov_b32_e32 v13, v5
	;; [unrolled: 1-line block ×4, first 2 shown]
	s_and_b64 s[4:5], s[2:3], s[4:5]
	s_and_b64 s[6:7], s[2:3], s[6:7]
	;; [unrolled: 1-line block ×3, first 2 shown]
	s_ashr_i32 s34, s14, 31
	v_add_u32_e32 v30, v3, v4
	s_mov_b64 s[22:23], 0
	v_mov_b64_e32 v[18:19], s[24:25]
	s_mov_b64 s[24:25], 0x60
	v_mov_b32_e32 v31, 1
	v_lshlrev_b32_e32 v4, 3, v0
	v_mov_b32_e32 v3, 0
	s_branch .LBB76_10
.LBB76_8:                               ;   in Loop: Header=BB76_10 Depth=1
	s_or_b64 exec, exec, s[0:1]
	v_mov_b32_e32 v20, 1
.LBB76_9:                               ;   in Loop: Header=BB76_10 Depth=1
	s_or_b64 exec, exec, s[2:3]
	v_mov_b32_dpp v3, v33 row_shr:1 row_mask:0xf bank_mask:0xf
	v_min_i32_e32 v3, v3, v33
	v_add_u32_e32 v2, v20, v2
	s_waitcnt lgkmcnt(0)
	v_mov_b32_dpp v21, v3 row_shr:2 row_mask:0xf bank_mask:0xf
	v_min_i32_e32 v3, v21, v3
	s_nop 1
	v_mov_b32_dpp v21, v3 row_shr:4 row_mask:0xf bank_mask:0xe
	v_min_i32_e32 v3, v21, v3
	s_nop 1
	;; [unrolled: 3-line block ×3, first 2 shown]
	v_mov_b32_dpp v21, v3 row_bcast:15 row_mask:0xa bank_mask:0xf
	v_min_i32_e32 v3, v21, v3
	s_nop 1
	v_mov_b32_dpp v21, v3 row_bcast:31 row_mask:0xc bank_mask:0xf
	v_min_i32_e32 v3, v21, v3
	ds_bpermute_b32 v3, v28, v3
	s_waitcnt lgkmcnt(0)
	v_cmp_le_i32_e64 s[0:1], s13, v3
	s_or_b64 s[22:23], s[0:1], s[22:23]
	s_andn2_b64 exec, exec, s[22:23]
	s_cbranch_execz .LBB76_27
.LBB76_10:                              ; =>This Loop Header: Depth=1
                                        ;     Child Loop BB76_13 Depth 2
	v_add_u32_e32 v20, v32, v0
	v_cmp_lt_i32_e64 s[0:1], v20, v24
	v_mov_b32_e32 v33, s13
	v_mov_b32_e32 v23, v24
	ds_write_b8 v1, v26 offset:8192
	ds_write2_b64 v29, v[18:19], v[18:19] offset1:4
	ds_write2_b64 v29, v[18:19], v[18:19] offset0:8 offset1:12
	s_waitcnt lgkmcnt(0)
	s_and_saveexec_b64 s[26:27], s[0:1]
	s_cbranch_execz .LBB76_18
; %bb.11:                               ;   in Loop: Header=BB76_10 Depth=1
	v_mul_lo_u32 v22, v3, s14
	s_mov_b64 s[28:29], 0
	v_mov_b32_e32 v33, s13
	v_mov_b32_e32 v23, v24
	s_branch .LBB76_13
.LBB76_12:                              ;   in Loop: Header=BB76_13 Depth=2
	s_or_b64 exec, exec, s[2:3]
	v_add_u32_e32 v20, 4, v20
	v_cmp_ge_i32_e64 s[2:3], v20, v24
	s_xor_b64 s[0:1], s[0:1], -1
	s_or_b64 s[0:1], s[0:1], s[2:3]
	s_and_b64 s[0:1], exec, s[0:1]
	s_or_b64 s[28:29], s[0:1], s[28:29]
	s_andn2_b64 exec, exec, s[28:29]
	s_cbranch_execz .LBB76_17
.LBB76_13:                              ;   Parent Loop BB76_10 Depth=1
                                        ; =>  This Inner Loop Header: Depth=2
	v_ashrrev_i32_e32 v21, 31, v20
	v_lshl_add_u64 v[34:35], v[20:21], 2, s[18:19]
	global_load_dword v32, v[34:35], off
	s_waitcnt vmcnt(0)
	v_subrev_u32_e32 v32, s15, v32
	v_sub_u32_e32 v35, 0, v32
	v_max_i32_e32 v35, v32, v35
	v_mul_hi_u32 v36, v35, v30
	v_mul_lo_u32 v37, v36, s33
	v_sub_u32_e32 v35, v35, v37
	v_add_u32_e32 v38, 1, v36
	v_cmp_le_u32_e64 s[0:1], s33, v35
	v_subrev_u32_e32 v37, s33, v35
	v_ashrrev_i32_e32 v34, 31, v32
	v_cndmask_b32_e64 v36, v36, v38, s[0:1]
	v_cndmask_b32_e64 v35, v35, v37, s[0:1]
	v_add_u32_e32 v37, 1, v36
	v_cmp_le_u32_e64 s[0:1], s33, v35
	v_xor_b32_e32 v34, s34, v34
	s_nop 0
	v_cndmask_b32_e64 v35, v36, v37, s[0:1]
	v_xor_b32_e32 v35, v35, v34
	v_sub_u32_e32 v35, v35, v34
	v_cmp_eq_u32_e64 s[0:1], v35, v3
	v_cmp_ne_u32_e64 s[2:3], v35, v3
	v_mov_b32_e32 v34, v23
	s_and_saveexec_b64 s[36:37], s[2:3]
	s_xor_b64 s[2:3], exec, s[36:37]
; %bb.14:                               ;   in Loop: Header=BB76_13 Depth=2
	v_min_i32_e32 v33, v35, v33
                                        ; implicit-def: $vgpr32
                                        ; implicit-def: $vgpr34
; %bb.15:                               ;   in Loop: Header=BB76_13 Depth=2
	s_or_saveexec_b64 s[2:3], s[2:3]
	v_mov_b32_e32 v23, v20
	s_xor_b64 exec, exec, s[2:3]
	s_cbranch_execz .LBB76_12
; %bb.16:                               ;   in Loop: Header=BB76_13 Depth=2
	v_lshl_add_u64 v[36:37], v[20:21], 3, s[10:11]
	global_load_dwordx2 v[36:37], v[36:37], off
	v_sub_u32_e32 v21, v32, v22
	v_add_lshl_u32 v21, v25, v21, 3
	v_mov_b32_e32 v23, v34
	ds_write_b8 v1, v31 offset:8192
	s_waitcnt vmcnt(0)
	ds_write_b64 v21, v[36:37]
	s_branch .LBB76_12
.LBB76_17:                              ;   in Loop: Header=BB76_10 Depth=1
	s_or_b64 exec, exec, s[28:29]
.LBB76_18:                              ;   in Loop: Header=BB76_10 Depth=1
	s_or_b64 exec, exec, s[26:27]
	v_mov_b32_dpp v20, v23 row_shr:1 row_mask:0xf bank_mask:0xf
	v_min_i32_e32 v20, v20, v23
	s_waitcnt lgkmcnt(0)
	ds_read_u8 v21, v1 offset:8192
	v_mov_b32_dpp v22, v20 row_shr:2 row_mask:0xf bank_mask:0xf
	v_min_i32_e32 v20, v22, v20
	ds_bpermute_b32 v32, v27, v20
	s_waitcnt lgkmcnt(1)
	v_and_b32_e32 v20, 1, v21
	v_cmp_eq_u32_e64 s[0:1], 1, v20
	v_mov_b32_e32 v20, 0
	s_and_saveexec_b64 s[2:3], s[0:1]
	s_cbranch_execz .LBB76_9
; %bb.19:                               ;   in Loop: Header=BB76_10 Depth=1
	v_add_u32_e32 v22, s30, v3
	v_ashrrev_i32_e32 v3, 31, v2
	v_lshl_add_u64 v[20:21], v[2:3], 2, s[16:17]
	global_store_dword v[20:21], v22, off
	v_mul_lo_u32 v22, s12, v2
	v_mul_lo_u32 v3, s31, v3
	v_mad_u64_u32 v[20:21], s[0:1], s31, v2, 0
	v_add3_u32 v21, v21, v3, v22
	v_lshlrev_b64 v[22:23], 3, v[20:21]
	v_lshl_add_u64 v[20:21], v[6:7], 0, v[22:23]
	v_lshl_add_u64 v[22:23], v[8:9], 0, v[22:23]
	s_and_saveexec_b64 s[0:1], s[20:21]
	s_cbranch_execnz .LBB76_23
; %bb.20:                               ;   in Loop: Header=BB76_10 Depth=1
	s_or_b64 exec, exec, s[0:1]
	s_and_saveexec_b64 s[0:1], s[4:5]
	s_cbranch_execnz .LBB76_24
.LBB76_21:                              ;   in Loop: Header=BB76_10 Depth=1
	s_or_b64 exec, exec, s[0:1]
	s_and_saveexec_b64 s[0:1], s[6:7]
	s_cbranch_execnz .LBB76_25
.LBB76_22:                              ;   in Loop: Header=BB76_10 Depth=1
	s_or_b64 exec, exec, s[0:1]
	s_and_saveexec_b64 s[0:1], s[8:9]
	s_cbranch_execz .LBB76_8
	s_branch .LBB76_26
.LBB76_23:                              ;   in Loop: Header=BB76_10 Depth=1
	ds_read_b64 v[34:35], v29
	v_lshl_add_u64 v[36:37], v[10:11], 3, v[20:21]
	v_lshl_add_u64 v[38:39], v[22:23], 0, v[4:5]
	v_cndmask_b32_e32 v37, v37, v39, vcc
	v_cndmask_b32_e32 v36, v36, v38, vcc
	s_waitcnt lgkmcnt(0)
	global_store_dwordx2 v[36:37], v[34:35], off
	s_or_b64 exec, exec, s[0:1]
	s_and_saveexec_b64 s[0:1], s[4:5]
	s_cbranch_execz .LBB76_21
.LBB76_24:                              ;   in Loop: Header=BB76_10 Depth=1
	ds_read_b64 v[36:37], v29 offset:32
	v_lshl_add_u64 v[34:35], v[22:23], 0, v[4:5]
	v_lshl_add_u64 v[34:35], v[34:35], 0, 32
	;; [unrolled: 1-line block ×3, first 2 shown]
	v_cndmask_b32_e32 v35, v39, v35, vcc
	v_cndmask_b32_e32 v34, v38, v34, vcc
	s_waitcnt lgkmcnt(0)
	global_store_dwordx2 v[34:35], v[36:37], off
	s_or_b64 exec, exec, s[0:1]
	s_and_saveexec_b64 s[0:1], s[6:7]
	s_cbranch_execz .LBB76_22
.LBB76_25:                              ;   in Loop: Header=BB76_10 Depth=1
	ds_read_b64 v[36:37], v29 offset:64
	v_lshl_add_u64 v[34:35], v[22:23], 0, v[4:5]
	v_lshl_add_u64 v[34:35], v[34:35], 0, 64
	;; [unrolled: 1-line block ×3, first 2 shown]
	v_cndmask_b32_e32 v35, v39, v35, vcc
	v_cndmask_b32_e32 v34, v38, v34, vcc
	s_waitcnt lgkmcnt(0)
	global_store_dwordx2 v[34:35], v[36:37], off
	s_or_b64 exec, exec, s[0:1]
	s_and_saveexec_b64 s[0:1], s[8:9]
	s_cbranch_execz .LBB76_8
.LBB76_26:                              ;   in Loop: Header=BB76_10 Depth=1
	ds_read_b64 v[34:35], v29 offset:96
	v_lshl_add_u64 v[22:23], v[22:23], 0, v[4:5]
	v_lshl_add_u64 v[22:23], v[22:23], 0, s[24:25]
	v_lshl_add_u64 v[20:21], v[16:17], 3, v[20:21]
	v_cndmask_b32_e32 v21, v21, v23, vcc
	v_cndmask_b32_e32 v20, v20, v22, vcc
	s_waitcnt lgkmcnt(0)
	global_store_dwordx2 v[20:21], v[34:35], off
	s_branch .LBB76_8
.LBB76_27:
	s_endpgm
	.section	.rodata,"a",@progbits
	.p2align	6, 0x0
	.amdhsa_kernel _ZN9rocsparseL42csr2bsr_wavefront_per_row_multipass_kernelILj256ELj64ELj16E21rocsparse_complex_numIfEiiEEv20rocsparse_direction_T4_S4_S4_S4_S4_21rocsparse_index_base_PKT2_PKT3_PKS4_S5_PS6_PS9_PS4_
		.amdhsa_group_segment_fixed_size 8196
		.amdhsa_private_segment_fixed_size 0
		.amdhsa_kernarg_size 88
		.amdhsa_user_sgpr_count 2
		.amdhsa_user_sgpr_dispatch_ptr 0
		.amdhsa_user_sgpr_queue_ptr 0
		.amdhsa_user_sgpr_kernarg_segment_ptr 1
		.amdhsa_user_sgpr_dispatch_id 0
		.amdhsa_user_sgpr_kernarg_preload_length 0
		.amdhsa_user_sgpr_kernarg_preload_offset 0
		.amdhsa_user_sgpr_private_segment_size 0
		.amdhsa_uses_dynamic_stack 0
		.amdhsa_enable_private_segment 0
		.amdhsa_system_sgpr_workgroup_id_x 1
		.amdhsa_system_sgpr_workgroup_id_y 0
		.amdhsa_system_sgpr_workgroup_id_z 0
		.amdhsa_system_sgpr_workgroup_info 0
		.amdhsa_system_vgpr_workitem_id 0
		.amdhsa_next_free_vgpr 40
		.amdhsa_next_free_sgpr 38
		.amdhsa_accum_offset 40
		.amdhsa_reserve_vcc 1
		.amdhsa_float_round_mode_32 0
		.amdhsa_float_round_mode_16_64 0
		.amdhsa_float_denorm_mode_32 3
		.amdhsa_float_denorm_mode_16_64 3
		.amdhsa_dx10_clamp 1
		.amdhsa_ieee_mode 1
		.amdhsa_fp16_overflow 0
		.amdhsa_tg_split 0
		.amdhsa_exception_fp_ieee_invalid_op 0
		.amdhsa_exception_fp_denorm_src 0
		.amdhsa_exception_fp_ieee_div_zero 0
		.amdhsa_exception_fp_ieee_overflow 0
		.amdhsa_exception_fp_ieee_underflow 0
		.amdhsa_exception_fp_ieee_inexact 0
		.amdhsa_exception_int_div_zero 0
	.end_amdhsa_kernel
	.section	.text._ZN9rocsparseL42csr2bsr_wavefront_per_row_multipass_kernelILj256ELj64ELj16E21rocsparse_complex_numIfEiiEEv20rocsparse_direction_T4_S4_S4_S4_S4_21rocsparse_index_base_PKT2_PKT3_PKS4_S5_PS6_PS9_PS4_,"axG",@progbits,_ZN9rocsparseL42csr2bsr_wavefront_per_row_multipass_kernelILj256ELj64ELj16E21rocsparse_complex_numIfEiiEEv20rocsparse_direction_T4_S4_S4_S4_S4_21rocsparse_index_base_PKT2_PKT3_PKS4_S5_PS6_PS9_PS4_,comdat
.Lfunc_end76:
	.size	_ZN9rocsparseL42csr2bsr_wavefront_per_row_multipass_kernelILj256ELj64ELj16E21rocsparse_complex_numIfEiiEEv20rocsparse_direction_T4_S4_S4_S4_S4_21rocsparse_index_base_PKT2_PKT3_PKS4_S5_PS6_PS9_PS4_, .Lfunc_end76-_ZN9rocsparseL42csr2bsr_wavefront_per_row_multipass_kernelILj256ELj64ELj16E21rocsparse_complex_numIfEiiEEv20rocsparse_direction_T4_S4_S4_S4_S4_21rocsparse_index_base_PKT2_PKT3_PKS4_S5_PS6_PS9_PS4_
                                        ; -- End function
	.section	.AMDGPU.csdata,"",@progbits
; Kernel info:
; codeLenInByte = 1516
; NumSgprs: 44
; NumVgprs: 40
; NumAgprs: 0
; TotalNumVgprs: 40
; ScratchSize: 0
; MemoryBound: 0
; FloatMode: 240
; IeeeMode: 1
; LDSByteSize: 8196 bytes/workgroup (compile time only)
; SGPRBlocks: 5
; VGPRBlocks: 4
; NumSGPRsForWavesPerEU: 44
; NumVGPRsForWavesPerEU: 40
; AccumOffset: 40
; Occupancy: 7
; WaveLimiterHint : 0
; COMPUTE_PGM_RSRC2:SCRATCH_EN: 0
; COMPUTE_PGM_RSRC2:USER_SGPR: 2
; COMPUTE_PGM_RSRC2:TRAP_HANDLER: 0
; COMPUTE_PGM_RSRC2:TGID_X_EN: 1
; COMPUTE_PGM_RSRC2:TGID_Y_EN: 0
; COMPUTE_PGM_RSRC2:TGID_Z_EN: 0
; COMPUTE_PGM_RSRC2:TIDIG_COMP_CNT: 0
; COMPUTE_PGM_RSRC3_GFX90A:ACCUM_OFFSET: 9
; COMPUTE_PGM_RSRC3_GFX90A:TG_SPLIT: 0
	.section	.text._ZN9rocsparseL42csr2bsr_wavefront_per_row_multipass_kernelILj256ELj32ELj16E21rocsparse_complex_numIfEiiEEv20rocsparse_direction_T4_S4_S4_S4_S4_21rocsparse_index_base_PKT2_PKT3_PKS4_S5_PS6_PS9_PS4_,"axG",@progbits,_ZN9rocsparseL42csr2bsr_wavefront_per_row_multipass_kernelILj256ELj32ELj16E21rocsparse_complex_numIfEiiEEv20rocsparse_direction_T4_S4_S4_S4_S4_21rocsparse_index_base_PKT2_PKT3_PKS4_S5_PS6_PS9_PS4_,comdat
	.globl	_ZN9rocsparseL42csr2bsr_wavefront_per_row_multipass_kernelILj256ELj32ELj16E21rocsparse_complex_numIfEiiEEv20rocsparse_direction_T4_S4_S4_S4_S4_21rocsparse_index_base_PKT2_PKT3_PKS4_S5_PS6_PS9_PS4_ ; -- Begin function _ZN9rocsparseL42csr2bsr_wavefront_per_row_multipass_kernelILj256ELj32ELj16E21rocsparse_complex_numIfEiiEEv20rocsparse_direction_T4_S4_S4_S4_S4_21rocsparse_index_base_PKT2_PKT3_PKS4_S5_PS6_PS9_PS4_
	.p2align	8
	.type	_ZN9rocsparseL42csr2bsr_wavefront_per_row_multipass_kernelILj256ELj32ELj16E21rocsparse_complex_numIfEiiEEv20rocsparse_direction_T4_S4_S4_S4_S4_21rocsparse_index_base_PKT2_PKT3_PKS4_S5_PS6_PS9_PS4_,@function
_ZN9rocsparseL42csr2bsr_wavefront_per_row_multipass_kernelILj256ELj32ELj16E21rocsparse_complex_numIfEiiEEv20rocsparse_direction_T4_S4_S4_S4_S4_21rocsparse_index_base_PKT2_PKT3_PKS4_S5_PS6_PS9_PS4_: ; @_ZN9rocsparseL42csr2bsr_wavefront_per_row_multipass_kernelILj256ELj32ELj16E21rocsparse_complex_numIfEiiEEv20rocsparse_direction_T4_S4_S4_S4_S4_21rocsparse_index_base_PKT2_PKT3_PKS4_S5_PS6_PS9_PS4_
; %bb.0:
	s_load_dwordx2 s[4:5], s[0:1], 0x0
	s_load_dwordx4 s[20:23], s[0:1], 0xc
	s_load_dwordx2 s[6:7], s[0:1], 0x28
	v_lshrrev_b32_e32 v1, 5, v0
	v_bfe_u32 v8, v0, 1, 4
	v_lshl_or_b32 v4, s2, 3, v1
	s_waitcnt lgkmcnt(0)
	v_mad_u64_u32 v[2:3], s[2:3], v4, s22, v[8:9]
	v_cmp_gt_i32_e32 vcc, s5, v2
	v_cmp_gt_i32_e64 s[2:3], s22, v8
	s_and_b64 s[8:9], s[2:3], vcc
	v_mov_b32_e32 v32, 0
	v_mov_b32_e32 v38, 0
	s_and_saveexec_b64 s[10:11], s[8:9]
	s_cbranch_execz .LBB77_2
; %bb.1:
	v_ashrrev_i32_e32 v3, 31, v2
	v_lshl_add_u64 v[6:7], v[2:3], 2, s[6:7]
	global_load_dword v3, v[6:7], off
	s_waitcnt vmcnt(0)
	v_subrev_u32_e32 v38, s23, v3
.LBB77_2:
	s_or_b64 exec, exec, s[10:11]
	s_and_saveexec_b64 s[10:11], s[8:9]
	s_cbranch_execz .LBB77_4
; %bb.3:
	v_ashrrev_i32_e32 v3, 31, v2
	v_lshl_add_u64 v[2:3], v[2:3], 2, s[6:7]
	global_load_dword v2, v[2:3], off offset:4
	s_waitcnt vmcnt(0)
	v_subrev_u32_e32 v32, s23, v2
.LBB77_4:
	s_or_b64 exec, exec, s[10:11]
	s_load_dword s33, s[0:1], 0x38
	v_cmp_gt_i32_e32 vcc, s20, v4
	v_mov_b32_e32 v2, 0
	s_and_saveexec_b64 s[6:7], vcc
	s_cbranch_execz .LBB77_6
; %bb.5:
	s_load_dwordx2 s[8:9], s[0:1], 0x48
	v_ashrrev_i32_e32 v5, 31, v4
	s_waitcnt lgkmcnt(0)
	v_lshl_add_u64 v[2:3], v[4:5], 2, s[8:9]
	global_load_dword v2, v[2:3], off
	s_waitcnt vmcnt(0)
	v_subrev_u32_e32 v2, s33, v2
.LBB77_6:
	s_or_b64 exec, exec, s[6:7]
	s_cmp_lt_i32 s21, 1
	s_cbranch_scc1 .LBB77_35
; %bb.7:
	v_lshlrev_b32_e32 v3, 8, v1
	v_lshl_or_b32 v33, v8, 4, v3
	v_mbcnt_lo_u32_b32 v3, -1, 0
	s_load_dwordx2 s[18:19], s[0:1], 0x20
	s_load_dwordx2 s[24:25], s[0:1], 0x50
	;; [unrolled: 1-line block ×4, first 2 shown]
	v_mbcnt_hi_u32_b32 v3, -1, v3
	v_and_b32_e32 v0, 1, v0
	v_lshlrev_b32_e32 v3, 2, v3
	v_or_b32_e32 v35, 4, v3
	v_or_b32_e32 v36, 0x7c, v3
	;; [unrolled: 1-line block ×3, first 2 shown]
	v_lshlrev_b32_e32 v4, 3, v8
	v_mov_b32_e32 v5, 0
	v_lshlrev_b32_e32 v37, 3, v3
	v_or_b32_e32 v3, 2, v0
	s_cmp_eq_u32 s4, 0
	s_waitcnt lgkmcnt(0)
	v_lshl_add_u64 v[6:7], s[6:7], 0, v[4:5]
	v_mul_lo_u32 v4, v8, s22
	v_cmp_gt_u32_e64 s[4:5], s22, v3
	v_or_b32_e32 v3, 4, v0
	v_lshl_add_u64 v[8:9], v[4:5], 3, s[6:7]
	v_cmp_gt_u32_e64 s[6:7], s22, v3
	v_or_b32_e32 v3, 6, v0
	v_cmp_gt_u32_e64 s[8:9], s22, v3
	v_or_b32_e32 v3, 8, v0
	;; [unrolled: 2-line block ×4, first 2 shown]
	s_cselect_b64 vcc, -1, 0
	v_cmp_gt_u32_e64 s[14:15], s22, v3
	v_or_b32_e32 v3, 14, v0
	s_abs_i32 s45, s22
	v_cmp_gt_u32_e64 s[16:17], s22, v3
	v_cvt_f32_u32_e32 v3, s45
	v_mul_lo_u32 v10, v0, s22
	s_lshl_b32 s28, s22, 1
	v_add_u32_e32 v12, s28, v10
	v_rcp_iflag_f32_e32 v3, v3
	v_add_u32_e32 v14, s28, v12
	v_add_u32_e32 v16, s28, v14
	;; [unrolled: 1-line block ×3, first 2 shown]
	v_mul_f32_e32 v3, 0x4f7ffffe, v3
	v_cvt_u32_f32_e32 v3, v3
	v_add_u32_e32 v20, s28, v18
	v_cmp_gt_u32_e64 s[0:1], s22, v0
	v_add_u32_e32 v22, s28, v20
	v_add_u32_e32 v24, s28, v22
	s_and_b64 s[28:29], s[0:1], s[2:3]
	s_sub_i32 s0, 0, s45
	s_mov_b32 s34, 0
	v_mul_lo_u32 v4, s0, v3
	v_mul_hi_u32 v4, v3, v4
	s_mov_b32 s35, s34
	v_mov_b32_e32 v34, 0
	s_mul_hi_u32 s20, s22, s22
	s_mul_i32 s44, s22, s22
	v_mov_b32_e32 v11, v5
	v_mov_b32_e32 v13, v5
	;; [unrolled: 1-line block ×8, first 2 shown]
	s_and_b64 s[4:5], s[2:3], s[4:5]
	s_and_b64 s[6:7], s[2:3], s[6:7]
	;; [unrolled: 1-line block ×7, first 2 shown]
	s_ashr_i32 s46, s22, 31
	v_add_u32_e32 v39, v3, v4
	s_mov_b64 s[30:31], 0
	v_mov_b64_e32 v[26:27], s[34:35]
	s_mov_b64 s[34:35], 0x50
	s_mov_b64 s[36:37], 0x60
	;; [unrolled: 1-line block ×3, first 2 shown]
	v_mov_b32_e32 v40, 1
	v_lshlrev_b32_e32 v4, 3, v0
	v_mov_b32_e32 v3, 0
	s_branch .LBB77_10
.LBB77_8:                               ;   in Loop: Header=BB77_10 Depth=1
	s_or_b64 exec, exec, s[0:1]
	v_mov_b32_e32 v28, 1
.LBB77_9:                               ;   in Loop: Header=BB77_10 Depth=1
	s_or_b64 exec, exec, s[2:3]
	v_mov_b32_dpp v3, v41 row_shr:1 row_mask:0xf bank_mask:0xf
	v_min_i32_e32 v3, v3, v41
	v_add_u32_e32 v2, v28, v2
	s_waitcnt lgkmcnt(0)
	v_mov_b32_dpp v29, v3 row_shr:2 row_mask:0xf bank_mask:0xf
	v_min_i32_e32 v3, v29, v3
	s_nop 1
	v_mov_b32_dpp v29, v3 row_shr:4 row_mask:0xf bank_mask:0xe
	v_min_i32_e32 v3, v29, v3
	s_nop 1
	;; [unrolled: 3-line block ×3, first 2 shown]
	v_mov_b32_dpp v29, v3 row_bcast:15 row_mask:0xa bank_mask:0xf
	v_min_i32_e32 v3, v29, v3
	ds_bpermute_b32 v3, v36, v3
	s_waitcnt lgkmcnt(0)
	v_cmp_le_i32_e64 s[0:1], s21, v3
	s_or_b64 s[30:31], s[0:1], s[30:31]
	s_andn2_b64 exec, exec, s[30:31]
	s_cbranch_execz .LBB77_35
.LBB77_10:                              ; =>This Loop Header: Depth=1
                                        ;     Child Loop BB77_13 Depth 2
	v_add_u32_e32 v28, v38, v0
	v_cmp_lt_i32_e64 s[0:1], v28, v32
	v_mov_b32_e32 v41, s21
	v_mov_b32_e32 v31, v32
	ds_write_b8 v1, v34 offset:16384
	ds_write2_b64 v37, v[26:27], v[26:27] offset1:2
	ds_write2_b64 v37, v[26:27], v[26:27] offset0:4 offset1:6
	ds_write2_b64 v37, v[26:27], v[26:27] offset0:8 offset1:10
	;; [unrolled: 1-line block ×3, first 2 shown]
	s_waitcnt lgkmcnt(0)
	s_and_saveexec_b64 s[40:41], s[0:1]
	s_cbranch_execz .LBB77_18
; %bb.11:                               ;   in Loop: Header=BB77_10 Depth=1
	v_mul_lo_u32 v30, v3, s22
	s_mov_b64 s[42:43], 0
	v_mov_b32_e32 v41, s21
	v_mov_b32_e32 v31, v32
	s_branch .LBB77_13
.LBB77_12:                              ;   in Loop: Header=BB77_13 Depth=2
	s_or_b64 exec, exec, s[2:3]
	v_add_u32_e32 v28, 2, v28
	v_cmp_ge_i32_e64 s[2:3], v28, v32
	s_xor_b64 s[0:1], s[0:1], -1
	s_or_b64 s[0:1], s[0:1], s[2:3]
	s_and_b64 s[0:1], exec, s[0:1]
	s_or_b64 s[42:43], s[0:1], s[42:43]
	s_andn2_b64 exec, exec, s[42:43]
	s_cbranch_execz .LBB77_17
.LBB77_13:                              ;   Parent Loop BB77_10 Depth=1
                                        ; =>  This Inner Loop Header: Depth=2
	v_ashrrev_i32_e32 v29, 31, v28
	v_lshl_add_u64 v[42:43], v[28:29], 2, s[26:27]
	global_load_dword v38, v[42:43], off
	s_waitcnt vmcnt(0)
	v_subrev_u32_e32 v38, s23, v38
	v_sub_u32_e32 v43, 0, v38
	v_max_i32_e32 v43, v38, v43
	v_mul_hi_u32 v44, v43, v39
	v_mul_lo_u32 v45, v44, s45
	v_sub_u32_e32 v43, v43, v45
	v_add_u32_e32 v46, 1, v44
	v_cmp_le_u32_e64 s[0:1], s45, v43
	v_subrev_u32_e32 v45, s45, v43
	v_ashrrev_i32_e32 v42, 31, v38
	v_cndmask_b32_e64 v44, v44, v46, s[0:1]
	v_cndmask_b32_e64 v43, v43, v45, s[0:1]
	v_add_u32_e32 v45, 1, v44
	v_cmp_le_u32_e64 s[0:1], s45, v43
	v_xor_b32_e32 v42, s46, v42
	s_nop 0
	v_cndmask_b32_e64 v43, v44, v45, s[0:1]
	v_xor_b32_e32 v43, v43, v42
	v_sub_u32_e32 v43, v43, v42
	v_cmp_eq_u32_e64 s[0:1], v43, v3
	v_cmp_ne_u32_e64 s[2:3], v43, v3
	v_mov_b32_e32 v42, v31
	s_and_saveexec_b64 s[48:49], s[2:3]
	s_xor_b64 s[2:3], exec, s[48:49]
; %bb.14:                               ;   in Loop: Header=BB77_13 Depth=2
	v_min_i32_e32 v41, v43, v41
                                        ; implicit-def: $vgpr38
                                        ; implicit-def: $vgpr42
; %bb.15:                               ;   in Loop: Header=BB77_13 Depth=2
	s_or_saveexec_b64 s[2:3], s[2:3]
	v_mov_b32_e32 v31, v28
	s_xor_b64 exec, exec, s[2:3]
	s_cbranch_execz .LBB77_12
; %bb.16:                               ;   in Loop: Header=BB77_13 Depth=2
	v_lshl_add_u64 v[44:45], v[28:29], 3, s[18:19]
	global_load_dwordx2 v[44:45], v[44:45], off
	v_sub_u32_e32 v29, v38, v30
	v_add_lshl_u32 v29, v33, v29, 3
	v_mov_b32_e32 v31, v42
	ds_write_b8 v1, v40 offset:16384
	s_waitcnt vmcnt(0)
	ds_write_b64 v29, v[44:45]
	s_branch .LBB77_12
.LBB77_17:                              ;   in Loop: Header=BB77_10 Depth=1
	s_or_b64 exec, exec, s[42:43]
.LBB77_18:                              ;   in Loop: Header=BB77_10 Depth=1
	s_or_b64 exec, exec, s[40:41]
	s_waitcnt lgkmcnt(0)
	ds_read_u8 v28, v1 offset:16384
	v_mov_b32_dpp v29, v31 row_shr:1 row_mask:0xf bank_mask:0xf
	v_min_i32_e32 v29, v29, v31
	ds_bpermute_b32 v38, v35, v29
	s_waitcnt lgkmcnt(1)
	v_and_b32_e32 v28, 1, v28
	v_cmp_eq_u32_e64 s[0:1], 1, v28
	v_mov_b32_e32 v28, 0
	s_and_saveexec_b64 s[2:3], s[0:1]
	s_cbranch_execz .LBB77_9
; %bb.19:                               ;   in Loop: Header=BB77_10 Depth=1
	v_add_u32_e32 v30, s33, v3
	v_ashrrev_i32_e32 v3, 31, v2
	v_lshl_add_u64 v[28:29], v[2:3], 2, s[24:25]
	global_store_dword v[28:29], v30, off
	v_mul_lo_u32 v30, s20, v2
	v_mul_lo_u32 v3, s44, v3
	v_mad_u64_u32 v[28:29], s[0:1], s44, v2, 0
	v_add3_u32 v29, v29, v3, v30
	v_lshlrev_b64 v[30:31], 3, v[28:29]
	v_lshl_add_u64 v[28:29], v[6:7], 0, v[30:31]
	v_lshl_add_u64 v[30:31], v[8:9], 0, v[30:31]
	s_and_saveexec_b64 s[0:1], s[28:29]
	s_cbranch_execnz .LBB77_27
; %bb.20:                               ;   in Loop: Header=BB77_10 Depth=1
	s_or_b64 exec, exec, s[0:1]
	s_and_saveexec_b64 s[0:1], s[4:5]
	s_cbranch_execnz .LBB77_28
.LBB77_21:                              ;   in Loop: Header=BB77_10 Depth=1
	s_or_b64 exec, exec, s[0:1]
	s_and_saveexec_b64 s[0:1], s[6:7]
	s_cbranch_execnz .LBB77_29
.LBB77_22:                              ;   in Loop: Header=BB77_10 Depth=1
	s_or_b64 exec, exec, s[0:1]
	s_and_saveexec_b64 s[0:1], s[8:9]
	s_cbranch_execnz .LBB77_30
.LBB77_23:                              ;   in Loop: Header=BB77_10 Depth=1
	s_or_b64 exec, exec, s[0:1]
	s_and_saveexec_b64 s[0:1], s[10:11]
	s_cbranch_execnz .LBB77_31
.LBB77_24:                              ;   in Loop: Header=BB77_10 Depth=1
	s_or_b64 exec, exec, s[0:1]
	s_and_saveexec_b64 s[0:1], s[12:13]
	s_cbranch_execnz .LBB77_32
.LBB77_25:                              ;   in Loop: Header=BB77_10 Depth=1
	s_or_b64 exec, exec, s[0:1]
	s_and_saveexec_b64 s[0:1], s[14:15]
	s_cbranch_execnz .LBB77_33
.LBB77_26:                              ;   in Loop: Header=BB77_10 Depth=1
	s_or_b64 exec, exec, s[0:1]
	s_and_saveexec_b64 s[0:1], s[16:17]
	s_cbranch_execz .LBB77_8
	s_branch .LBB77_34
.LBB77_27:                              ;   in Loop: Header=BB77_10 Depth=1
	ds_read_b64 v[42:43], v37
	v_lshl_add_u64 v[44:45], v[10:11], 3, v[28:29]
	v_lshl_add_u64 v[46:47], v[30:31], 0, v[4:5]
	v_cndmask_b32_e32 v45, v45, v47, vcc
	v_cndmask_b32_e32 v44, v44, v46, vcc
	s_waitcnt lgkmcnt(0)
	global_store_dwordx2 v[44:45], v[42:43], off
	s_or_b64 exec, exec, s[0:1]
	s_and_saveexec_b64 s[0:1], s[4:5]
	s_cbranch_execz .LBB77_21
.LBB77_28:                              ;   in Loop: Header=BB77_10 Depth=1
	ds_read_b64 v[44:45], v37 offset:16
	v_lshl_add_u64 v[42:43], v[30:31], 0, v[4:5]
	v_lshl_add_u64 v[42:43], v[42:43], 0, 16
	;; [unrolled: 1-line block ×3, first 2 shown]
	v_cndmask_b32_e32 v43, v47, v43, vcc
	v_cndmask_b32_e32 v42, v46, v42, vcc
	s_waitcnt lgkmcnt(0)
	global_store_dwordx2 v[42:43], v[44:45], off
	s_or_b64 exec, exec, s[0:1]
	s_and_saveexec_b64 s[0:1], s[6:7]
	s_cbranch_execz .LBB77_22
.LBB77_29:                              ;   in Loop: Header=BB77_10 Depth=1
	ds_read_b64 v[44:45], v37 offset:32
	v_lshl_add_u64 v[42:43], v[30:31], 0, v[4:5]
	v_lshl_add_u64 v[42:43], v[42:43], 0, 32
	;; [unrolled: 1-line block ×3, first 2 shown]
	v_cndmask_b32_e32 v43, v47, v43, vcc
	v_cndmask_b32_e32 v42, v46, v42, vcc
	s_waitcnt lgkmcnt(0)
	global_store_dwordx2 v[42:43], v[44:45], off
	s_or_b64 exec, exec, s[0:1]
	s_and_saveexec_b64 s[0:1], s[8:9]
	s_cbranch_execz .LBB77_23
.LBB77_30:                              ;   in Loop: Header=BB77_10 Depth=1
	ds_read_b64 v[44:45], v37 offset:48
	v_lshl_add_u64 v[42:43], v[30:31], 0, v[4:5]
	v_lshl_add_u64 v[42:43], v[42:43], 0, 48
	;; [unrolled: 1-line block ×3, first 2 shown]
	v_cndmask_b32_e32 v43, v47, v43, vcc
	v_cndmask_b32_e32 v42, v46, v42, vcc
	s_waitcnt lgkmcnt(0)
	global_store_dwordx2 v[42:43], v[44:45], off
	s_or_b64 exec, exec, s[0:1]
	s_and_saveexec_b64 s[0:1], s[10:11]
	s_cbranch_execz .LBB77_24
.LBB77_31:                              ;   in Loop: Header=BB77_10 Depth=1
	ds_read_b64 v[44:45], v37 offset:64
	v_lshl_add_u64 v[42:43], v[30:31], 0, v[4:5]
	v_lshl_add_u64 v[42:43], v[42:43], 0, 64
	;; [unrolled: 1-line block ×3, first 2 shown]
	v_cndmask_b32_e32 v43, v47, v43, vcc
	v_cndmask_b32_e32 v42, v46, v42, vcc
	s_waitcnt lgkmcnt(0)
	global_store_dwordx2 v[42:43], v[44:45], off
	s_or_b64 exec, exec, s[0:1]
	s_and_saveexec_b64 s[0:1], s[12:13]
	s_cbranch_execz .LBB77_25
.LBB77_32:                              ;   in Loop: Header=BB77_10 Depth=1
	ds_read_b64 v[44:45], v37 offset:80
	v_lshl_add_u64 v[42:43], v[30:31], 0, v[4:5]
	v_lshl_add_u64 v[42:43], v[42:43], 0, s[34:35]
	;; [unrolled: 1-line block ×3, first 2 shown]
	v_cndmask_b32_e32 v43, v47, v43, vcc
	v_cndmask_b32_e32 v42, v46, v42, vcc
	s_waitcnt lgkmcnt(0)
	global_store_dwordx2 v[42:43], v[44:45], off
	s_or_b64 exec, exec, s[0:1]
	s_and_saveexec_b64 s[0:1], s[14:15]
	s_cbranch_execz .LBB77_26
.LBB77_33:                              ;   in Loop: Header=BB77_10 Depth=1
	ds_read_b64 v[44:45], v37 offset:96
	v_lshl_add_u64 v[42:43], v[30:31], 0, v[4:5]
	v_lshl_add_u64 v[42:43], v[42:43], 0, s[36:37]
	;; [unrolled: 1-line block ×3, first 2 shown]
	v_cndmask_b32_e32 v43, v47, v43, vcc
	v_cndmask_b32_e32 v42, v46, v42, vcc
	s_waitcnt lgkmcnt(0)
	global_store_dwordx2 v[42:43], v[44:45], off
	s_or_b64 exec, exec, s[0:1]
	s_and_saveexec_b64 s[0:1], s[16:17]
	s_cbranch_execz .LBB77_8
.LBB77_34:                              ;   in Loop: Header=BB77_10 Depth=1
	ds_read_b64 v[42:43], v37 offset:112
	v_lshl_add_u64 v[30:31], v[30:31], 0, v[4:5]
	v_lshl_add_u64 v[30:31], v[30:31], 0, s[38:39]
	;; [unrolled: 1-line block ×3, first 2 shown]
	v_cndmask_b32_e32 v29, v29, v31, vcc
	v_cndmask_b32_e32 v28, v28, v30, vcc
	s_waitcnt lgkmcnt(0)
	global_store_dwordx2 v[28:29], v[42:43], off
	s_branch .LBB77_8
.LBB77_35:
	s_endpgm
	.section	.rodata,"a",@progbits
	.p2align	6, 0x0
	.amdhsa_kernel _ZN9rocsparseL42csr2bsr_wavefront_per_row_multipass_kernelILj256ELj32ELj16E21rocsparse_complex_numIfEiiEEv20rocsparse_direction_T4_S4_S4_S4_S4_21rocsparse_index_base_PKT2_PKT3_PKS4_S5_PS6_PS9_PS4_
		.amdhsa_group_segment_fixed_size 16392
		.amdhsa_private_segment_fixed_size 0
		.amdhsa_kernarg_size 88
		.amdhsa_user_sgpr_count 2
		.amdhsa_user_sgpr_dispatch_ptr 0
		.amdhsa_user_sgpr_queue_ptr 0
		.amdhsa_user_sgpr_kernarg_segment_ptr 1
		.amdhsa_user_sgpr_dispatch_id 0
		.amdhsa_user_sgpr_kernarg_preload_length 0
		.amdhsa_user_sgpr_kernarg_preload_offset 0
		.amdhsa_user_sgpr_private_segment_size 0
		.amdhsa_uses_dynamic_stack 0
		.amdhsa_enable_private_segment 0
		.amdhsa_system_sgpr_workgroup_id_x 1
		.amdhsa_system_sgpr_workgroup_id_y 0
		.amdhsa_system_sgpr_workgroup_id_z 0
		.amdhsa_system_sgpr_workgroup_info 0
		.amdhsa_system_vgpr_workitem_id 0
		.amdhsa_next_free_vgpr 48
		.amdhsa_next_free_sgpr 50
		.amdhsa_accum_offset 48
		.amdhsa_reserve_vcc 1
		.amdhsa_float_round_mode_32 0
		.amdhsa_float_round_mode_16_64 0
		.amdhsa_float_denorm_mode_32 3
		.amdhsa_float_denorm_mode_16_64 3
		.amdhsa_dx10_clamp 1
		.amdhsa_ieee_mode 1
		.amdhsa_fp16_overflow 0
		.amdhsa_tg_split 0
		.amdhsa_exception_fp_ieee_invalid_op 0
		.amdhsa_exception_fp_denorm_src 0
		.amdhsa_exception_fp_ieee_div_zero 0
		.amdhsa_exception_fp_ieee_overflow 0
		.amdhsa_exception_fp_ieee_underflow 0
		.amdhsa_exception_fp_ieee_inexact 0
		.amdhsa_exception_int_div_zero 0
	.end_amdhsa_kernel
	.section	.text._ZN9rocsparseL42csr2bsr_wavefront_per_row_multipass_kernelILj256ELj32ELj16E21rocsparse_complex_numIfEiiEEv20rocsparse_direction_T4_S4_S4_S4_S4_21rocsparse_index_base_PKT2_PKT3_PKS4_S5_PS6_PS9_PS4_,"axG",@progbits,_ZN9rocsparseL42csr2bsr_wavefront_per_row_multipass_kernelILj256ELj32ELj16E21rocsparse_complex_numIfEiiEEv20rocsparse_direction_T4_S4_S4_S4_S4_21rocsparse_index_base_PKT2_PKT3_PKS4_S5_PS6_PS9_PS4_,comdat
.Lfunc_end77:
	.size	_ZN9rocsparseL42csr2bsr_wavefront_per_row_multipass_kernelILj256ELj32ELj16E21rocsparse_complex_numIfEiiEEv20rocsparse_direction_T4_S4_S4_S4_S4_21rocsparse_index_base_PKT2_PKT3_PKS4_S5_PS6_PS9_PS4_, .Lfunc_end77-_ZN9rocsparseL42csr2bsr_wavefront_per_row_multipass_kernelILj256ELj32ELj16E21rocsparse_complex_numIfEiiEEv20rocsparse_direction_T4_S4_S4_S4_S4_21rocsparse_index_base_PKT2_PKT3_PKS4_S5_PS6_PS9_PS4_
                                        ; -- End function
	.section	.AMDGPU.csdata,"",@progbits
; Kernel info:
; codeLenInByte = 1920
; NumSgprs: 56
; NumVgprs: 48
; NumAgprs: 0
; TotalNumVgprs: 48
; ScratchSize: 0
; MemoryBound: 0
; FloatMode: 240
; IeeeMode: 1
; LDSByteSize: 16392 bytes/workgroup (compile time only)
; SGPRBlocks: 6
; VGPRBlocks: 5
; NumSGPRsForWavesPerEU: 56
; NumVGPRsForWavesPerEU: 48
; AccumOffset: 48
; Occupancy: 3
; WaveLimiterHint : 0
; COMPUTE_PGM_RSRC2:SCRATCH_EN: 0
; COMPUTE_PGM_RSRC2:USER_SGPR: 2
; COMPUTE_PGM_RSRC2:TRAP_HANDLER: 0
; COMPUTE_PGM_RSRC2:TGID_X_EN: 1
; COMPUTE_PGM_RSRC2:TGID_Y_EN: 0
; COMPUTE_PGM_RSRC2:TGID_Z_EN: 0
; COMPUTE_PGM_RSRC2:TIDIG_COMP_CNT: 0
; COMPUTE_PGM_RSRC3_GFX90A:ACCUM_OFFSET: 11
; COMPUTE_PGM_RSRC3_GFX90A:TG_SPLIT: 0
	.section	.text._ZN9rocsparseL38csr2bsr_block_per_row_multipass_kernelILj256ELj32E21rocsparse_complex_numIfEiiEEv20rocsparse_direction_T3_S4_S4_S4_S4_21rocsparse_index_base_PKT1_PKT2_PKS4_S5_PS6_PS9_PS4_,"axG",@progbits,_ZN9rocsparseL38csr2bsr_block_per_row_multipass_kernelILj256ELj32E21rocsparse_complex_numIfEiiEEv20rocsparse_direction_T3_S4_S4_S4_S4_21rocsparse_index_base_PKT1_PKT2_PKS4_S5_PS6_PS9_PS4_,comdat
	.globl	_ZN9rocsparseL38csr2bsr_block_per_row_multipass_kernelILj256ELj32E21rocsparse_complex_numIfEiiEEv20rocsparse_direction_T3_S4_S4_S4_S4_21rocsparse_index_base_PKT1_PKT2_PKS4_S5_PS6_PS9_PS4_ ; -- Begin function _ZN9rocsparseL38csr2bsr_block_per_row_multipass_kernelILj256ELj32E21rocsparse_complex_numIfEiiEEv20rocsparse_direction_T3_S4_S4_S4_S4_21rocsparse_index_base_PKT1_PKT2_PKS4_S5_PS6_PS9_PS4_
	.p2align	8
	.type	_ZN9rocsparseL38csr2bsr_block_per_row_multipass_kernelILj256ELj32E21rocsparse_complex_numIfEiiEEv20rocsparse_direction_T3_S4_S4_S4_S4_21rocsparse_index_base_PKT1_PKT2_PKS4_S5_PS6_PS9_PS4_,@function
_ZN9rocsparseL38csr2bsr_block_per_row_multipass_kernelILj256ELj32E21rocsparse_complex_numIfEiiEEv20rocsparse_direction_T3_S4_S4_S4_S4_21rocsparse_index_base_PKT1_PKT2_PKS4_S5_PS6_PS9_PS4_: ; @_ZN9rocsparseL38csr2bsr_block_per_row_multipass_kernelILj256ELj32E21rocsparse_complex_numIfEiiEEv20rocsparse_direction_T3_S4_S4_S4_S4_21rocsparse_index_base_PKT1_PKT2_PKS4_S5_PS6_PS9_PS4_
; %bb.0:
	s_load_dwordx4 s[20:23], s[0:1], 0x10
	s_load_dwordx2 s[6:7], s[0:1], 0x0
	s_load_dwordx2 s[8:9], s[0:1], 0x28
	v_lshrrev_b32_e32 v1, 3, v0
	v_mov_b32_e32 v18, 0
	s_waitcnt lgkmcnt(0)
	s_mul_i32 s3, s2, s21
	v_add_u32_e32 v2, s3, v1
	v_cmp_gt_i32_e64 s[4:5], s7, v2
	v_cmp_gt_i32_e32 vcc, s21, v1
	s_and_b64 s[4:5], vcc, s[4:5]
	v_mov_b32_e32 v27, 0
	s_and_saveexec_b64 s[10:11], s[4:5]
	s_cbranch_execnz .LBB78_3
; %bb.1:
	s_or_b64 exec, exec, s[10:11]
	s_and_saveexec_b64 s[10:11], s[4:5]
	s_cbranch_execnz .LBB78_4
.LBB78_2:
	s_or_b64 exec, exec, s[10:11]
	s_cmp_lt_i32 s20, 1
	s_cbranch_scc0 .LBB78_5
	s_branch .LBB78_41
.LBB78_3:
	v_ashrrev_i32_e32 v3, 31, v2
	v_lshl_add_u64 v[4:5], v[2:3], 2, s[8:9]
	global_load_dword v3, v[4:5], off
	s_waitcnt vmcnt(0)
	v_subrev_u32_e32 v27, s22, v3
	s_or_b64 exec, exec, s[10:11]
	s_and_saveexec_b64 s[10:11], s[4:5]
	s_cbranch_execz .LBB78_2
.LBB78_4:
	v_ashrrev_i32_e32 v3, 31, v2
	v_lshl_add_u64 v[2:3], v[2:3], 2, s[8:9]
	global_load_dword v2, v[2:3], off offset:4
	s_waitcnt vmcnt(0)
	v_subrev_u32_e32 v18, s22, v2
	s_or_b64 exec, exec, s[10:11]
	s_cmp_lt_i32 s20, 1
	s_cbranch_scc1 .LBB78_41
.LBB78_5:
	s_load_dwordx4 s[8:11], s[0:1], 0x40
	s_load_dwordx2 s[24:25], s[0:1], 0x50
	s_load_dword s23, s[0:1], 0x38
	s_ashr_i32 s3, s2, 31
	s_lshl_b64 s[2:3], s[2:3], 2
	s_waitcnt lgkmcnt(0)
	s_add_u32 s2, s10, s2
	s_addc_u32 s3, s11, s3
	s_load_dword s4, s[2:3], 0x0
	s_load_dwordx2 s[26:27], s[0:1], 0x20
	s_load_dwordx2 s[28:29], s[0:1], 0x30
	v_mbcnt_lo_u32_b32 v2, -1, 0
	v_mbcnt_hi_u32_b32 v2, -1, v2
	s_waitcnt lgkmcnt(0)
	s_sub_i32 s30, s4, s23
	s_cmp_eq_u32 s6, 0
	s_cselect_b64 s[0:1], -1, 0
	s_abs_i32 s51, s21
	v_cvt_f32_u32_e32 v10, s51
	v_lshl_or_b32 v22, v2, 2, 28
	v_lshlrev_b32_e32 v2, 3, v1
	v_mov_b32_e32 v3, 0
	v_and_b32_e32 v19, 7, v0
	v_lshlrev_b32_e32 v20, 5, v1
	v_lshl_add_u64 v[4:5], s[8:9], 0, v[2:3]
	v_mul_lo_u32 v2, v1, s21
	s_movk_i32 s2, 0x80
	v_lshl_add_u64 v[6:7], v[2:3], 3, s[8:9]
	v_lshlrev_b32_e32 v23, 2, v0
	v_cmp_gt_u32_e64 s[2:3], s2, v0
	v_cmp_gt_u32_e64 s[4:5], 64, v0
	;; [unrolled: 1-line block ×7, first 2 shown]
	v_cmp_eq_u32_e64 s[16:17], 0, v0
	v_or_b32_e32 v0, v20, v19
	v_rcp_iflag_f32_e32 v12, v10
	v_lshlrev_b32_e32 v24, 3, v0
	v_cmp_gt_u32_e64 s[18:19], s21, v19
	v_or_b32_e32 v0, 8, v19
	s_and_b64 s[34:35], vcc, s[18:19]
	v_cmp_gt_u32_e64 s[18:19], s21, v0
	v_or_b32_e32 v8, 16, v19
	s_and_b64 s[36:37], vcc, s[18:19]
	;; [unrolled: 3-line block ×3, first 2 shown]
	v_cmp_gt_u32_e64 s[18:19], s21, v11
	v_mul_f32_e32 v11, 0x4f7ffffe, v12
	v_cvt_u32_f32_e32 v12, v11
	v_lshlrev_b32_e32 v2, 3, v19
	v_lshl_add_u64 v[6:7], v[6:7], 0, v[2:3]
	v_mul_lo_u32 v2, v19, s21
	s_lshl_b32 s31, s21, 3
	s_and_b64 s[40:41], vcc, s[18:19]
	s_sub_i32 s18, 0, s51
	s_mov_b32 s42, 0
	v_add_u32_e32 v0, s31, v2
	v_mul_lo_u32 v13, s18, v12
	v_add_u32_e32 v8, s31, v0
	v_mul_hi_u32 v13, v12, v13
	s_mov_b32 s43, s42
	v_mov_b32_e32 v21, 0
	s_mul_hi_u32 s33, s21, s21
	s_mul_i32 s50, s21, s21
	v_mov_b32_e32 v1, v3
	v_mov_b32_e32 v9, v3
	v_add_u32_e32 v10, s31, v8
	v_mov_b32_e32 v11, v3
	s_ashr_i32 s52, s21, 31
	v_add_u32_e32 v25, v12, v13
	v_mov_b64_e32 v[12:13], s[42:43]
	s_mov_b64 s[42:43], 0x80
	s_mov_b64 s[44:45], 0xc0
	v_mov_b32_e32 v26, 1
	v_mov_b32_e32 v16, 0
	s_branch .LBB78_7
.LBB78_6:                               ;   in Loop: Header=BB78_7 Depth=1
	s_or_b64 exec, exec, s[18:19]
	s_waitcnt lgkmcnt(0)
	s_barrier
	ds_read_b32 v16, v3
	s_add_i32 s30, s31, s30
	s_waitcnt lgkmcnt(0)
	s_barrier
	v_cmp_gt_i32_e32 vcc, s20, v16
	s_cbranch_vccz .LBB78_41
.LBB78_7:                               ; =>This Loop Header: Depth=1
                                        ;     Child Loop BB78_10 Depth 2
	v_add_u32_e32 v14, v27, v19
	v_cmp_lt_i32_e32 vcc, v14, v18
	v_mov_b32_e32 v28, s20
	v_mov_b32_e32 v27, v18
	ds_write_b8 v3, v21 offset:8192
	ds_write2_b64 v24, v[12:13], v[12:13] offset1:8
	ds_write2_b64 v24, v[12:13], v[12:13] offset0:16 offset1:24
	s_waitcnt lgkmcnt(0)
	s_barrier
	s_and_saveexec_b64 s[46:47], vcc
	s_cbranch_execz .LBB78_15
; %bb.8:                                ;   in Loop: Header=BB78_7 Depth=1
	v_mul_lo_u32 v17, v16, s21
	s_mov_b64 s[48:49], 0
	v_mov_b32_e32 v28, s20
	v_mov_b32_e32 v27, v18
	s_branch .LBB78_10
.LBB78_9:                               ;   in Loop: Header=BB78_10 Depth=2
	s_or_b64 exec, exec, s[18:19]
	v_add_u32_e32 v14, 8, v14
	v_cmp_ge_i32_e64 s[18:19], v14, v18
	s_xor_b64 s[54:55], vcc, -1
	s_or_b64 s[18:19], s[54:55], s[18:19]
	s_and_b64 s[18:19], exec, s[18:19]
	s_or_b64 s[48:49], s[18:19], s[48:49]
	s_andn2_b64 exec, exec, s[48:49]
	s_cbranch_execz .LBB78_14
.LBB78_10:                              ;   Parent Loop BB78_7 Depth=1
                                        ; =>  This Inner Loop Header: Depth=2
	v_ashrrev_i32_e32 v15, 31, v14
	v_lshl_add_u64 v[30:31], v[14:15], 2, s[28:29]
	global_load_dword v29, v[30:31], off
	s_waitcnt vmcnt(0)
	v_subrev_u32_e32 v29, s22, v29
	v_sub_u32_e32 v31, 0, v29
	v_max_i32_e32 v31, v29, v31
	v_mul_hi_u32 v32, v31, v25
	v_mul_lo_u32 v33, v32, s51
	v_sub_u32_e32 v31, v31, v33
	v_add_u32_e32 v34, 1, v32
	v_cmp_le_u32_e32 vcc, s51, v31
	v_subrev_u32_e32 v33, s51, v31
	v_ashrrev_i32_e32 v30, 31, v29
	v_cndmask_b32_e32 v32, v32, v34, vcc
	v_cndmask_b32_e32 v31, v31, v33, vcc
	v_add_u32_e32 v33, 1, v32
	v_cmp_le_u32_e32 vcc, s51, v31
	v_xor_b32_e32 v30, s52, v30
	s_nop 0
	v_cndmask_b32_e32 v31, v32, v33, vcc
	v_xor_b32_e32 v31, v31, v30
	v_sub_u32_e32 v31, v31, v30
	v_cmp_eq_u32_e32 vcc, v31, v16
	v_cmp_ne_u32_e64 s[18:19], v31, v16
	v_mov_b32_e32 v30, v27
	s_and_saveexec_b64 s[54:55], s[18:19]
	s_xor_b64 s[18:19], exec, s[54:55]
; %bb.11:                               ;   in Loop: Header=BB78_10 Depth=2
	v_min_i32_e32 v28, v31, v28
                                        ; implicit-def: $vgpr29
                                        ; implicit-def: $vgpr30
; %bb.12:                               ;   in Loop: Header=BB78_10 Depth=2
	s_or_saveexec_b64 s[18:19], s[18:19]
	v_mov_b32_e32 v27, v14
	s_xor_b64 exec, exec, s[18:19]
	s_cbranch_execz .LBB78_9
; %bb.13:                               ;   in Loop: Header=BB78_10 Depth=2
	v_lshl_add_u64 v[32:33], v[14:15], 3, s[26:27]
	global_load_dwordx2 v[32:33], v[32:33], off
	v_sub_u32_e32 v15, v29, v17
	v_add_lshl_u32 v15, v15, v20, 3
	v_mov_b32_e32 v27, v30
	ds_write_b8 v3, v26 offset:8192
	s_waitcnt vmcnt(0)
	ds_write_b64 v15, v[32:33]
	s_branch .LBB78_9
.LBB78_14:                              ;   in Loop: Header=BB78_7 Depth=1
	s_or_b64 exec, exec, s[48:49]
.LBB78_15:                              ;   in Loop: Header=BB78_7 Depth=1
	s_or_b64 exec, exec, s[46:47]
	v_mov_b32_dpp v14, v27 row_shr:1 row_mask:0xf bank_mask:0xf
	v_min_i32_e32 v14, v14, v27
	s_waitcnt lgkmcnt(0)
	s_barrier
	v_mov_b32_dpp v15, v14 row_shr:2 row_mask:0xf bank_mask:0xf
	v_min_i32_e32 v14, v15, v14
	ds_read_u8 v15, v3 offset:8192
	s_nop 0
	v_mov_b32_dpp v17, v14 row_shr:4 row_mask:0xf bank_mask:0xe
	v_min_i32_e32 v14, v17, v14
	ds_bpermute_b32 v27, v22, v14
	s_mov_b32 s31, 0
	s_waitcnt lgkmcnt(1)
	v_cmp_eq_u32_e32 vcc, 0, v15
	s_cbranch_vccnz .LBB78_22
; %bb.16:                               ;   in Loop: Header=BB78_7 Depth=1
	s_ashr_i32 s31, s30, 31
	s_lshl_b64 s[18:19], s[30:31], 2
	s_add_u32 s18, s24, s18
	v_add_u32_e32 v14, s23, v16
	s_addc_u32 s19, s25, s19
	global_store_dword v3, v14, s[18:19]
	s_mul_hi_u32 s18, s50, s30
	s_mul_i32 s19, s50, s31
	s_add_i32 s18, s18, s19
	s_mul_i32 s19, s33, s30
	s_add_i32 s19, s18, s19
	s_mul_i32 s18, s50, s30
	s_lshl_b64 s[18:19], s[18:19], 3
	v_lshl_add_u64 v[14:15], v[4:5], 0, s[18:19]
	v_lshl_add_u64 v[16:17], v[6:7], 0, s[18:19]
	s_and_saveexec_b64 s[18:19], s[34:35]
	s_cbranch_execnz .LBB78_38
; %bb.17:                               ;   in Loop: Header=BB78_7 Depth=1
	s_or_b64 exec, exec, s[18:19]
	s_and_saveexec_b64 s[18:19], s[36:37]
	s_cbranch_execnz .LBB78_39
.LBB78_18:                              ;   in Loop: Header=BB78_7 Depth=1
	s_or_b64 exec, exec, s[18:19]
	s_and_saveexec_b64 s[18:19], s[38:39]
	s_cbranch_execnz .LBB78_40
.LBB78_19:                              ;   in Loop: Header=BB78_7 Depth=1
	s_or_b64 exec, exec, s[18:19]
	s_and_saveexec_b64 s[18:19], s[40:41]
	s_cbranch_execz .LBB78_21
.LBB78_20:                              ;   in Loop: Header=BB78_7 Depth=1
	ds_read_b64 v[30:31], v24 offset:192
	v_lshl_add_u64 v[16:17], v[16:17], 0, s[44:45]
	v_lshl_add_u64 v[14:15], v[10:11], 3, v[14:15]
	v_cndmask_b32_e64 v15, v15, v17, s[0:1]
	v_cndmask_b32_e64 v14, v14, v16, s[0:1]
	s_waitcnt lgkmcnt(0)
	global_store_dwordx2 v[14:15], v[30:31], off
.LBB78_21:                              ;   in Loop: Header=BB78_7 Depth=1
	s_or_b64 exec, exec, s[18:19]
	s_mov_b32 s31, 1
.LBB78_22:                              ;   in Loop: Header=BB78_7 Depth=1
	s_waitcnt lgkmcnt(0)
	s_barrier
	ds_write_b32 v23, v28
	s_waitcnt lgkmcnt(0)
	s_barrier
	s_and_saveexec_b64 s[18:19], s[2:3]
	s_cbranch_execz .LBB78_24
; %bb.23:                               ;   in Loop: Header=BB78_7 Depth=1
	ds_read2st64_b32 v[14:15], v23 offset1:2
	s_waitcnt lgkmcnt(0)
	v_min_i32_e32 v14, v15, v14
	ds_write_b32 v23, v14
.LBB78_24:                              ;   in Loop: Header=BB78_7 Depth=1
	s_or_b64 exec, exec, s[18:19]
	s_waitcnt lgkmcnt(0)
	s_barrier
	s_and_saveexec_b64 s[18:19], s[4:5]
	s_cbranch_execz .LBB78_26
; %bb.25:                               ;   in Loop: Header=BB78_7 Depth=1
	ds_read2st64_b32 v[14:15], v23 offset1:1
	s_waitcnt lgkmcnt(0)
	v_min_i32_e32 v14, v15, v14
	ds_write_b32 v23, v14
.LBB78_26:                              ;   in Loop: Header=BB78_7 Depth=1
	s_or_b64 exec, exec, s[18:19]
	s_waitcnt lgkmcnt(0)
	s_barrier
	s_and_saveexec_b64 s[18:19], s[6:7]
	s_cbranch_execz .LBB78_28
; %bb.27:                               ;   in Loop: Header=BB78_7 Depth=1
	ds_read2_b32 v[14:15], v23 offset1:32
	s_waitcnt lgkmcnt(0)
	v_min_i32_e32 v14, v15, v14
	ds_write_b32 v23, v14
.LBB78_28:                              ;   in Loop: Header=BB78_7 Depth=1
	s_or_b64 exec, exec, s[18:19]
	s_waitcnt lgkmcnt(0)
	s_barrier
	s_and_saveexec_b64 s[18:19], s[8:9]
	s_cbranch_execz .LBB78_30
; %bb.29:                               ;   in Loop: Header=BB78_7 Depth=1
	ds_read2_b32 v[14:15], v23 offset1:16
	s_waitcnt lgkmcnt(0)
	v_min_i32_e32 v14, v15, v14
	ds_write_b32 v23, v14
.LBB78_30:                              ;   in Loop: Header=BB78_7 Depth=1
	;; [unrolled: 11-line block ×5, first 2 shown]
	s_or_b64 exec, exec, s[18:19]
	s_waitcnt lgkmcnt(0)
	s_barrier
	s_and_saveexec_b64 s[18:19], s[16:17]
	s_cbranch_execz .LBB78_6
; %bb.37:                               ;   in Loop: Header=BB78_7 Depth=1
	ds_read_b64 v[14:15], v3
	s_waitcnt lgkmcnt(0)
	v_min_i32_e32 v14, v15, v14
	ds_write_b32 v3, v14
	s_branch .LBB78_6
.LBB78_38:                              ;   in Loop: Header=BB78_7 Depth=1
	ds_read_b64 v[30:31], v24
	v_lshl_add_u64 v[32:33], v[2:3], 3, v[14:15]
	v_cndmask_b32_e64 v33, v33, v17, s[0:1]
	v_cndmask_b32_e64 v32, v32, v16, s[0:1]
	s_waitcnt lgkmcnt(0)
	global_store_dwordx2 v[32:33], v[30:31], off
	s_or_b64 exec, exec, s[18:19]
	s_and_saveexec_b64 s[18:19], s[36:37]
	s_cbranch_execz .LBB78_18
.LBB78_39:                              ;   in Loop: Header=BB78_7 Depth=1
	ds_read_b64 v[30:31], v24 offset:64
	v_lshl_add_u64 v[32:33], v[16:17], 0, 64
	v_lshl_add_u64 v[34:35], v[0:1], 3, v[14:15]
	v_cndmask_b32_e64 v33, v35, v33, s[0:1]
	v_cndmask_b32_e64 v32, v34, v32, s[0:1]
	s_waitcnt lgkmcnt(0)
	global_store_dwordx2 v[32:33], v[30:31], off
	s_or_b64 exec, exec, s[18:19]
	s_and_saveexec_b64 s[18:19], s[38:39]
	s_cbranch_execz .LBB78_19
.LBB78_40:                              ;   in Loop: Header=BB78_7 Depth=1
	ds_read_b64 v[30:31], v24 offset:128
	v_lshl_add_u64 v[32:33], v[16:17], 0, s[42:43]
	v_lshl_add_u64 v[34:35], v[8:9], 3, v[14:15]
	v_cndmask_b32_e64 v33, v35, v33, s[0:1]
	v_cndmask_b32_e64 v32, v34, v32, s[0:1]
	s_waitcnt lgkmcnt(0)
	global_store_dwordx2 v[32:33], v[30:31], off
	s_or_b64 exec, exec, s[18:19]
	s_and_saveexec_b64 s[18:19], s[40:41]
	s_cbranch_execnz .LBB78_20
	s_branch .LBB78_21
.LBB78_41:
	s_endpgm
	.section	.rodata,"a",@progbits
	.p2align	6, 0x0
	.amdhsa_kernel _ZN9rocsparseL38csr2bsr_block_per_row_multipass_kernelILj256ELj32E21rocsparse_complex_numIfEiiEEv20rocsparse_direction_T3_S4_S4_S4_S4_21rocsparse_index_base_PKT1_PKT2_PKS4_S5_PS6_PS9_PS4_
		.amdhsa_group_segment_fixed_size 8196
		.amdhsa_private_segment_fixed_size 0
		.amdhsa_kernarg_size 88
		.amdhsa_user_sgpr_count 2
		.amdhsa_user_sgpr_dispatch_ptr 0
		.amdhsa_user_sgpr_queue_ptr 0
		.amdhsa_user_sgpr_kernarg_segment_ptr 1
		.amdhsa_user_sgpr_dispatch_id 0
		.amdhsa_user_sgpr_kernarg_preload_length 0
		.amdhsa_user_sgpr_kernarg_preload_offset 0
		.amdhsa_user_sgpr_private_segment_size 0
		.amdhsa_uses_dynamic_stack 0
		.amdhsa_enable_private_segment 0
		.amdhsa_system_sgpr_workgroup_id_x 1
		.amdhsa_system_sgpr_workgroup_id_y 0
		.amdhsa_system_sgpr_workgroup_id_z 0
		.amdhsa_system_sgpr_workgroup_info 0
		.amdhsa_system_vgpr_workitem_id 0
		.amdhsa_next_free_vgpr 36
		.amdhsa_next_free_sgpr 56
		.amdhsa_accum_offset 36
		.amdhsa_reserve_vcc 1
		.amdhsa_float_round_mode_32 0
		.amdhsa_float_round_mode_16_64 0
		.amdhsa_float_denorm_mode_32 3
		.amdhsa_float_denorm_mode_16_64 3
		.amdhsa_dx10_clamp 1
		.amdhsa_ieee_mode 1
		.amdhsa_fp16_overflow 0
		.amdhsa_tg_split 0
		.amdhsa_exception_fp_ieee_invalid_op 0
		.amdhsa_exception_fp_denorm_src 0
		.amdhsa_exception_fp_ieee_div_zero 0
		.amdhsa_exception_fp_ieee_overflow 0
		.amdhsa_exception_fp_ieee_underflow 0
		.amdhsa_exception_fp_ieee_inexact 0
		.amdhsa_exception_int_div_zero 0
	.end_amdhsa_kernel
	.section	.text._ZN9rocsparseL38csr2bsr_block_per_row_multipass_kernelILj256ELj32E21rocsparse_complex_numIfEiiEEv20rocsparse_direction_T3_S4_S4_S4_S4_21rocsparse_index_base_PKT1_PKT2_PKS4_S5_PS6_PS9_PS4_,"axG",@progbits,_ZN9rocsparseL38csr2bsr_block_per_row_multipass_kernelILj256ELj32E21rocsparse_complex_numIfEiiEEv20rocsparse_direction_T3_S4_S4_S4_S4_21rocsparse_index_base_PKT1_PKT2_PKS4_S5_PS6_PS9_PS4_,comdat
.Lfunc_end78:
	.size	_ZN9rocsparseL38csr2bsr_block_per_row_multipass_kernelILj256ELj32E21rocsparse_complex_numIfEiiEEv20rocsparse_direction_T3_S4_S4_S4_S4_21rocsparse_index_base_PKT1_PKT2_PKS4_S5_PS6_PS9_PS4_, .Lfunc_end78-_ZN9rocsparseL38csr2bsr_block_per_row_multipass_kernelILj256ELj32E21rocsparse_complex_numIfEiiEEv20rocsparse_direction_T3_S4_S4_S4_S4_21rocsparse_index_base_PKT1_PKT2_PKS4_S5_PS6_PS9_PS4_
                                        ; -- End function
	.section	.AMDGPU.csdata,"",@progbits
; Kernel info:
; codeLenInByte = 1812
; NumSgprs: 62
; NumVgprs: 36
; NumAgprs: 0
; TotalNumVgprs: 36
; ScratchSize: 0
; MemoryBound: 0
; FloatMode: 240
; IeeeMode: 1
; LDSByteSize: 8196 bytes/workgroup (compile time only)
; SGPRBlocks: 7
; VGPRBlocks: 4
; NumSGPRsForWavesPerEU: 62
; NumVGPRsForWavesPerEU: 36
; AccumOffset: 36
; Occupancy: 7
; WaveLimiterHint : 0
; COMPUTE_PGM_RSRC2:SCRATCH_EN: 0
; COMPUTE_PGM_RSRC2:USER_SGPR: 2
; COMPUTE_PGM_RSRC2:TRAP_HANDLER: 0
; COMPUTE_PGM_RSRC2:TGID_X_EN: 1
; COMPUTE_PGM_RSRC2:TGID_Y_EN: 0
; COMPUTE_PGM_RSRC2:TGID_Z_EN: 0
; COMPUTE_PGM_RSRC2:TIDIG_COMP_CNT: 0
; COMPUTE_PGM_RSRC3_GFX90A:ACCUM_OFFSET: 8
; COMPUTE_PGM_RSRC3_GFX90A:TG_SPLIT: 0
	.section	.text._ZN9rocsparseL38csr2bsr_block_per_row_multipass_kernelILj256ELj64E21rocsparse_complex_numIfEiiEEv20rocsparse_direction_T3_S4_S4_S4_S4_21rocsparse_index_base_PKT1_PKT2_PKS4_S5_PS6_PS9_PS4_,"axG",@progbits,_ZN9rocsparseL38csr2bsr_block_per_row_multipass_kernelILj256ELj64E21rocsparse_complex_numIfEiiEEv20rocsparse_direction_T3_S4_S4_S4_S4_21rocsparse_index_base_PKT1_PKT2_PKS4_S5_PS6_PS9_PS4_,comdat
	.globl	_ZN9rocsparseL38csr2bsr_block_per_row_multipass_kernelILj256ELj64E21rocsparse_complex_numIfEiiEEv20rocsparse_direction_T3_S4_S4_S4_S4_21rocsparse_index_base_PKT1_PKT2_PKS4_S5_PS6_PS9_PS4_ ; -- Begin function _ZN9rocsparseL38csr2bsr_block_per_row_multipass_kernelILj256ELj64E21rocsparse_complex_numIfEiiEEv20rocsparse_direction_T3_S4_S4_S4_S4_21rocsparse_index_base_PKT1_PKT2_PKS4_S5_PS6_PS9_PS4_
	.p2align	8
	.type	_ZN9rocsparseL38csr2bsr_block_per_row_multipass_kernelILj256ELj64E21rocsparse_complex_numIfEiiEEv20rocsparse_direction_T3_S4_S4_S4_S4_21rocsparse_index_base_PKT1_PKT2_PKS4_S5_PS6_PS9_PS4_,@function
_ZN9rocsparseL38csr2bsr_block_per_row_multipass_kernelILj256ELj64E21rocsparse_complex_numIfEiiEEv20rocsparse_direction_T3_S4_S4_S4_S4_21rocsparse_index_base_PKT1_PKT2_PKS4_S5_PS6_PS9_PS4_: ; @_ZN9rocsparseL38csr2bsr_block_per_row_multipass_kernelILj256ELj64E21rocsparse_complex_numIfEiiEEv20rocsparse_direction_T3_S4_S4_S4_S4_21rocsparse_index_base_PKT1_PKT2_PKS4_S5_PS6_PS9_PS4_
; %bb.0:
	s_load_dwordx4 s[20:23], s[0:1], 0x10
	s_load_dwordx2 s[6:7], s[0:1], 0x0
	s_load_dwordx2 s[8:9], s[0:1], 0x28
	v_lshrrev_b32_e32 v1, 2, v0
	v_mov_b32_e32 v42, 0
	s_waitcnt lgkmcnt(0)
	s_mul_i32 s3, s2, s21
	v_add_u32_e32 v2, s3, v1
	v_cmp_gt_i32_e64 s[4:5], s7, v2
	v_cmp_gt_i32_e32 vcc, s21, v1
	s_and_b64 s[4:5], vcc, s[4:5]
	v_mov_b32_e32 v49, 0
	s_and_saveexec_b64 s[10:11], s[4:5]
	s_cbranch_execnz .LBB79_3
; %bb.1:
	s_or_b64 exec, exec, s[10:11]
	s_and_saveexec_b64 s[10:11], s[4:5]
	s_cbranch_execnz .LBB79_4
.LBB79_2:
	s_or_b64 exec, exec, s[10:11]
	s_cmp_lt_i32 s20, 1
	s_cbranch_scc0 .LBB79_5
	s_branch .LBB79_65
.LBB79_3:
	v_ashrrev_i32_e32 v3, 31, v2
	v_lshl_add_u64 v[4:5], v[2:3], 2, s[8:9]
	global_load_dword v3, v[4:5], off
	s_waitcnt vmcnt(0)
	v_subrev_u32_e32 v49, s22, v3
	s_or_b64 exec, exec, s[10:11]
	s_and_saveexec_b64 s[10:11], s[4:5]
	s_cbranch_execz .LBB79_2
.LBB79_4:
	v_ashrrev_i32_e32 v3, 31, v2
	v_lshl_add_u64 v[2:3], v[2:3], 2, s[8:9]
	global_load_dword v2, v[2:3], off offset:4
	s_waitcnt vmcnt(0)
	v_subrev_u32_e32 v42, s22, v2
	s_or_b64 exec, exec, s[10:11]
	s_cmp_lt_i32 s20, 1
	s_cbranch_scc1 .LBB79_65
.LBB79_5:
	s_load_dwordx4 s[8:11], s[0:1], 0x40
	s_load_dwordx2 s[24:25], s[0:1], 0x50
	s_load_dword s23, s[0:1], 0x38
	s_ashr_i32 s3, s2, 31
	s_lshl_b64 s[2:3], s[2:3], 2
	s_waitcnt lgkmcnt(0)
	s_add_u32 s2, s10, s2
	s_addc_u32 s3, s11, s3
	s_load_dword s4, s[2:3], 0x0
	s_load_dwordx2 s[26:27], s[0:1], 0x20
	s_load_dwordx2 s[28:29], s[0:1], 0x30
	v_mbcnt_lo_u32_b32 v2, -1, 0
	v_mbcnt_hi_u32_b32 v2, -1, v2
	v_lshl_or_b32 v46, v2, 2, 12
	v_lshlrev_b32_e32 v2, 3, v1
	v_mov_b32_e32 v3, 0
	v_and_b32_e32 v43, 3, v0
	v_lshlrev_b32_e32 v44, 6, v1
	s_waitcnt lgkmcnt(0)
	s_sub_i32 s30, s4, s23
	v_lshl_add_u64 v[4:5], s[8:9], 0, v[2:3]
	v_mul_lo_u32 v2, v1, s21
	s_movk_i32 s2, 0x80
	s_cmp_eq_u32 s6, 0
	v_lshl_add_u64 v[6:7], v[2:3], 3, s[8:9]
	v_lshlrev_b32_e32 v47, 2, v0
	v_cmp_gt_u32_e64 s[2:3], s2, v0
	v_cmp_gt_u32_e64 s[4:5], 64, v0
	v_cmp_gt_u32_e64 s[6:7], 32, v0
	v_cmp_gt_u32_e64 s[8:9], 16, v0
	v_cmp_gt_u32_e64 s[10:11], 8, v0
	v_cmp_gt_u32_e64 s[12:13], 4, v0
	v_cmp_gt_u32_e64 s[14:15], 2, v0
	v_cmp_eq_u32_e64 s[16:17], 0, v0
	v_or_b32_e32 v0, v44, v43
	v_lshlrev_b32_e32 v48, 3, v0
	v_cmp_gt_u32_e64 s[18:19], s21, v43
	v_or_b32_e32 v0, 4, v43
	s_cselect_b64 s[0:1], -1, 0
	s_and_b64 s[34:35], vcc, s[18:19]
	v_cmp_gt_u32_e64 s[18:19], s21, v0
	v_or_b32_e32 v8, 8, v43
	s_and_b64 s[36:37], vcc, s[18:19]
	v_cmp_gt_u32_e64 s[18:19], s21, v8
	v_or_b32_e32 v10, 12, v43
	;; [unrolled: 3-line block ×5, first 2 shown]
	v_lshlrev_b32_e32 v2, 3, v43
	s_and_b64 s[44:45], vcc, s[18:19]
	v_cmp_gt_u32_e64 s[18:19], s21, v16
	v_or_b32_e32 v18, 28, v43
	s_abs_i32 s97, s21
	v_lshl_add_u64 v[6:7], v[6:7], 0, v[2:3]
	v_mul_lo_u32 v2, v43, s21
	s_lshl_b32 s31, s21, 2
	s_and_b64 s[46:47], vcc, s[18:19]
	v_cmp_gt_u32_e64 s[18:19], s21, v18
	v_or_b32_e32 v20, 32, v43
	v_cvt_f32_u32_e32 v34, s97
	v_add_u32_e32 v0, s31, v2
	s_and_b64 s[48:49], vcc, s[18:19]
	v_cmp_gt_u32_e64 s[18:19], s21, v20
	v_or_b32_e32 v22, 36, v43
	v_add_u32_e32 v8, s31, v0
	s_and_b64 s[50:51], vcc, s[18:19]
	v_cmp_gt_u32_e64 s[18:19], s21, v22
	v_or_b32_e32 v24, 40, v43
	;; [unrolled: 4-line block ×4, first 2 shown]
	v_rcp_iflag_f32_e32 v36, v34
	v_add_u32_e32 v14, s31, v12
	s_and_b64 s[56:57], vcc, s[18:19]
	v_cmp_gt_u32_e64 s[18:19], s21, v28
	v_or_b32_e32 v30, 52, v43
	v_add_u32_e32 v16, s31, v14
	s_and_b64 s[58:59], vcc, s[18:19]
	v_cmp_gt_u32_e64 s[18:19], s21, v30
	v_or_b32_e32 v32, 56, v43
	;; [unrolled: 4-line block ×3, first 2 shown]
	v_add_u32_e32 v20, s31, v18
	s_and_b64 s[62:63], vcc, s[18:19]
	v_cmp_gt_u32_e64 s[18:19], s21, v35
	v_mul_f32_e32 v35, 0x4f7ffffe, v36
	v_add_u32_e32 v22, s31, v20
	v_cvt_u32_f32_e32 v36, v35
	v_add_u32_e32 v24, s31, v22
	v_add_u32_e32 v26, s31, v24
	;; [unrolled: 1-line block ×3, first 2 shown]
	s_and_b64 s[64:65], vcc, s[18:19]
	s_sub_i32 s18, 0, s97
	s_mov_b32 s66, 0
	v_add_u32_e32 v30, s31, v28
	v_mul_lo_u32 v37, s18, v36
	v_add_u32_e32 v32, s31, v30
	v_mul_hi_u32 v37, v36, v37
	s_mov_b32 s67, s66
	v_mov_b32_e32 v45, 0
	s_mul_hi_u32 s33, s21, s21
	s_mul_i32 s96, s21, s21
	v_mov_b32_e32 v1, v3
	v_mov_b32_e32 v9, v3
	;; [unrolled: 1-line block ×14, first 2 shown]
	v_add_u32_e32 v34, s31, v32
	v_mov_b32_e32 v35, v3
	s_ashr_i32 s98, s21, 31
	v_add_u32_e32 v50, v36, v37
	v_mov_b64_e32 v[36:37], s[66:67]
	s_mov_b64 s[70:71], 0xa0
	s_mov_b64 s[72:73], 0xc0
	;; [unrolled: 1-line block ×11, first 2 shown]
	v_mov_b32_e32 v51, 1
	v_mov_b32_e32 v40, 0
	s_branch .LBB79_7
.LBB79_6:                               ;   in Loop: Header=BB79_7 Depth=1
	s_or_b64 exec, exec, s[18:19]
	s_waitcnt lgkmcnt(0)
	s_barrier
	ds_read_b32 v40, v3
	s_add_i32 s30, s31, s30
	s_waitcnt lgkmcnt(0)
	s_barrier
	v_cmp_gt_i32_e32 vcc, s20, v40
	s_cbranch_vccz .LBB79_65
.LBB79_7:                               ; =>This Loop Header: Depth=1
                                        ;     Child Loop BB79_10 Depth 2
	v_add_u32_e32 v38, v49, v43
	v_cmp_lt_i32_e32 vcc, v38, v42
	v_mov_b32_e32 v52, s20
	v_mov_b32_e32 v49, v42
	ds_write_b8 v3, v45 offset:32768
	ds_write2_b64 v48, v[36:37], v[36:37] offset1:4
	ds_write2_b64 v48, v[36:37], v[36:37] offset0:8 offset1:12
	ds_write2_b64 v48, v[36:37], v[36:37] offset0:16 offset1:20
	;; [unrolled: 1-line block ×7, first 2 shown]
	s_waitcnt lgkmcnt(0)
	s_barrier
	s_and_saveexec_b64 s[92:93], vcc
	s_cbranch_execz .LBB79_15
; %bb.8:                                ;   in Loop: Header=BB79_7 Depth=1
	v_mul_lo_u32 v41, v40, s21
	s_mov_b64 s[94:95], 0
	v_mov_b32_e32 v52, s20
	v_mov_b32_e32 v49, v42
	s_branch .LBB79_10
.LBB79_9:                               ;   in Loop: Header=BB79_10 Depth=2
	s_or_b64 exec, exec, s[18:19]
	v_add_u32_e32 v38, 4, v38
	v_cmp_ge_i32_e64 s[18:19], v38, v42
	s_xor_b64 s[66:67], vcc, -1
	s_or_b64 s[18:19], s[66:67], s[18:19]
	s_and_b64 s[18:19], exec, s[18:19]
	s_or_b64 s[94:95], s[18:19], s[94:95]
	s_andn2_b64 exec, exec, s[94:95]
	s_cbranch_execz .LBB79_14
.LBB79_10:                              ;   Parent Loop BB79_7 Depth=1
                                        ; =>  This Inner Loop Header: Depth=2
	v_ashrrev_i32_e32 v39, 31, v38
	v_lshl_add_u64 v[54:55], v[38:39], 2, s[28:29]
	global_load_dword v53, v[54:55], off
	s_waitcnt vmcnt(0)
	v_subrev_u32_e32 v53, s22, v53
	v_sub_u32_e32 v55, 0, v53
	v_max_i32_e32 v55, v53, v55
	v_mul_hi_u32 v56, v55, v50
	v_mul_lo_u32 v57, v56, s97
	v_sub_u32_e32 v55, v55, v57
	v_add_u32_e32 v58, 1, v56
	v_cmp_le_u32_e32 vcc, s97, v55
	v_subrev_u32_e32 v57, s97, v55
	v_ashrrev_i32_e32 v54, 31, v53
	v_cndmask_b32_e32 v56, v56, v58, vcc
	v_cndmask_b32_e32 v55, v55, v57, vcc
	v_add_u32_e32 v57, 1, v56
	v_cmp_le_u32_e32 vcc, s97, v55
	v_xor_b32_e32 v54, s98, v54
	s_nop 0
	v_cndmask_b32_e32 v55, v56, v57, vcc
	v_xor_b32_e32 v55, v55, v54
	v_sub_u32_e32 v55, v55, v54
	v_cmp_eq_u32_e32 vcc, v55, v40
	v_cmp_ne_u32_e64 s[18:19], v55, v40
	v_mov_b32_e32 v54, v49
	s_and_saveexec_b64 s[66:67], s[18:19]
	s_xor_b64 s[18:19], exec, s[66:67]
; %bb.11:                               ;   in Loop: Header=BB79_10 Depth=2
	v_min_i32_e32 v52, v55, v52
                                        ; implicit-def: $vgpr53
                                        ; implicit-def: $vgpr54
; %bb.12:                               ;   in Loop: Header=BB79_10 Depth=2
	s_or_saveexec_b64 s[18:19], s[18:19]
	v_mov_b32_e32 v49, v38
	s_xor_b64 exec, exec, s[18:19]
	s_cbranch_execz .LBB79_9
; %bb.13:                               ;   in Loop: Header=BB79_10 Depth=2
	v_lshl_add_u64 v[56:57], v[38:39], 3, s[26:27]
	global_load_dwordx2 v[56:57], v[56:57], off
	v_sub_u32_e32 v39, v53, v41
	v_add_lshl_u32 v39, v39, v44, 3
	v_mov_b32_e32 v49, v54
	ds_write_b8 v3, v51 offset:32768
	s_waitcnt vmcnt(0)
	ds_write_b64 v39, v[56:57]
	s_branch .LBB79_9
.LBB79_14:                              ;   in Loop: Header=BB79_7 Depth=1
	s_or_b64 exec, exec, s[94:95]
.LBB79_15:                              ;   in Loop: Header=BB79_7 Depth=1
	s_or_b64 exec, exec, s[92:93]
	v_mov_b32_dpp v38, v49 row_shr:1 row_mask:0xf bank_mask:0xf
	v_min_i32_e32 v38, v38, v49
	s_waitcnt lgkmcnt(0)
	s_barrier
	ds_read_u8 v39, v3 offset:32768
	v_mov_b32_dpp v41, v38 row_shr:2 row_mask:0xf bank_mask:0xf
	v_min_i32_e32 v38, v41, v38
	ds_bpermute_b32 v49, v46, v38
	s_mov_b32 s31, 0
	s_waitcnt lgkmcnt(1)
	v_cmp_eq_u32_e32 vcc, 0, v39
	s_cbranch_vccnz .LBB79_34
; %bb.16:                               ;   in Loop: Header=BB79_7 Depth=1
	s_ashr_i32 s31, s30, 31
	s_lshl_b64 s[18:19], s[30:31], 2
	s_add_u32 s18, s24, s18
	v_add_u32_e32 v38, s23, v40
	s_addc_u32 s19, s25, s19
	global_store_dword v3, v38, s[18:19]
	s_mul_hi_u32 s18, s96, s30
	s_mul_i32 s19, s96, s31
	s_add_i32 s18, s18, s19
	s_mul_i32 s19, s33, s30
	s_add_i32 s19, s18, s19
	s_mul_i32 s18, s96, s30
	s_lshl_b64 s[18:19], s[18:19], 3
	v_lshl_add_u64 v[38:39], v[4:5], 0, s[18:19]
	v_lshl_add_u64 v[40:41], v[6:7], 0, s[18:19]
	s_and_saveexec_b64 s[18:19], s[34:35]
	s_cbranch_execnz .LBB79_50
; %bb.17:                               ;   in Loop: Header=BB79_7 Depth=1
	s_or_b64 exec, exec, s[18:19]
	s_and_saveexec_b64 s[18:19], s[36:37]
	s_cbranch_execnz .LBB79_51
.LBB79_18:                              ;   in Loop: Header=BB79_7 Depth=1
	s_or_b64 exec, exec, s[18:19]
	s_and_saveexec_b64 s[18:19], s[38:39]
	s_cbranch_execnz .LBB79_52
.LBB79_19:                              ;   in Loop: Header=BB79_7 Depth=1
	s_or_b64 exec, exec, s[18:19]
	s_and_saveexec_b64 s[18:19], s[40:41]
	s_cbranch_execnz .LBB79_53
.LBB79_20:                              ;   in Loop: Header=BB79_7 Depth=1
	s_or_b64 exec, exec, s[18:19]
	s_and_saveexec_b64 s[18:19], s[42:43]
	s_cbranch_execnz .LBB79_54
.LBB79_21:                              ;   in Loop: Header=BB79_7 Depth=1
	s_or_b64 exec, exec, s[18:19]
	s_and_saveexec_b64 s[18:19], s[44:45]
	s_cbranch_execnz .LBB79_55
.LBB79_22:                              ;   in Loop: Header=BB79_7 Depth=1
	s_or_b64 exec, exec, s[18:19]
	s_and_saveexec_b64 s[18:19], s[46:47]
	s_cbranch_execnz .LBB79_56
.LBB79_23:                              ;   in Loop: Header=BB79_7 Depth=1
	s_or_b64 exec, exec, s[18:19]
	s_and_saveexec_b64 s[18:19], s[48:49]
	s_cbranch_execnz .LBB79_57
.LBB79_24:                              ;   in Loop: Header=BB79_7 Depth=1
	s_or_b64 exec, exec, s[18:19]
	s_and_saveexec_b64 s[18:19], s[50:51]
	s_cbranch_execnz .LBB79_58
.LBB79_25:                              ;   in Loop: Header=BB79_7 Depth=1
	s_or_b64 exec, exec, s[18:19]
	s_and_saveexec_b64 s[18:19], s[52:53]
	s_cbranch_execnz .LBB79_59
.LBB79_26:                              ;   in Loop: Header=BB79_7 Depth=1
	s_or_b64 exec, exec, s[18:19]
	s_and_saveexec_b64 s[18:19], s[54:55]
	s_cbranch_execnz .LBB79_60
.LBB79_27:                              ;   in Loop: Header=BB79_7 Depth=1
	s_or_b64 exec, exec, s[18:19]
	s_and_saveexec_b64 s[18:19], s[56:57]
	s_cbranch_execnz .LBB79_61
.LBB79_28:                              ;   in Loop: Header=BB79_7 Depth=1
	s_or_b64 exec, exec, s[18:19]
	s_and_saveexec_b64 s[18:19], s[58:59]
	s_cbranch_execnz .LBB79_62
.LBB79_29:                              ;   in Loop: Header=BB79_7 Depth=1
	s_or_b64 exec, exec, s[18:19]
	s_and_saveexec_b64 s[18:19], s[60:61]
	s_cbranch_execnz .LBB79_63
.LBB79_30:                              ;   in Loop: Header=BB79_7 Depth=1
	s_or_b64 exec, exec, s[18:19]
	s_and_saveexec_b64 s[18:19], s[62:63]
	s_cbranch_execnz .LBB79_64
.LBB79_31:                              ;   in Loop: Header=BB79_7 Depth=1
	s_or_b64 exec, exec, s[18:19]
	s_and_saveexec_b64 s[18:19], s[64:65]
	s_cbranch_execz .LBB79_33
.LBB79_32:                              ;   in Loop: Header=BB79_7 Depth=1
	ds_read_b64 v[54:55], v48 offset:480
	v_lshl_add_u64 v[40:41], v[40:41], 0, s[90:91]
	v_lshl_add_u64 v[38:39], v[34:35], 3, v[38:39]
	v_cndmask_b32_e64 v39, v39, v41, s[0:1]
	v_cndmask_b32_e64 v38, v38, v40, s[0:1]
	s_waitcnt lgkmcnt(0)
	global_store_dwordx2 v[38:39], v[54:55], off
.LBB79_33:                              ;   in Loop: Header=BB79_7 Depth=1
	s_or_b64 exec, exec, s[18:19]
	s_mov_b32 s31, 1
.LBB79_34:                              ;   in Loop: Header=BB79_7 Depth=1
	s_waitcnt lgkmcnt(0)
	s_barrier
	ds_write_b32 v47, v52
	s_waitcnt lgkmcnt(0)
	s_barrier
	s_and_saveexec_b64 s[18:19], s[2:3]
	s_cbranch_execz .LBB79_36
; %bb.35:                               ;   in Loop: Header=BB79_7 Depth=1
	ds_read2st64_b32 v[38:39], v47 offset1:2
	s_waitcnt lgkmcnt(0)
	v_min_i32_e32 v38, v39, v38
	ds_write_b32 v47, v38
.LBB79_36:                              ;   in Loop: Header=BB79_7 Depth=1
	s_or_b64 exec, exec, s[18:19]
	s_waitcnt lgkmcnt(0)
	s_barrier
	s_and_saveexec_b64 s[18:19], s[4:5]
	s_cbranch_execz .LBB79_38
; %bb.37:                               ;   in Loop: Header=BB79_7 Depth=1
	ds_read2st64_b32 v[38:39], v47 offset1:1
	s_waitcnt lgkmcnt(0)
	v_min_i32_e32 v38, v39, v38
	ds_write_b32 v47, v38
.LBB79_38:                              ;   in Loop: Header=BB79_7 Depth=1
	s_or_b64 exec, exec, s[18:19]
	s_waitcnt lgkmcnt(0)
	s_barrier
	s_and_saveexec_b64 s[18:19], s[6:7]
	s_cbranch_execz .LBB79_40
; %bb.39:                               ;   in Loop: Header=BB79_7 Depth=1
	ds_read2_b32 v[38:39], v47 offset1:32
	s_waitcnt lgkmcnt(0)
	v_min_i32_e32 v38, v39, v38
	ds_write_b32 v47, v38
.LBB79_40:                              ;   in Loop: Header=BB79_7 Depth=1
	s_or_b64 exec, exec, s[18:19]
	s_waitcnt lgkmcnt(0)
	s_barrier
	s_and_saveexec_b64 s[18:19], s[8:9]
	s_cbranch_execz .LBB79_42
; %bb.41:                               ;   in Loop: Header=BB79_7 Depth=1
	ds_read2_b32 v[38:39], v47 offset1:16
	s_waitcnt lgkmcnt(0)
	v_min_i32_e32 v38, v39, v38
	ds_write_b32 v47, v38
.LBB79_42:                              ;   in Loop: Header=BB79_7 Depth=1
	;; [unrolled: 11-line block ×5, first 2 shown]
	s_or_b64 exec, exec, s[18:19]
	s_waitcnt lgkmcnt(0)
	s_barrier
	s_and_saveexec_b64 s[18:19], s[16:17]
	s_cbranch_execz .LBB79_6
; %bb.49:                               ;   in Loop: Header=BB79_7 Depth=1
	ds_read_b64 v[38:39], v3
	s_waitcnt lgkmcnt(0)
	v_min_i32_e32 v38, v39, v38
	ds_write_b32 v3, v38
	s_branch .LBB79_6
.LBB79_50:                              ;   in Loop: Header=BB79_7 Depth=1
	ds_read_b64 v[54:55], v48
	v_lshl_add_u64 v[56:57], v[2:3], 3, v[38:39]
	v_cndmask_b32_e64 v57, v57, v41, s[0:1]
	v_cndmask_b32_e64 v56, v56, v40, s[0:1]
	s_waitcnt lgkmcnt(0)
	global_store_dwordx2 v[56:57], v[54:55], off
	s_or_b64 exec, exec, s[18:19]
	s_and_saveexec_b64 s[18:19], s[36:37]
	s_cbranch_execz .LBB79_18
.LBB79_51:                              ;   in Loop: Header=BB79_7 Depth=1
	ds_read_b64 v[54:55], v48 offset:32
	v_lshl_add_u64 v[56:57], v[40:41], 0, 32
	v_lshl_add_u64 v[58:59], v[0:1], 3, v[38:39]
	v_cndmask_b32_e64 v57, v59, v57, s[0:1]
	v_cndmask_b32_e64 v56, v58, v56, s[0:1]
	s_waitcnt lgkmcnt(0)
	global_store_dwordx2 v[56:57], v[54:55], off
	s_or_b64 exec, exec, s[18:19]
	s_and_saveexec_b64 s[18:19], s[38:39]
	s_cbranch_execz .LBB79_19
.LBB79_52:                              ;   in Loop: Header=BB79_7 Depth=1
	ds_read_b64 v[54:55], v48 offset:64
	v_lshl_add_u64 v[56:57], v[40:41], 0, 64
	v_lshl_add_u64 v[58:59], v[8:9], 3, v[38:39]
	v_cndmask_b32_e64 v57, v59, v57, s[0:1]
	v_cndmask_b32_e64 v56, v58, v56, s[0:1]
	s_waitcnt lgkmcnt(0)
	global_store_dwordx2 v[56:57], v[54:55], off
	s_or_b64 exec, exec, s[18:19]
	s_and_saveexec_b64 s[18:19], s[40:41]
	s_cbranch_execz .LBB79_20
.LBB79_53:                              ;   in Loop: Header=BB79_7 Depth=1
	ds_read_b64 v[54:55], v48 offset:96
	s_mov_b64 s[66:67], 0x60
	v_lshl_add_u64 v[56:57], v[40:41], 0, s[66:67]
	v_lshl_add_u64 v[58:59], v[10:11], 3, v[38:39]
	v_cndmask_b32_e64 v57, v59, v57, s[0:1]
	v_cndmask_b32_e64 v56, v58, v56, s[0:1]
	s_waitcnt lgkmcnt(0)
	global_store_dwordx2 v[56:57], v[54:55], off
	s_or_b64 exec, exec, s[18:19]
	s_and_saveexec_b64 s[18:19], s[42:43]
	s_cbranch_execz .LBB79_21
.LBB79_54:                              ;   in Loop: Header=BB79_7 Depth=1
	ds_read_b64 v[54:55], v48 offset:128
	s_mov_b64 s[66:67], 0x80
	v_lshl_add_u64 v[56:57], v[40:41], 0, s[66:67]
	v_lshl_add_u64 v[58:59], v[12:13], 3, v[38:39]
	v_cndmask_b32_e64 v57, v59, v57, s[0:1]
	v_cndmask_b32_e64 v56, v58, v56, s[0:1]
	s_waitcnt lgkmcnt(0)
	global_store_dwordx2 v[56:57], v[54:55], off
	s_or_b64 exec, exec, s[18:19]
	s_and_saveexec_b64 s[18:19], s[44:45]
	s_cbranch_execz .LBB79_22
.LBB79_55:                              ;   in Loop: Header=BB79_7 Depth=1
	ds_read_b64 v[54:55], v48 offset:160
	v_lshl_add_u64 v[56:57], v[40:41], 0, s[70:71]
	v_lshl_add_u64 v[58:59], v[14:15], 3, v[38:39]
	v_cndmask_b32_e64 v57, v59, v57, s[0:1]
	v_cndmask_b32_e64 v56, v58, v56, s[0:1]
	s_waitcnt lgkmcnt(0)
	global_store_dwordx2 v[56:57], v[54:55], off
	s_or_b64 exec, exec, s[18:19]
	s_and_saveexec_b64 s[18:19], s[46:47]
	s_cbranch_execz .LBB79_23
.LBB79_56:                              ;   in Loop: Header=BB79_7 Depth=1
	ds_read_b64 v[54:55], v48 offset:192
	v_lshl_add_u64 v[56:57], v[40:41], 0, s[72:73]
	v_lshl_add_u64 v[58:59], v[16:17], 3, v[38:39]
	v_cndmask_b32_e64 v57, v59, v57, s[0:1]
	v_cndmask_b32_e64 v56, v58, v56, s[0:1]
	s_waitcnt lgkmcnt(0)
	global_store_dwordx2 v[56:57], v[54:55], off
	s_or_b64 exec, exec, s[18:19]
	s_and_saveexec_b64 s[18:19], s[48:49]
	s_cbranch_execz .LBB79_24
.LBB79_57:                              ;   in Loop: Header=BB79_7 Depth=1
	ds_read_b64 v[54:55], v48 offset:224
	v_lshl_add_u64 v[56:57], v[40:41], 0, s[74:75]
	v_lshl_add_u64 v[58:59], v[18:19], 3, v[38:39]
	v_cndmask_b32_e64 v57, v59, v57, s[0:1]
	v_cndmask_b32_e64 v56, v58, v56, s[0:1]
	s_waitcnt lgkmcnt(0)
	global_store_dwordx2 v[56:57], v[54:55], off
	s_or_b64 exec, exec, s[18:19]
	s_and_saveexec_b64 s[18:19], s[50:51]
	s_cbranch_execz .LBB79_25
.LBB79_58:                              ;   in Loop: Header=BB79_7 Depth=1
	ds_read_b64 v[54:55], v48 offset:256
	v_lshl_add_u64 v[56:57], v[40:41], 0, s[76:77]
	v_lshl_add_u64 v[58:59], v[20:21], 3, v[38:39]
	v_cndmask_b32_e64 v57, v59, v57, s[0:1]
	v_cndmask_b32_e64 v56, v58, v56, s[0:1]
	s_waitcnt lgkmcnt(0)
	global_store_dwordx2 v[56:57], v[54:55], off
	s_or_b64 exec, exec, s[18:19]
	s_and_saveexec_b64 s[18:19], s[52:53]
	s_cbranch_execz .LBB79_26
.LBB79_59:                              ;   in Loop: Header=BB79_7 Depth=1
	ds_read_b64 v[54:55], v48 offset:288
	v_lshl_add_u64 v[56:57], v[40:41], 0, s[78:79]
	v_lshl_add_u64 v[58:59], v[22:23], 3, v[38:39]
	v_cndmask_b32_e64 v57, v59, v57, s[0:1]
	v_cndmask_b32_e64 v56, v58, v56, s[0:1]
	s_waitcnt lgkmcnt(0)
	global_store_dwordx2 v[56:57], v[54:55], off
	s_or_b64 exec, exec, s[18:19]
	s_and_saveexec_b64 s[18:19], s[54:55]
	s_cbranch_execz .LBB79_27
.LBB79_60:                              ;   in Loop: Header=BB79_7 Depth=1
	ds_read_b64 v[54:55], v48 offset:320
	v_lshl_add_u64 v[56:57], v[40:41], 0, s[80:81]
	v_lshl_add_u64 v[58:59], v[24:25], 3, v[38:39]
	v_cndmask_b32_e64 v57, v59, v57, s[0:1]
	v_cndmask_b32_e64 v56, v58, v56, s[0:1]
	s_waitcnt lgkmcnt(0)
	global_store_dwordx2 v[56:57], v[54:55], off
	s_or_b64 exec, exec, s[18:19]
	s_and_saveexec_b64 s[18:19], s[56:57]
	s_cbranch_execz .LBB79_28
.LBB79_61:                              ;   in Loop: Header=BB79_7 Depth=1
	ds_read_b64 v[54:55], v48 offset:352
	v_lshl_add_u64 v[56:57], v[40:41], 0, s[82:83]
	v_lshl_add_u64 v[58:59], v[26:27], 3, v[38:39]
	v_cndmask_b32_e64 v57, v59, v57, s[0:1]
	v_cndmask_b32_e64 v56, v58, v56, s[0:1]
	s_waitcnt lgkmcnt(0)
	global_store_dwordx2 v[56:57], v[54:55], off
	s_or_b64 exec, exec, s[18:19]
	s_and_saveexec_b64 s[18:19], s[58:59]
	s_cbranch_execz .LBB79_29
.LBB79_62:                              ;   in Loop: Header=BB79_7 Depth=1
	ds_read_b64 v[54:55], v48 offset:384
	v_lshl_add_u64 v[56:57], v[40:41], 0, s[84:85]
	v_lshl_add_u64 v[58:59], v[28:29], 3, v[38:39]
	v_cndmask_b32_e64 v57, v59, v57, s[0:1]
	v_cndmask_b32_e64 v56, v58, v56, s[0:1]
	s_waitcnt lgkmcnt(0)
	global_store_dwordx2 v[56:57], v[54:55], off
	s_or_b64 exec, exec, s[18:19]
	s_and_saveexec_b64 s[18:19], s[60:61]
	s_cbranch_execz .LBB79_30
.LBB79_63:                              ;   in Loop: Header=BB79_7 Depth=1
	ds_read_b64 v[54:55], v48 offset:416
	v_lshl_add_u64 v[56:57], v[40:41], 0, s[86:87]
	v_lshl_add_u64 v[58:59], v[30:31], 3, v[38:39]
	v_cndmask_b32_e64 v57, v59, v57, s[0:1]
	v_cndmask_b32_e64 v56, v58, v56, s[0:1]
	s_waitcnt lgkmcnt(0)
	global_store_dwordx2 v[56:57], v[54:55], off
	s_or_b64 exec, exec, s[18:19]
	s_and_saveexec_b64 s[18:19], s[62:63]
	s_cbranch_execz .LBB79_31
.LBB79_64:                              ;   in Loop: Header=BB79_7 Depth=1
	ds_read_b64 v[54:55], v48 offset:448
	v_lshl_add_u64 v[56:57], v[40:41], 0, s[88:89]
	v_lshl_add_u64 v[58:59], v[32:33], 3, v[38:39]
	v_cndmask_b32_e64 v57, v59, v57, s[0:1]
	v_cndmask_b32_e64 v56, v58, v56, s[0:1]
	s_waitcnt lgkmcnt(0)
	global_store_dwordx2 v[56:57], v[54:55], off
	s_or_b64 exec, exec, s[18:19]
	s_and_saveexec_b64 s[18:19], s[64:65]
	s_cbranch_execnz .LBB79_32
	s_branch .LBB79_33
.LBB79_65:
	s_endpgm
	.section	.rodata,"a",@progbits
	.p2align	6, 0x0
	.amdhsa_kernel _ZN9rocsparseL38csr2bsr_block_per_row_multipass_kernelILj256ELj64E21rocsparse_complex_numIfEiiEEv20rocsparse_direction_T3_S4_S4_S4_S4_21rocsparse_index_base_PKT1_PKT2_PKS4_S5_PS6_PS9_PS4_
		.amdhsa_group_segment_fixed_size 32772
		.amdhsa_private_segment_fixed_size 0
		.amdhsa_kernarg_size 88
		.amdhsa_user_sgpr_count 2
		.amdhsa_user_sgpr_dispatch_ptr 0
		.amdhsa_user_sgpr_queue_ptr 0
		.amdhsa_user_sgpr_kernarg_segment_ptr 1
		.amdhsa_user_sgpr_dispatch_id 0
		.amdhsa_user_sgpr_kernarg_preload_length 0
		.amdhsa_user_sgpr_kernarg_preload_offset 0
		.amdhsa_user_sgpr_private_segment_size 0
		.amdhsa_uses_dynamic_stack 0
		.amdhsa_enable_private_segment 0
		.amdhsa_system_sgpr_workgroup_id_x 1
		.amdhsa_system_sgpr_workgroup_id_y 0
		.amdhsa_system_sgpr_workgroup_id_z 0
		.amdhsa_system_sgpr_workgroup_info 0
		.amdhsa_system_vgpr_workitem_id 0
		.amdhsa_next_free_vgpr 60
		.amdhsa_next_free_sgpr 99
		.amdhsa_accum_offset 60
		.amdhsa_reserve_vcc 1
		.amdhsa_float_round_mode_32 0
		.amdhsa_float_round_mode_16_64 0
		.amdhsa_float_denorm_mode_32 3
		.amdhsa_float_denorm_mode_16_64 3
		.amdhsa_dx10_clamp 1
		.amdhsa_ieee_mode 1
		.amdhsa_fp16_overflow 0
		.amdhsa_tg_split 0
		.amdhsa_exception_fp_ieee_invalid_op 0
		.amdhsa_exception_fp_denorm_src 0
		.amdhsa_exception_fp_ieee_div_zero 0
		.amdhsa_exception_fp_ieee_overflow 0
		.amdhsa_exception_fp_ieee_underflow 0
		.amdhsa_exception_fp_ieee_inexact 0
		.amdhsa_exception_int_div_zero 0
	.end_amdhsa_kernel
	.section	.text._ZN9rocsparseL38csr2bsr_block_per_row_multipass_kernelILj256ELj64E21rocsparse_complex_numIfEiiEEv20rocsparse_direction_T3_S4_S4_S4_S4_21rocsparse_index_base_PKT1_PKT2_PKS4_S5_PS6_PS9_PS4_,"axG",@progbits,_ZN9rocsparseL38csr2bsr_block_per_row_multipass_kernelILj256ELj64E21rocsparse_complex_numIfEiiEEv20rocsparse_direction_T3_S4_S4_S4_S4_21rocsparse_index_base_PKT1_PKT2_PKS4_S5_PS6_PS9_PS4_,comdat
.Lfunc_end79:
	.size	_ZN9rocsparseL38csr2bsr_block_per_row_multipass_kernelILj256ELj64E21rocsparse_complex_numIfEiiEEv20rocsparse_direction_T3_S4_S4_S4_S4_21rocsparse_index_base_PKT1_PKT2_PKS4_S5_PS6_PS9_PS4_, .Lfunc_end79-_ZN9rocsparseL38csr2bsr_block_per_row_multipass_kernelILj256ELj64E21rocsparse_complex_numIfEiiEEv20rocsparse_direction_T3_S4_S4_S4_S4_21rocsparse_index_base_PKT1_PKT2_PKS4_S5_PS6_PS9_PS4_
                                        ; -- End function
	.section	.AMDGPU.csdata,"",@progbits
; Kernel info:
; codeLenInByte = 3132
; NumSgprs: 105
; NumVgprs: 60
; NumAgprs: 0
; TotalNumVgprs: 60
; ScratchSize: 0
; MemoryBound: 0
; FloatMode: 240
; IeeeMode: 1
; LDSByteSize: 32772 bytes/workgroup (compile time only)
; SGPRBlocks: 13
; VGPRBlocks: 7
; NumSGPRsForWavesPerEU: 105
; NumVGPRsForWavesPerEU: 60
; AccumOffset: 60
; Occupancy: 1
; WaveLimiterHint : 0
; COMPUTE_PGM_RSRC2:SCRATCH_EN: 0
; COMPUTE_PGM_RSRC2:USER_SGPR: 2
; COMPUTE_PGM_RSRC2:TRAP_HANDLER: 0
; COMPUTE_PGM_RSRC2:TGID_X_EN: 1
; COMPUTE_PGM_RSRC2:TGID_Y_EN: 0
; COMPUTE_PGM_RSRC2:TGID_Z_EN: 0
; COMPUTE_PGM_RSRC2:TIDIG_COMP_CNT: 0
; COMPUTE_PGM_RSRC3_GFX90A:ACCUM_OFFSET: 14
; COMPUTE_PGM_RSRC3_GFX90A:TG_SPLIT: 0
	.section	.text._ZN9rocsparseL21csr2bsr_65_inf_kernelILj32E21rocsparse_complex_numIfEiiEEv20rocsparse_direction_T2_S4_S4_S4_S4_S4_21rocsparse_index_base_PKT0_PKT1_PKS4_S5_PS6_PS9_PS4_SF_SG_SE_,"axG",@progbits,_ZN9rocsparseL21csr2bsr_65_inf_kernelILj32E21rocsparse_complex_numIfEiiEEv20rocsparse_direction_T2_S4_S4_S4_S4_S4_21rocsparse_index_base_PKT0_PKT1_PKS4_S5_PS6_PS9_PS4_SF_SG_SE_,comdat
	.globl	_ZN9rocsparseL21csr2bsr_65_inf_kernelILj32E21rocsparse_complex_numIfEiiEEv20rocsparse_direction_T2_S4_S4_S4_S4_S4_21rocsparse_index_base_PKT0_PKT1_PKS4_S5_PS6_PS9_PS4_SF_SG_SE_ ; -- Begin function _ZN9rocsparseL21csr2bsr_65_inf_kernelILj32E21rocsparse_complex_numIfEiiEEv20rocsparse_direction_T2_S4_S4_S4_S4_S4_21rocsparse_index_base_PKT0_PKT1_PKS4_S5_PS6_PS9_PS4_SF_SG_SE_
	.p2align	8
	.type	_ZN9rocsparseL21csr2bsr_65_inf_kernelILj32E21rocsparse_complex_numIfEiiEEv20rocsparse_direction_T2_S4_S4_S4_S4_S4_21rocsparse_index_base_PKT0_PKT1_PKS4_S5_PS6_PS9_PS4_SF_SG_SE_,@function
_ZN9rocsparseL21csr2bsr_65_inf_kernelILj32E21rocsparse_complex_numIfEiiEEv20rocsparse_direction_T2_S4_S4_S4_S4_S4_21rocsparse_index_base_PKT0_PKT1_PKS4_S5_PS6_PS9_PS4_SF_SG_SE_: ; @_ZN9rocsparseL21csr2bsr_65_inf_kernelILj32E21rocsparse_complex_numIfEiiEEv20rocsparse_direction_T2_S4_S4_S4_S4_S4_21rocsparse_index_base_PKT0_PKT1_PKS4_S5_PS6_PS9_PS4_SF_SG_SE_
; %bb.0:
	s_load_dwordx4 s[8:11], s[0:1], 0x0
	s_load_dwordx2 s[4:5], s[0:1], 0x58
	s_load_dword s33, s[0:1], 0x38
	s_mov_b32 s21, 0
	s_waitcnt lgkmcnt(0)
	s_cmp_ge_i32 s2, s11
	s_mov_b32 s11, 0
	s_cbranch_scc1 .LBB80_2
; %bb.1:
	s_load_dwordx2 s[6:7], s[0:1], 0x48
	s_ashr_i32 s3, s2, 31
	s_lshl_b64 s[12:13], s[2:3], 2
	s_waitcnt lgkmcnt(0)
	s_add_u32 s6, s6, s12
	s_addc_u32 s7, s7, s13
	s_load_dword s3, s[6:7], 0x0
	s_waitcnt lgkmcnt(0)
	s_sub_i32 s11, s3, s33
.LBB80_2:
	s_load_dwordx4 s[12:15], s[0:1], 0x14
	s_waitcnt lgkmcnt(0)
	s_mul_i32 s3, s2, s13
	s_lshl_b32 s20, s3, 6
	s_lshl_b64 s[6:7], s[20:21], 2
	s_add_u32 s22, s4, s6
	v_mul_lo_u32 v8, v0, s13
	s_addc_u32 s23, s5, s7
	s_lshl_b32 s20, s13, 5
	v_ashrrev_i32_e32 v9, 31, v8
	s_cmp_gt_i32 s13, 0
	s_cselect_b64 s[24:25], -1, 0
	s_cmp_lt_i32 s13, 1
	v_lshl_add_u64 v[2:3], v[8:9], 2, s[22:23]
	s_cbranch_scc1 .LBB80_7
; %bb.3:
	s_load_dwordx2 s[6:7], s[0:1], 0x28
	s_mul_i32 s3, s2, s12
	s_lshl_b64 s[16:17], s[20:21], 2
	v_mov_b32_e32 v1, 0
	v_mov_b32_e32 v12, v0
	v_mov_b64_e32 v[4:5], v[2:3]
	s_mov_b32 s15, s13
	s_branch .LBB80_5
.LBB80_4:                               ;   in Loop: Header=BB80_5 Depth=1
	s_or_b64 exec, exec, s[4:5]
	s_add_i32 s15, s15, -1
	v_lshl_add_u64 v[4:5], v[4:5], 0, 4
	s_cmp_eq_u32 s15, 0
	v_add_u32_e32 v12, 32, v12
	s_cbranch_scc1 .LBB80_7
.LBB80_5:                               ; =>This Inner Loop Header: Depth=1
	v_add_u32_e32 v10, s3, v12
	v_cmp_gt_i32_e32 vcc, s9, v10
	v_cmp_gt_u32_e64 s[4:5], s12, v12
	v_lshl_add_u64 v[6:7], v[4:5], 0, s[16:17]
	s_and_b64 s[18:19], s[4:5], vcc
	global_store_dword v[4:5], v1, off
	global_store_dword v[6:7], v1, off
	s_and_saveexec_b64 s[4:5], s[18:19]
	s_cbranch_execz .LBB80_4
; %bb.6:                                ;   in Loop: Header=BB80_5 Depth=1
	v_ashrrev_i32_e32 v11, 31, v10
	s_waitcnt lgkmcnt(0)
	v_lshl_add_u64 v[10:11], v[10:11], 2, s[6:7]
	global_load_dwordx2 v[10:11], v[10:11], off
	s_waitcnt vmcnt(0)
	v_subrev_u32_e32 v10, s14, v10
	v_subrev_u32_e32 v11, s14, v11
	global_store_dword v[4:5], v10, off
	global_store_dword v[6:7], v11, off
	s_branch .LBB80_4
.LBB80_7:
	s_cmp_lt_i32 s10, 1
	s_cbranch_scc1 .LBB80_37
; %bb.8:
	s_load_dwordx4 s[28:31], s[0:1], 0x60
	s_load_dwordx2 s[4:5], s[0:1], 0x20
	s_waitcnt lgkmcnt(0)
	s_load_dwordx2 s[6:7], s[0:1], 0x50
	s_load_dwordx2 s[16:17], s[0:1], 0x40
	;; [unrolled: 1-line block ×3, first 2 shown]
	s_lshl_b64 s[0:1], s[20:21], 2
	s_add_u32 s0, s22, s0
	s_addc_u32 s1, s23, s1
	v_lshlrev_b64 v[6:7], 2, v[8:9]
	s_mul_i32 s20, s20, s2
	s_mov_b32 s21, 0
	v_lshl_add_u64 v[4:5], s[0:1], 0, v[6:7]
	s_lshl_b64 s[0:1], s[20:21], 2
	s_add_u32 s0, s28, s0
	s_addc_u32 s1, s29, s1
	v_lshl_add_u64 v[6:7], s[0:1], 0, v[6:7]
	s_lshl_b64 s[0:1], s[20:21], 3
	s_add_u32 s0, s30, s0
	s_addc_u32 s1, s31, s1
	s_cmp_lg_u32 s8, 0
	s_cselect_b64 s[8:9], -1, 0
	s_abs_i32 s15, s12
	v_cvt_f32_u32_e32 v1, s15
	v_mbcnt_lo_u32_b32 v11, -1, 0
	v_mbcnt_hi_u32_b32 v11, -1, v11
	v_mov_b32_e32 v12, 0x7c
	v_rcp_iflag_f32_e32 v13, v1
	v_lshl_or_b32 v1, v11, 2, v12
	s_sub_i32 s2, 0, s15
	v_lshl_add_u64 v[8:9], v[8:9], 3, s[0:1]
	v_mul_f32_e32 v11, 0x4f7ffffe, v13
	v_cvt_u32_f32_e32 v11, v11
	v_cmp_eq_u32_e64 s[0:1], 31, v0
	v_mov_b32_e32 v10, 0
	s_add_i32 s38, s11, -1
	v_mul_lo_u32 v12, s2, v11
	v_mul_hi_u32 v12, v11, v12
	v_add_u32_e32 v28, v11, v12
	v_cndmask_b32_e64 v11, 0, 1, s[24:25]
	s_mul_hi_i32 s39, s12, s12
	s_mul_i32 s40, s12, s12
	s_ashr_i32 s41, s12, 31
	v_mul_lo_u32 v29, v0, s12
	s_lshl_b32 s42, s12, 5
	s_mov_b64 s[22:23], 0
	v_cmp_ne_u32_e64 s[2:3], 1, v11
	v_mov_b32_e32 v13, 0
	v_mov_b32_e32 v12, 0
	;; [unrolled: 1-line block ×4, first 2 shown]
	s_branch .LBB80_10
.LBB80_9:                               ;   in Loop: Header=BB80_10 Depth=1
	s_waitcnt lgkmcnt(0)
	v_add_u32_e32 v12, 1, v11
	v_cmp_le_i32_e32 vcc, s10, v12
	s_or_b64 s[22:23], vcc, s[22:23]
	s_andn2_b64 exec, exec, s[22:23]
	s_cbranch_execz .LBB80_37
.LBB80_10:                              ; =>This Loop Header: Depth=1
                                        ;     Child Loop BB80_14 Depth 2
                                        ;       Child Loop BB80_17 Depth 3
                                        ;     Child Loop BB80_31 Depth 2
	s_and_b64 vcc, exec, s[2:3]
	v_mov_b32_e32 v26, s10
	s_cbranch_vccnz .LBB80_23
; %bb.11:                               ;   in Loop: Header=BB80_10 Depth=1
	s_mov_b32 s20, 0
	v_mov_b32_e32 v26, s10
	s_branch .LBB80_14
.LBB80_12:                              ;   in Loop: Header=BB80_14 Depth=2
	s_or_b64 exec, exec, s[26:27]
.LBB80_13:                              ;   in Loop: Header=BB80_14 Depth=2
	s_or_b64 exec, exec, s[24:25]
	s_add_i32 s20, s20, 1
	s_cmp_eq_u32 s20, s13
	s_cbranch_scc1 .LBB80_23
.LBB80_14:                              ;   Parent Loop BB80_10 Depth=1
                                        ; =>  This Loop Header: Depth=2
                                        ;       Child Loop BB80_17 Depth 3
	s_lshl_b64 s[24:25], s[20:21], 2
	v_lshl_add_u64 v[14:15], v[2:3], 0, s[24:25]
	v_lshl_add_u64 v[16:17], v[4:5], 0, s[24:25]
	global_load_dword v22, v[14:15], off
	global_load_dword v27, v[16:17], off
	v_lshl_add_u64 v[16:17], s[20:21], 3, v[8:9]
	v_mov_b32_e32 v11, v10
	global_store_dwordx2 v[16:17], v[10:11], off
	v_lshl_add_u64 v[18:19], v[6:7], 0, s[24:25]
	v_mov_b32_e32 v11, s10
	global_store_dword v[18:19], v11, off
	s_waitcnt vmcnt(2)
	v_cmp_lt_i32_e32 vcc, v22, v27
	s_and_saveexec_b64 s[24:25], vcc
	s_cbranch_execz .LBB80_13
; %bb.15:                               ;   in Loop: Header=BB80_14 Depth=2
	v_ashrrev_i32_e32 v23, 31, v22
	s_waitcnt lgkmcnt(0)
	v_lshl_add_u64 v[24:25], v[22:23], 2, s[18:19]
	s_mov_b64 s[26:27], 0
                                        ; implicit-def: $sgpr28_sgpr29
                                        ; implicit-def: $sgpr34_sgpr35
                                        ; implicit-def: $sgpr30_sgpr31
	s_branch .LBB80_17
.LBB80_16:                              ;   in Loop: Header=BB80_17 Depth=3
	s_or_b64 exec, exec, s[36:37]
	s_and_b64 s[36:37], exec, s[34:35]
	s_or_b64 s[26:27], s[36:37], s[26:27]
	s_andn2_b64 s[28:29], s[28:29], exec
	s_and_b64 s[36:37], s[30:31], exec
	s_or_b64 s[28:29], s[28:29], s[36:37]
	s_andn2_b64 exec, exec, s[26:27]
	s_cbranch_execz .LBB80_19
.LBB80_17:                              ;   Parent Loop BB80_10 Depth=1
                                        ;     Parent Loop BB80_14 Depth=2
                                        ; =>    This Inner Loop Header: Depth=3
	global_load_dword v11, v[24:25], off
	v_mov_b64_e32 v[20:21], v[22:23]
	s_or_b64 s[30:31], s[30:31], exec
	s_or_b64 s[34:35], s[34:35], exec
                                        ; implicit-def: $vgpr22_vgpr23
	s_waitcnt vmcnt(0)
	v_subrev_u32_e32 v11, s14, v11
	v_cmp_lt_i32_e32 vcc, v11, v12
	s_and_saveexec_b64 s[36:37], vcc
	s_cbranch_execz .LBB80_16
; %bb.18:                               ;   in Loop: Header=BB80_17 Depth=3
	v_lshl_add_u64 v[22:23], v[20:21], 0, 1
	v_cmp_ge_i32_e32 vcc, v22, v27
	s_andn2_b64 s[34:35], s[34:35], exec
	s_and_b64 s[44:45], vcc, exec
	v_lshl_add_u64 v[24:25], v[24:25], 0, 4
	s_andn2_b64 s[30:31], s[30:31], exec
	s_or_b64 s[34:35], s[34:35], s[44:45]
	s_branch .LBB80_16
.LBB80_19:                              ;   in Loop: Header=BB80_14 Depth=2
	s_or_b64 exec, exec, s[26:27]
	s_xor_b64 s[26:27], s[28:29], -1
	v_lshl_add_u64 v[22:23], v[20:21], 3, s[4:5]
	s_and_saveexec_b64 s[28:29], s[26:27]
	s_xor_b64 s[26:27], exec, s[28:29]
	s_cbranch_execz .LBB80_21
; %bb.20:                               ;   in Loop: Header=BB80_14 Depth=2
	global_load_dwordx2 v[14:15], v[22:23], off
                                        ; implicit-def: $vgpr22_vgpr23
	s_waitcnt vmcnt(0)
	global_store_dwordx2 v[16:17], v[14:15], off
	global_store_dword v[18:19], v11, off
                                        ; implicit-def: $vgpr16_vgpr17
                                        ; implicit-def: $vgpr18_vgpr19
                                        ; implicit-def: $vgpr14_vgpr15
.LBB80_21:                              ;   in Loop: Header=BB80_14 Depth=2
	s_andn2_saveexec_b64 s[26:27], s[26:27]
	s_cbranch_execz .LBB80_12
; %bb.22:                               ;   in Loop: Header=BB80_14 Depth=2
	global_load_dwordx2 v[22:23], v[22:23], off
	v_min_i32_e32 v26, v11, v26
	global_store_dword v[18:19], v11, off
	s_waitcnt vmcnt(1)
	global_store_dwordx2 v[16:17], v[22:23], off
	global_store_dword v[14:15], v20, off
	s_branch .LBB80_12
.LBB80_23:                              ;   in Loop: Header=BB80_10 Depth=1
	s_nop 0
	v_mov_b32_dpp v11, v26 row_shr:1 row_mask:0xf bank_mask:0xf
	v_min_i32_e32 v11, v11, v26
	s_nop 1
	v_mov_b32_dpp v12, v11 row_shr:2 row_mask:0xf bank_mask:0xf
	v_min_i32_e32 v11, v12, v11
	s_nop 1
	v_mov_b32_dpp v12, v11 row_shr:4 row_mask:0xf bank_mask:0xe
	v_min_i32_e32 v11, v12, v11
	s_nop 1
	v_mov_b32_dpp v12, v11 row_shr:8 row_mask:0xf bank_mask:0xc
	v_min_i32_e32 v11, v12, v11
	s_nop 1
	v_mov_b32_dpp v12, v11 row_bcast:15 row_mask:0xa bank_mask:0xf
	v_min_i32_e32 v11, v12, v11
	v_cmp_gt_i32_e32 vcc, s10, v11
	s_and_b64 s[26:27], s[0:1], vcc
	s_and_saveexec_b64 s[24:25], s[26:27]
	s_cbranch_execz .LBB80_27
; %bb.24:                               ;   in Loop: Header=BB80_10 Depth=1
	v_sub_u32_e32 v14, 0, v11
	v_max_i32_e32 v14, v11, v14
	v_mul_hi_u32 v15, v14, v28
	v_mul_lo_u32 v16, v15, s15
	v_sub_u32_e32 v14, v14, v16
	v_add_u32_e32 v16, 1, v15
	v_cmp_le_u32_e32 vcc, s15, v14
	v_ashrrev_i32_e32 v12, 31, v11
	v_xor_b32_e32 v12, s41, v12
	v_cndmask_b32_e32 v15, v15, v16, vcc
	v_subrev_u32_e32 v16, s15, v14
	v_cndmask_b32_e32 v14, v14, v16, vcc
	v_add_u32_e32 v16, 1, v15
	v_cmp_le_u32_e32 vcc, s15, v14
	s_nop 1
	v_cndmask_b32_e32 v14, v15, v16, vcc
	v_xor_b32_e32 v14, v14, v12
	v_sub_u32_e32 v12, v14, v12
	v_cmp_ge_i32_e32 vcc, v12, v30
	s_and_saveexec_b64 s[26:27], vcc
	s_cbranch_execz .LBB80_26
; %bb.25:                               ;   in Loop: Header=BB80_10 Depth=1
	v_add_u32_e32 v14, s11, v31
	v_add_u32_e32 v16, 1, v31
	v_ashrrev_i32_e32 v15, 31, v14
	v_add_u32_e32 v30, 1, v12
	s_waitcnt lgkmcnt(0)
	v_lshl_add_u64 v[14:15], v[14:15], 2, s[6:7]
	v_add_u32_e32 v12, s33, v12
	v_mov_b32_e32 v31, v16
	global_store_dword v[14:15], v12, off
.LBB80_26:                              ;   in Loop: Header=BB80_10 Depth=1
	s_or_b64 exec, exec, s[26:27]
.LBB80_27:                              ;   in Loop: Header=BB80_10 Depth=1
	s_or_b64 exec, exec, s[24:25]
	ds_bpermute_b32 v11, v1, v11
	ds_bpermute_b32 v31, v1, v31
	s_and_b64 vcc, exec, s[2:3]
	s_cbranch_vccnz .LBB80_9
; %bb.28:                               ;   in Loop: Header=BB80_10 Depth=1
	s_waitcnt lgkmcnt(0)
	v_add_u32_e32 v12, s38, v31
	v_ashrrev_i32_e32 v14, 31, v12
	v_mul_lo_u32 v16, s40, v14
	v_mul_lo_u32 v17, s39, v12
	v_mad_u64_u32 v[14:15], s[24:25], s40, v12, 0
	v_add3_u32 v15, v15, v16, v17
	v_sub_u32_e32 v16, 0, v11
	v_max_i32_e32 v16, v11, v16
	v_mul_hi_u32 v17, v16, v28
	v_mul_lo_u32 v18, v17, s15
	v_sub_u32_e32 v16, v16, v18
	v_add_u32_e32 v18, 1, v17
	v_cmp_le_u32_e32 vcc, s15, v16
	v_ashrrev_i32_e32 v12, 31, v11
	v_xor_b32_e32 v12, s41, v12
	v_cndmask_b32_e32 v17, v17, v18, vcc
	v_subrev_u32_e32 v18, s15, v16
	v_cndmask_b32_e32 v16, v16, v18, vcc
	v_add_u32_e32 v18, 1, v17
	v_cmp_le_u32_e32 vcc, s15, v16
	v_lshl_add_u64 v[14:15], v[14:15], 3, s[16:17]
	s_mov_b32 s20, s13
	v_cndmask_b32_e32 v16, v17, v18, vcc
	v_xor_b32_e32 v16, v16, v12
	v_sub_u32_e32 v32, v16, v12
	v_mov_b64_e32 v[16:17], v[8:9]
	v_mov_b64_e32 v[18:19], v[6:7]
	v_mov_b32_e32 v20, v0
	v_mov_b32_e32 v12, v29
	s_branch .LBB80_31
.LBB80_29:                              ;   in Loop: Header=BB80_31 Depth=2
	v_lshl_add_u64 v[24:25], v[24:25], 3, v[14:15]
	v_lshl_add_u64 v[24:25], v[26:27], 3, v[24:25]
	s_waitcnt vmcnt(0)
	global_store_dwordx2 v[24:25], v[22:23], off
.LBB80_30:                              ;   in Loop: Header=BB80_31 Depth=2
	s_or_b64 exec, exec, s[24:25]
	s_add_i32 s20, s20, -1
	v_add_u32_e32 v12, s42, v12
	v_add_u32_e32 v20, 32, v20
	v_lshl_add_u64 v[18:19], v[18:19], 0, 4
	s_cmp_eq_u32 s20, 0
	v_lshl_add_u64 v[16:17], v[16:17], 0, 8
	s_cbranch_scc1 .LBB80_9
.LBB80_31:                              ;   Parent Loop BB80_10 Depth=1
                                        ; =>  This Inner Loop Header: Depth=2
	global_load_dword v21, v[18:19], off
	s_waitcnt vmcnt(0)
	v_cmp_gt_i32_e32 vcc, s10, v21
	s_and_saveexec_b64 s[24:25], vcc
	s_cbranch_execz .LBB80_30
; %bb.32:                               ;   in Loop: Header=BB80_31 Depth=2
	v_sub_u32_e32 v23, 0, v21
	v_max_i32_e32 v23, v21, v23
	v_mul_hi_u32 v24, v23, v28
	v_mul_lo_u32 v25, v24, s15
	v_sub_u32_e32 v34, v23, v25
	v_add_u32_e32 v23, 1, v24
	v_cmp_le_u32_e32 vcc, s15, v34
	v_subrev_u32_e32 v35, s15, v34
	v_ashrrev_i32_e32 v33, 31, v21
	v_cndmask_b32_e32 v23, v24, v23, vcc
	v_cndmask_b32_e32 v24, v34, v35, vcc
	v_add_u32_e32 v25, 1, v23
	v_cmp_le_u32_e32 vcc, s15, v24
	v_xor_b32_e32 v22, s41, v33
	s_nop 0
	v_cndmask_b32_e32 v23, v23, v25, vcc
	v_xor_b32_e32 v23, v23, v22
	v_sub_u32_e32 v22, v23, v22
	v_cmp_eq_u32_e32 vcc, v22, v32
	s_and_b64 exec, exec, vcc
	s_cbranch_execz .LBB80_30
; %bb.33:                               ;   in Loop: Header=BB80_31 Depth=2
	global_load_dwordx2 v[22:23], v[16:17], off
	s_and_b64 vcc, exec, s[8:9]
	s_cbranch_vccz .LBB80_35
; %bb.34:                               ;   in Loop: Header=BB80_31 Depth=2
	v_mul_lo_u32 v24, v32, s12
	v_sub_u32_e32 v21, v21, v24
	v_mul_lo_u32 v24, v21, s12
	v_mov_b32_e32 v21, v13
	v_ashrrev_i32_e32 v25, 31, v24
	v_mov_b64_e32 v[26:27], v[20:21]
	s_cbranch_execnz .LBB80_29
	s_branch .LBB80_36
.LBB80_35:                              ;   in Loop: Header=BB80_31 Depth=2
                                        ; implicit-def: $vgpr26_vgpr27
                                        ; implicit-def: $vgpr24_vgpr25
.LBB80_36:                              ;   in Loop: Header=BB80_31 Depth=2
	v_cmp_le_u32_e32 vcc, s15, v34
	s_nop 1
	v_cndmask_b32_e32 v21, v34, v35, vcc
	v_subrev_u32_e32 v24, s15, v21
	v_cmp_le_u32_e32 vcc, s15, v21
	s_nop 1
	v_cndmask_b32_e32 v21, v21, v24, vcc
	v_xor_b32_e32 v21, v21, v33
	v_sub_u32_e32 v26, v21, v33
	v_ashrrev_i32_e32 v27, 31, v26
	v_mov_b64_e32 v[24:25], v[12:13]
	s_branch .LBB80_29
.LBB80_37:
	s_endpgm
	.section	.rodata,"a",@progbits
	.p2align	6, 0x0
	.amdhsa_kernel _ZN9rocsparseL21csr2bsr_65_inf_kernelILj32E21rocsparse_complex_numIfEiiEEv20rocsparse_direction_T2_S4_S4_S4_S4_S4_21rocsparse_index_base_PKT0_PKT1_PKS4_S5_PS6_PS9_PS4_SF_SG_SE_
		.amdhsa_group_segment_fixed_size 0
		.amdhsa_private_segment_fixed_size 0
		.amdhsa_kernarg_size 112
		.amdhsa_user_sgpr_count 2
		.amdhsa_user_sgpr_dispatch_ptr 0
		.amdhsa_user_sgpr_queue_ptr 0
		.amdhsa_user_sgpr_kernarg_segment_ptr 1
		.amdhsa_user_sgpr_dispatch_id 0
		.amdhsa_user_sgpr_kernarg_preload_length 0
		.amdhsa_user_sgpr_kernarg_preload_offset 0
		.amdhsa_user_sgpr_private_segment_size 0
		.amdhsa_uses_dynamic_stack 0
		.amdhsa_enable_private_segment 0
		.amdhsa_system_sgpr_workgroup_id_x 1
		.amdhsa_system_sgpr_workgroup_id_y 0
		.amdhsa_system_sgpr_workgroup_id_z 0
		.amdhsa_system_sgpr_workgroup_info 0
		.amdhsa_system_vgpr_workitem_id 0
		.amdhsa_next_free_vgpr 36
		.amdhsa_next_free_sgpr 46
		.amdhsa_accum_offset 36
		.amdhsa_reserve_vcc 1
		.amdhsa_float_round_mode_32 0
		.amdhsa_float_round_mode_16_64 0
		.amdhsa_float_denorm_mode_32 3
		.amdhsa_float_denorm_mode_16_64 3
		.amdhsa_dx10_clamp 1
		.amdhsa_ieee_mode 1
		.amdhsa_fp16_overflow 0
		.amdhsa_tg_split 0
		.amdhsa_exception_fp_ieee_invalid_op 0
		.amdhsa_exception_fp_denorm_src 0
		.amdhsa_exception_fp_ieee_div_zero 0
		.amdhsa_exception_fp_ieee_overflow 0
		.amdhsa_exception_fp_ieee_underflow 0
		.amdhsa_exception_fp_ieee_inexact 0
		.amdhsa_exception_int_div_zero 0
	.end_amdhsa_kernel
	.section	.text._ZN9rocsparseL21csr2bsr_65_inf_kernelILj32E21rocsparse_complex_numIfEiiEEv20rocsparse_direction_T2_S4_S4_S4_S4_S4_21rocsparse_index_base_PKT0_PKT1_PKS4_S5_PS6_PS9_PS4_SF_SG_SE_,"axG",@progbits,_ZN9rocsparseL21csr2bsr_65_inf_kernelILj32E21rocsparse_complex_numIfEiiEEv20rocsparse_direction_T2_S4_S4_S4_S4_S4_21rocsparse_index_base_PKT0_PKT1_PKS4_S5_PS6_PS9_PS4_SF_SG_SE_,comdat
.Lfunc_end80:
	.size	_ZN9rocsparseL21csr2bsr_65_inf_kernelILj32E21rocsparse_complex_numIfEiiEEv20rocsparse_direction_T2_S4_S4_S4_S4_S4_21rocsparse_index_base_PKT0_PKT1_PKS4_S5_PS6_PS9_PS4_SF_SG_SE_, .Lfunc_end80-_ZN9rocsparseL21csr2bsr_65_inf_kernelILj32E21rocsparse_complex_numIfEiiEEv20rocsparse_direction_T2_S4_S4_S4_S4_S4_21rocsparse_index_base_PKT0_PKT1_PKS4_S5_PS6_PS9_PS4_SF_SG_SE_
                                        ; -- End function
	.section	.AMDGPU.csdata,"",@progbits
; Kernel info:
; codeLenInByte = 1740
; NumSgprs: 52
; NumVgprs: 36
; NumAgprs: 0
; TotalNumVgprs: 36
; ScratchSize: 0
; MemoryBound: 0
; FloatMode: 240
; IeeeMode: 1
; LDSByteSize: 0 bytes/workgroup (compile time only)
; SGPRBlocks: 6
; VGPRBlocks: 4
; NumSGPRsForWavesPerEU: 52
; NumVGPRsForWavesPerEU: 36
; AccumOffset: 36
; Occupancy: 8
; WaveLimiterHint : 0
; COMPUTE_PGM_RSRC2:SCRATCH_EN: 0
; COMPUTE_PGM_RSRC2:USER_SGPR: 2
; COMPUTE_PGM_RSRC2:TRAP_HANDLER: 0
; COMPUTE_PGM_RSRC2:TGID_X_EN: 1
; COMPUTE_PGM_RSRC2:TGID_Y_EN: 0
; COMPUTE_PGM_RSRC2:TGID_Z_EN: 0
; COMPUTE_PGM_RSRC2:TIDIG_COMP_CNT: 0
; COMPUTE_PGM_RSRC3_GFX90A:ACCUM_OFFSET: 8
; COMPUTE_PGM_RSRC3_GFX90A:TG_SPLIT: 0
	.section	.text._ZN9rocsparseL35csr2bsr_block_dim_equals_one_kernelILj256E21rocsparse_complex_numIfEliEEvT2_S3_S3_S3_21rocsparse_index_base_PKT0_PKT1_PKS3_S4_PS5_PS8_PS3_,"axG",@progbits,_ZN9rocsparseL35csr2bsr_block_dim_equals_one_kernelILj256E21rocsparse_complex_numIfEliEEvT2_S3_S3_S3_21rocsparse_index_base_PKT0_PKT1_PKS3_S4_PS5_PS8_PS3_,comdat
	.globl	_ZN9rocsparseL35csr2bsr_block_dim_equals_one_kernelILj256E21rocsparse_complex_numIfEliEEvT2_S3_S3_S3_21rocsparse_index_base_PKT0_PKT1_PKS3_S4_PS5_PS8_PS3_ ; -- Begin function _ZN9rocsparseL35csr2bsr_block_dim_equals_one_kernelILj256E21rocsparse_complex_numIfEliEEvT2_S3_S3_S3_21rocsparse_index_base_PKT0_PKT1_PKS3_S4_PS5_PS8_PS3_
	.p2align	8
	.type	_ZN9rocsparseL35csr2bsr_block_dim_equals_one_kernelILj256E21rocsparse_complex_numIfEliEEvT2_S3_S3_S3_21rocsparse_index_base_PKT0_PKT1_PKS3_S4_PS5_PS8_PS3_,@function
_ZN9rocsparseL35csr2bsr_block_dim_equals_one_kernelILj256E21rocsparse_complex_numIfEliEEvT2_S3_S3_S3_21rocsparse_index_base_PKT0_PKT1_PKS3_S4_PS5_PS8_PS3_: ; @_ZN9rocsparseL35csr2bsr_block_dim_equals_one_kernelILj256E21rocsparse_complex_numIfEliEEvT2_S3_S3_S3_21rocsparse_index_base_PKT0_PKT1_PKS3_S4_PS5_PS8_PS3_
; %bb.0:
	s_load_dword s8, s[0:1], 0x0
	s_load_dwordx4 s[4:7], s[0:1], 0x18
	v_lshl_or_b32 v0, s2, 8, v0
	v_ashrrev_i32_e32 v1, 31, v0
	s_waitcnt lgkmcnt(0)
	s_ashr_i32 s9, s8, 31
	s_lshl_b64 s[8:9], s[8:9], 3
	s_add_u32 s8, s6, s8
	s_addc_u32 s9, s7, s9
	s_load_dwordx2 s[10:11], s[8:9], 0x0
	s_load_dwordx2 s[12:13], s[6:7], 0x0
	s_waitcnt lgkmcnt(0)
	s_sub_u32 s2, s10, s12
	s_subb_u32 s3, s11, s13
	v_cmp_gt_i64_e32 vcc, s[2:3], v[0:1]
	s_and_saveexec_b64 s[6:7], vcc
	s_cbranch_execz .LBB81_3
; %bb.1:
	s_load_dword s12, s[0:1], 0x30
	s_load_dwordx2 s[6:7], s[0:1], 0x38
	s_load_dword s13, s[0:1], 0x10
	s_load_dword s14, s[0:1], 0x50
	s_load_dwordx2 s[8:9], s[0:1], 0x28
	s_load_dwordx2 s[10:11], s[0:1], 0x48
	s_mov_b32 s1, 0
	s_waitcnt lgkmcnt(0)
	s_sub_i32 s18, s12, s13
	s_lshl_b32 s0, s14, 8
	v_lshlrev_b64 v[2:3], 3, v[0:1]
	s_lshl_b64 s[12:13], s[0:1], 3
	v_lshlrev_b64 v[4:5], 2, v[0:1]
	s_lshl_b64 s[14:15], s[0:1], 2
	s_mov_b64 s[16:17], 0
.LBB81_2:                               ; =>This Inner Loop Header: Depth=1
	v_lshl_add_u64 v[6:7], s[8:9], 0, v[4:5]
	global_load_dword v10, v[6:7], off
	v_lshl_add_u64 v[6:7], s[10:11], 0, v[4:5]
	v_lshl_add_u64 v[8:9], s[4:5], 0, v[2:3]
	;; [unrolled: 1-line block ×3, first 2 shown]
	v_cmp_le_i64_e32 vcc, s[2:3], v[0:1]
	v_lshl_add_u64 v[4:5], v[4:5], 0, s[14:15]
	s_or_b64 s[16:17], vcc, s[16:17]
	s_waitcnt vmcnt(0)
	v_add_u32_e32 v10, s18, v10
	global_store_dword v[6:7], v10, off
	global_load_dwordx2 v[6:7], v[8:9], off
	v_lshl_add_u64 v[8:9], s[6:7], 0, v[2:3]
	v_lshl_add_u64 v[2:3], v[2:3], 0, s[12:13]
	s_waitcnt vmcnt(0)
	global_store_dwordx2 v[8:9], v[6:7], off
	s_andn2_b64 exec, exec, s[16:17]
	s_cbranch_execnz .LBB81_2
.LBB81_3:
	s_endpgm
	.section	.rodata,"a",@progbits
	.p2align	6, 0x0
	.amdhsa_kernel _ZN9rocsparseL35csr2bsr_block_dim_equals_one_kernelILj256E21rocsparse_complex_numIfEliEEvT2_S3_S3_S3_21rocsparse_index_base_PKT0_PKT1_PKS3_S4_PS5_PS8_PS3_
		.amdhsa_group_segment_fixed_size 0
		.amdhsa_private_segment_fixed_size 0
		.amdhsa_kernarg_size 336
		.amdhsa_user_sgpr_count 2
		.amdhsa_user_sgpr_dispatch_ptr 0
		.amdhsa_user_sgpr_queue_ptr 0
		.amdhsa_user_sgpr_kernarg_segment_ptr 1
		.amdhsa_user_sgpr_dispatch_id 0
		.amdhsa_user_sgpr_kernarg_preload_length 0
		.amdhsa_user_sgpr_kernarg_preload_offset 0
		.amdhsa_user_sgpr_private_segment_size 0
		.amdhsa_uses_dynamic_stack 0
		.amdhsa_enable_private_segment 0
		.amdhsa_system_sgpr_workgroup_id_x 1
		.amdhsa_system_sgpr_workgroup_id_y 0
		.amdhsa_system_sgpr_workgroup_id_z 0
		.amdhsa_system_sgpr_workgroup_info 0
		.amdhsa_system_vgpr_workitem_id 0
		.amdhsa_next_free_vgpr 11
		.amdhsa_next_free_sgpr 19
		.amdhsa_accum_offset 12
		.amdhsa_reserve_vcc 1
		.amdhsa_float_round_mode_32 0
		.amdhsa_float_round_mode_16_64 0
		.amdhsa_float_denorm_mode_32 3
		.amdhsa_float_denorm_mode_16_64 3
		.amdhsa_dx10_clamp 1
		.amdhsa_ieee_mode 1
		.amdhsa_fp16_overflow 0
		.amdhsa_tg_split 0
		.amdhsa_exception_fp_ieee_invalid_op 0
		.amdhsa_exception_fp_denorm_src 0
		.amdhsa_exception_fp_ieee_div_zero 0
		.amdhsa_exception_fp_ieee_overflow 0
		.amdhsa_exception_fp_ieee_underflow 0
		.amdhsa_exception_fp_ieee_inexact 0
		.amdhsa_exception_int_div_zero 0
	.end_amdhsa_kernel
	.section	.text._ZN9rocsparseL35csr2bsr_block_dim_equals_one_kernelILj256E21rocsparse_complex_numIfEliEEvT2_S3_S3_S3_21rocsparse_index_base_PKT0_PKT1_PKS3_S4_PS5_PS8_PS3_,"axG",@progbits,_ZN9rocsparseL35csr2bsr_block_dim_equals_one_kernelILj256E21rocsparse_complex_numIfEliEEvT2_S3_S3_S3_21rocsparse_index_base_PKT0_PKT1_PKS3_S4_PS5_PS8_PS3_,comdat
.Lfunc_end81:
	.size	_ZN9rocsparseL35csr2bsr_block_dim_equals_one_kernelILj256E21rocsparse_complex_numIfEliEEvT2_S3_S3_S3_21rocsparse_index_base_PKT0_PKT1_PKS3_S4_PS5_PS8_PS3_, .Lfunc_end81-_ZN9rocsparseL35csr2bsr_block_dim_equals_one_kernelILj256E21rocsparse_complex_numIfEliEEvT2_S3_S3_S3_21rocsparse_index_base_PKT0_PKT1_PKS3_S4_PS5_PS8_PS3_
                                        ; -- End function
	.section	.AMDGPU.csdata,"",@progbits
; Kernel info:
; codeLenInByte = 300
; NumSgprs: 25
; NumVgprs: 11
; NumAgprs: 0
; TotalNumVgprs: 11
; ScratchSize: 0
; MemoryBound: 0
; FloatMode: 240
; IeeeMode: 1
; LDSByteSize: 0 bytes/workgroup (compile time only)
; SGPRBlocks: 3
; VGPRBlocks: 1
; NumSGPRsForWavesPerEU: 25
; NumVGPRsForWavesPerEU: 11
; AccumOffset: 12
; Occupancy: 8
; WaveLimiterHint : 0
; COMPUTE_PGM_RSRC2:SCRATCH_EN: 0
; COMPUTE_PGM_RSRC2:USER_SGPR: 2
; COMPUTE_PGM_RSRC2:TRAP_HANDLER: 0
; COMPUTE_PGM_RSRC2:TGID_X_EN: 1
; COMPUTE_PGM_RSRC2:TGID_Y_EN: 0
; COMPUTE_PGM_RSRC2:TGID_Z_EN: 0
; COMPUTE_PGM_RSRC2:TIDIG_COMP_CNT: 0
; COMPUTE_PGM_RSRC3_GFX90A:ACCUM_OFFSET: 2
; COMPUTE_PGM_RSRC3_GFX90A:TG_SPLIT: 0
	.section	.text._ZN9rocsparseL42csr2bsr_wavefront_per_row_multipass_kernelILj256ELj16ELj4E21rocsparse_complex_numIfEliEEv20rocsparse_direction_T4_S4_S4_S4_S4_21rocsparse_index_base_PKT2_PKT3_PKS4_S5_PS6_PS9_PS4_,"axG",@progbits,_ZN9rocsparseL42csr2bsr_wavefront_per_row_multipass_kernelILj256ELj16ELj4E21rocsparse_complex_numIfEliEEv20rocsparse_direction_T4_S4_S4_S4_S4_21rocsparse_index_base_PKT2_PKT3_PKS4_S5_PS6_PS9_PS4_,comdat
	.globl	_ZN9rocsparseL42csr2bsr_wavefront_per_row_multipass_kernelILj256ELj16ELj4E21rocsparse_complex_numIfEliEEv20rocsparse_direction_T4_S4_S4_S4_S4_21rocsparse_index_base_PKT2_PKT3_PKS4_S5_PS6_PS9_PS4_ ; -- Begin function _ZN9rocsparseL42csr2bsr_wavefront_per_row_multipass_kernelILj256ELj16ELj4E21rocsparse_complex_numIfEliEEv20rocsparse_direction_T4_S4_S4_S4_S4_21rocsparse_index_base_PKT2_PKT3_PKS4_S5_PS6_PS9_PS4_
	.p2align	8
	.type	_ZN9rocsparseL42csr2bsr_wavefront_per_row_multipass_kernelILj256ELj16ELj4E21rocsparse_complex_numIfEliEEv20rocsparse_direction_T4_S4_S4_S4_S4_21rocsparse_index_base_PKT2_PKT3_PKS4_S5_PS6_PS9_PS4_,@function
_ZN9rocsparseL42csr2bsr_wavefront_per_row_multipass_kernelILj256ELj16ELj4E21rocsparse_complex_numIfEliEEv20rocsparse_direction_T4_S4_S4_S4_S4_21rocsparse_index_base_PKT2_PKT3_PKS4_S5_PS6_PS9_PS4_: ; @_ZN9rocsparseL42csr2bsr_wavefront_per_row_multipass_kernelILj256ELj16ELj4E21rocsparse_complex_numIfEliEEv20rocsparse_direction_T4_S4_S4_S4_S4_21rocsparse_index_base_PKT2_PKT3_PKS4_S5_PS6_PS9_PS4_
; %bb.0:
	s_load_dwordx2 s[14:15], s[0:1], 0x0
	s_load_dwordx4 s[4:7], s[0:1], 0xc
	s_load_dwordx2 s[8:9], s[0:1], 0x28
	v_lshrrev_b32_e32 v24, 4, v0
	v_bfe_u32 v8, v0, 2, 2
	v_lshl_or_b32 v6, s2, 4, v24
	s_waitcnt lgkmcnt(0)
	v_mad_u64_u32 v[4:5], s[2:3], v6, s6, v[8:9]
	v_cmp_gt_i32_e64 s[2:3], s15, v4
	v_cmp_gt_i32_e32 vcc, s6, v8
	v_mov_b64_e32 v[2:3], 0
	s_and_b64 s[10:11], vcc, s[2:3]
	v_mov_b64_e32 v[10:11], v[2:3]
	s_and_saveexec_b64 s[12:13], s[10:11]
	s_cbranch_execz .LBB82_2
; %bb.1:
	v_ashrrev_i32_e32 v5, 31, v4
	v_lshl_add_u64 v[10:11], v[4:5], 3, s[8:9]
	global_load_dwordx2 v[10:11], v[10:11], off
	s_waitcnt vmcnt(0)
	v_subrev_co_u32_e64 v10, s[2:3], s7, v10
	s_nop 1
	v_subbrev_co_u32_e64 v11, s[2:3], 0, v11, s[2:3]
.LBB82_2:
	s_or_b64 exec, exec, s[12:13]
	s_and_saveexec_b64 s[12:13], s[10:11]
	s_cbranch_execz .LBB82_4
; %bb.3:
	v_ashrrev_i32_e32 v5, 31, v4
	v_lshl_add_u64 v[2:3], v[4:5], 3, s[8:9]
	global_load_dwordx2 v[2:3], v[2:3], off offset:8
	s_waitcnt vmcnt(0)
	v_subrev_co_u32_e64 v2, s[2:3], s7, v2
	s_nop 1
	v_subbrev_co_u32_e64 v3, s[2:3], 0, v3, s[2:3]
.LBB82_4:
	s_or_b64 exec, exec, s[12:13]
	s_load_dword s20, s[0:1], 0x38
	v_cmp_gt_i32_e64 s[2:3], s4, v6
	v_mov_b64_e32 v[4:5], 0
	s_and_saveexec_b64 s[8:9], s[2:3]
	s_cbranch_execz .LBB82_6
; %bb.5:
	s_load_dwordx2 s[2:3], s[0:1], 0x48
	v_ashrrev_i32_e32 v7, 31, v6
	s_waitcnt lgkmcnt(0)
	v_lshl_add_u64 v[4:5], v[6:7], 3, s[2:3]
	global_load_dwordx2 v[4:5], v[4:5], off
	s_waitcnt vmcnt(0)
	v_subrev_co_u32_e64 v4, s[2:3], s20, v4
	s_nop 1
	v_subbrev_co_u32_e64 v5, s[2:3], 0, v5, s[2:3]
.LBB82_6:
	s_or_b64 exec, exec, s[8:9]
	s_cmp_lt_i32 s5, 1
	s_cbranch_scc1 .LBB82_21
; %bb.7:
	v_and_b32_e32 v6, 3, v0
	v_and_b32_e32 v0, 0xf0, v0
	s_load_dwordx2 s[2:3], s[0:1], 0x20
	s_load_dwordx2 s[8:9], s[0:1], 0x50
	;; [unrolled: 1-line block ×4, first 2 shown]
	v_lshl_or_b32 v25, v8, 2, v0
	v_or_b32_e32 v0, v25, v6
	v_lshlrev_b32_e32 v26, 3, v0
	v_mov_b32_e32 v7, 0
	v_mbcnt_lo_u32_b32 v0, -1, 0
	v_cmp_gt_u32_e64 s[0:1], s6, v6
	v_mbcnt_hi_u32_b32 v14, -1, v0
	s_and_b64 s[12:13], vcc, s[0:1]
	v_mul_lo_u32 v0, v6, s6
	v_mov_b32_e32 v1, v7
	s_cmp_eq_u32 s14, 0
	s_waitcnt lgkmcnt(0)
	v_lshl_add_u64 v[0:1], v[0:1], 3, s[16:17]
	v_lshlrev_b32_e32 v12, 3, v8
	v_mov_b32_e32 v13, v7
	v_mul_lo_u32 v8, v8, s6
	v_mov_b32_e32 v9, v7
	v_lshl_add_u64 v[0:1], v[0:1], 0, v[12:13]
	v_lshl_add_u64 v[8:9], v[8:9], 3, s[16:17]
	v_lshlrev_b32_e32 v12, 3, v6
	s_cselect_b64 vcc, -1, 0
	s_abs_i32 s4, s6
	v_lshl_add_u64 v[8:9], v[8:9], 0, v[12:13]
	v_cvt_f32_u32_e32 v12, s4
	v_cndmask_b32_e32 v1, v1, v9, vcc
	s_sub_i32 s0, 0, s4
	v_cndmask_b32_e32 v0, v0, v8, vcc
	v_rcp_iflag_f32_e32 v12, v12
	v_lshlrev_b32_e32 v13, 2, v14
	v_or_b32_e32 v27, 12, v13
	s_mul_hi_u32 s21, s6, s6
	v_mul_f32_e32 v9, 0x4f7ffffe, v12
	v_cvt_u32_f32_e32 v9, v9
	s_mul_i32 s22, s6, s6
	v_or_b32_e32 v28, 60, v13
	s_ashr_i32 s23, s6, 31
	v_mul_lo_u32 v8, s0, v9
	v_mul_hi_u32 v8, v9, v8
	v_add_u32_e32 v29, v9, v8
	s_mov_b64 s[14:15], 0
	v_mov_b64_e32 v[12:13], 0
	v_mov_b32_e32 v8, v7
	v_mov_b32_e32 v9, v7
	;; [unrolled: 1-line block ×3, first 2 shown]
	s_branch .LBB82_10
.LBB82_8:                               ;   in Loop: Header=BB82_10 Depth=1
	s_or_b64 exec, exec, s[16:17]
	v_mov_b64_e32 v[14:15], 1
.LBB82_9:                               ;   in Loop: Header=BB82_10 Depth=1
	s_or_b64 exec, exec, s[0:1]
	v_mov_b32_dpp v12, v31 row_shr:1 row_mask:0xf bank_mask:0xf
	v_min_i32_e32 v12, v12, v31
	v_lshl_add_u64 v[4:5], v[14:15], 0, v[4:5]
	s_waitcnt lgkmcnt(0)
	v_mov_b32_dpp v13, v12 row_shr:2 row_mask:0xf bank_mask:0xf
	v_min_i32_e32 v12, v13, v12
	s_nop 1
	v_mov_b32_dpp v13, v12 row_shr:4 row_mask:0xf bank_mask:0xe
	v_min_i32_e32 v12, v13, v12
	s_nop 1
	v_mov_b32_dpp v13, v12 row_shr:8 row_mask:0xf bank_mask:0xc
	v_min_i32_e32 v12, v13, v12
	ds_bpermute_b32 v12, v28, v12
	s_waitcnt lgkmcnt(0)
	v_cmp_le_i32_e32 vcc, s5, v12
	v_ashrrev_i32_e32 v13, 31, v12
	s_or_b64 s[14:15], vcc, s[14:15]
	s_andn2_b64 exec, exec, s[14:15]
	s_cbranch_execz .LBB82_21
.LBB82_10:                              ; =>This Loop Header: Depth=1
                                        ;     Child Loop BB82_13 Depth 2
	v_lshl_add_u64 v[10:11], v[10:11], 0, v[6:7]
	v_cmp_lt_i64_e32 vcc, v[10:11], v[2:3]
	v_mov_b32_e32 v31, s5
	v_mov_b64_e32 v[18:19], v[2:3]
	ds_write_b8 v24, v7 offset:2048
	ds_write_b64 v26, v[8:9]
	s_waitcnt lgkmcnt(0)
	s_and_saveexec_b64 s[16:17], vcc
	s_cbranch_execz .LBB82_18
; %bb.11:                               ;   in Loop: Header=BB82_10 Depth=1
	v_lshl_add_u64 v[14:15], v[10:11], 3, s[2:3]
	v_lshl_add_u64 v[16:17], v[10:11], 2, s[10:11]
	s_mov_b64 s[18:19], 0
	v_mov_b32_e32 v31, s5
	v_mov_b64_e32 v[18:19], v[2:3]
	s_branch .LBB82_13
.LBB82_12:                              ;   in Loop: Header=BB82_13 Depth=2
	s_or_b64 exec, exec, s[0:1]
	v_lshl_add_u64 v[10:11], v[10:11], 0, 4
	v_cmp_ge_i64_e64 s[0:1], v[10:11], v[2:3]
	s_xor_b64 s[24:25], vcc, -1
	s_or_b64 s[0:1], s[24:25], s[0:1]
	s_and_b64 s[0:1], exec, s[0:1]
	v_lshl_add_u64 v[14:15], v[14:15], 0, 32
	s_or_b64 s[18:19], s[0:1], s[18:19]
	v_lshl_add_u64 v[16:17], v[16:17], 0, 16
	s_andn2_b64 exec, exec, s[18:19]
	s_cbranch_execz .LBB82_17
.LBB82_13:                              ;   Parent Loop BB82_10 Depth=1
                                        ; =>  This Inner Loop Header: Depth=2
	global_load_dword v20, v[16:17], off
	s_waitcnt vmcnt(0)
	v_subrev_u32_e32 v32, s7, v20
	v_sub_u32_e32 v21, 0, v32
	v_max_i32_e32 v21, v32, v21
	v_mul_hi_u32 v22, v21, v29
	v_mul_lo_u32 v23, v22, s4
	v_sub_u32_e32 v21, v21, v23
	v_add_u32_e32 v33, 1, v22
	v_cmp_le_u32_e32 vcc, s4, v21
	v_subrev_u32_e32 v23, s4, v21
	v_ashrrev_i32_e32 v20, 31, v32
	v_cndmask_b32_e32 v22, v22, v33, vcc
	v_cndmask_b32_e32 v21, v21, v23, vcc
	v_add_u32_e32 v23, 1, v22
	v_cmp_le_u32_e32 vcc, s4, v21
	v_xor_b32_e32 v20, s23, v20
	s_nop 0
	v_cndmask_b32_e32 v21, v22, v23, vcc
	v_xor_b32_e32 v21, v21, v20
	v_sub_u32_e32 v20, v21, v20
	v_ashrrev_i32_e32 v21, 31, v20
	v_cmp_eq_u64_e32 vcc, v[12:13], v[20:21]
	v_cmp_ne_u64_e64 s[0:1], v[12:13], v[20:21]
	v_mov_b64_e32 v[22:23], v[18:19]
	s_and_saveexec_b64 s[24:25], s[0:1]
	s_xor_b64 s[0:1], exec, s[24:25]
; %bb.14:                               ;   in Loop: Header=BB82_13 Depth=2
	v_min_i32_e32 v31, v20, v31
                                        ; implicit-def: $vgpr20
                                        ; implicit-def: $vgpr32
                                        ; implicit-def: $vgpr22_vgpr23
; %bb.15:                               ;   in Loop: Header=BB82_13 Depth=2
	s_or_saveexec_b64 s[0:1], s[0:1]
	v_mov_b64_e32 v[18:19], v[10:11]
	s_xor_b64 exec, exec, s[0:1]
	s_cbranch_execz .LBB82_12
; %bb.16:                               ;   in Loop: Header=BB82_13 Depth=2
	global_load_dwordx2 v[18:19], v[14:15], off
	v_mul_lo_u32 v20, v20, s6
	v_sub_u32_e32 v20, v32, v20
	v_add_lshl_u32 v20, v20, v25, 3
	ds_write_b8 v24, v30 offset:2048
	s_waitcnt vmcnt(0)
	ds_write_b64 v20, v[18:19]
	v_mov_b64_e32 v[18:19], v[22:23]
	s_branch .LBB82_12
.LBB82_17:                              ;   in Loop: Header=BB82_10 Depth=1
	s_or_b64 exec, exec, s[18:19]
.LBB82_18:                              ;   in Loop: Header=BB82_10 Depth=1
	s_or_b64 exec, exec, s[16:17]
	v_mov_b32_dpp v10, v18 row_shr:1 row_mask:0xf bank_mask:0xf
	v_mov_b32_dpp v11, v19 row_shr:1 row_mask:0xf bank_mask:0xf
	v_cmp_lt_i64_e32 vcc, v[10:11], v[18:19]
	s_waitcnt lgkmcnt(0)
	ds_read_u8 v13, v24 offset:2048
	v_cndmask_b32_e32 v11, v19, v11, vcc
	v_cndmask_b32_e32 v10, v18, v10, vcc
	s_waitcnt lgkmcnt(0)
	v_and_b32_e32 v13, 1, v13
	v_mov_b32_dpp v14, v10 row_shr:2 row_mask:0xf bank_mask:0xf
	v_mov_b32_dpp v15, v11 row_shr:2 row_mask:0xf bank_mask:0xf
	v_cmp_lt_i64_e32 vcc, v[14:15], v[10:11]
	s_nop 1
	v_cndmask_b32_e32 v11, v11, v15, vcc
	v_cndmask_b32_e32 v10, v10, v14, vcc
	ds_bpermute_b32 v10, v27, v10
	ds_bpermute_b32 v11, v27, v11
	v_cmp_eq_u32_e32 vcc, 1, v13
	v_mov_b64_e32 v[14:15], 0
	s_and_saveexec_b64 s[0:1], vcc
	s_cbranch_execz .LBB82_9
; %bb.19:                               ;   in Loop: Header=BB82_10 Depth=1
	v_add_u32_e32 v14, s20, v12
	v_lshl_add_u64 v[12:13], v[4:5], 2, s[8:9]
	global_store_dword v[12:13], v14, off
	s_and_saveexec_b64 s[16:17], s[12:13]
	s_cbranch_execz .LBB82_8
; %bb.20:                               ;   in Loop: Header=BB82_10 Depth=1
	ds_read_b64 v[12:13], v26
	v_mul_lo_u32 v16, s21, v4
	v_mul_lo_u32 v17, s22, v5
	v_mad_u64_u32 v[14:15], s[18:19], s22, v4, 0
	v_add3_u32 v15, v15, v17, v16
	v_lshl_add_u64 v[14:15], v[14:15], 3, v[0:1]
	s_waitcnt lgkmcnt(0)
	global_store_dwordx2 v[14:15], v[12:13], off
	s_branch .LBB82_8
.LBB82_21:
	s_endpgm
	.section	.rodata,"a",@progbits
	.p2align	6, 0x0
	.amdhsa_kernel _ZN9rocsparseL42csr2bsr_wavefront_per_row_multipass_kernelILj256ELj16ELj4E21rocsparse_complex_numIfEliEEv20rocsparse_direction_T4_S4_S4_S4_S4_21rocsparse_index_base_PKT2_PKT3_PKS4_S5_PS6_PS9_PS4_
		.amdhsa_group_segment_fixed_size 2064
		.amdhsa_private_segment_fixed_size 0
		.amdhsa_kernarg_size 88
		.amdhsa_user_sgpr_count 2
		.amdhsa_user_sgpr_dispatch_ptr 0
		.amdhsa_user_sgpr_queue_ptr 0
		.amdhsa_user_sgpr_kernarg_segment_ptr 1
		.amdhsa_user_sgpr_dispatch_id 0
		.amdhsa_user_sgpr_kernarg_preload_length 0
		.amdhsa_user_sgpr_kernarg_preload_offset 0
		.amdhsa_user_sgpr_private_segment_size 0
		.amdhsa_uses_dynamic_stack 0
		.amdhsa_enable_private_segment 0
		.amdhsa_system_sgpr_workgroup_id_x 1
		.amdhsa_system_sgpr_workgroup_id_y 0
		.amdhsa_system_sgpr_workgroup_id_z 0
		.amdhsa_system_sgpr_workgroup_info 0
		.amdhsa_system_vgpr_workitem_id 0
		.amdhsa_next_free_vgpr 34
		.amdhsa_next_free_sgpr 26
		.amdhsa_accum_offset 36
		.amdhsa_reserve_vcc 1
		.amdhsa_float_round_mode_32 0
		.amdhsa_float_round_mode_16_64 0
		.amdhsa_float_denorm_mode_32 3
		.amdhsa_float_denorm_mode_16_64 3
		.amdhsa_dx10_clamp 1
		.amdhsa_ieee_mode 1
		.amdhsa_fp16_overflow 0
		.amdhsa_tg_split 0
		.amdhsa_exception_fp_ieee_invalid_op 0
		.amdhsa_exception_fp_denorm_src 0
		.amdhsa_exception_fp_ieee_div_zero 0
		.amdhsa_exception_fp_ieee_overflow 0
		.amdhsa_exception_fp_ieee_underflow 0
		.amdhsa_exception_fp_ieee_inexact 0
		.amdhsa_exception_int_div_zero 0
	.end_amdhsa_kernel
	.section	.text._ZN9rocsparseL42csr2bsr_wavefront_per_row_multipass_kernelILj256ELj16ELj4E21rocsparse_complex_numIfEliEEv20rocsparse_direction_T4_S4_S4_S4_S4_21rocsparse_index_base_PKT2_PKT3_PKS4_S5_PS6_PS9_PS4_,"axG",@progbits,_ZN9rocsparseL42csr2bsr_wavefront_per_row_multipass_kernelILj256ELj16ELj4E21rocsparse_complex_numIfEliEEv20rocsparse_direction_T4_S4_S4_S4_S4_21rocsparse_index_base_PKT2_PKT3_PKS4_S5_PS6_PS9_PS4_,comdat
.Lfunc_end82:
	.size	_ZN9rocsparseL42csr2bsr_wavefront_per_row_multipass_kernelILj256ELj16ELj4E21rocsparse_complex_numIfEliEEv20rocsparse_direction_T4_S4_S4_S4_S4_21rocsparse_index_base_PKT2_PKT3_PKS4_S5_PS6_PS9_PS4_, .Lfunc_end82-_ZN9rocsparseL42csr2bsr_wavefront_per_row_multipass_kernelILj256ELj16ELj4E21rocsparse_complex_numIfEliEEv20rocsparse_direction_T4_S4_S4_S4_S4_21rocsparse_index_base_PKT2_PKT3_PKS4_S5_PS6_PS9_PS4_
                                        ; -- End function
	.section	.AMDGPU.csdata,"",@progbits
; Kernel info:
; codeLenInByte = 1232
; NumSgprs: 32
; NumVgprs: 34
; NumAgprs: 0
; TotalNumVgprs: 34
; ScratchSize: 0
; MemoryBound: 0
; FloatMode: 240
; IeeeMode: 1
; LDSByteSize: 2064 bytes/workgroup (compile time only)
; SGPRBlocks: 3
; VGPRBlocks: 4
; NumSGPRsForWavesPerEU: 32
; NumVGPRsForWavesPerEU: 34
; AccumOffset: 36
; Occupancy: 8
; WaveLimiterHint : 0
; COMPUTE_PGM_RSRC2:SCRATCH_EN: 0
; COMPUTE_PGM_RSRC2:USER_SGPR: 2
; COMPUTE_PGM_RSRC2:TRAP_HANDLER: 0
; COMPUTE_PGM_RSRC2:TGID_X_EN: 1
; COMPUTE_PGM_RSRC2:TGID_Y_EN: 0
; COMPUTE_PGM_RSRC2:TGID_Z_EN: 0
; COMPUTE_PGM_RSRC2:TIDIG_COMP_CNT: 0
; COMPUTE_PGM_RSRC3_GFX90A:ACCUM_OFFSET: 8
; COMPUTE_PGM_RSRC3_GFX90A:TG_SPLIT: 0
	.section	.text._ZN9rocsparseL42csr2bsr_wavefront_per_row_multipass_kernelILj256ELj64ELj8E21rocsparse_complex_numIfEliEEv20rocsparse_direction_T4_S4_S4_S4_S4_21rocsparse_index_base_PKT2_PKT3_PKS4_S5_PS6_PS9_PS4_,"axG",@progbits,_ZN9rocsparseL42csr2bsr_wavefront_per_row_multipass_kernelILj256ELj64ELj8E21rocsparse_complex_numIfEliEEv20rocsparse_direction_T4_S4_S4_S4_S4_21rocsparse_index_base_PKT2_PKT3_PKS4_S5_PS6_PS9_PS4_,comdat
	.globl	_ZN9rocsparseL42csr2bsr_wavefront_per_row_multipass_kernelILj256ELj64ELj8E21rocsparse_complex_numIfEliEEv20rocsparse_direction_T4_S4_S4_S4_S4_21rocsparse_index_base_PKT2_PKT3_PKS4_S5_PS6_PS9_PS4_ ; -- Begin function _ZN9rocsparseL42csr2bsr_wavefront_per_row_multipass_kernelILj256ELj64ELj8E21rocsparse_complex_numIfEliEEv20rocsparse_direction_T4_S4_S4_S4_S4_21rocsparse_index_base_PKT2_PKT3_PKS4_S5_PS6_PS9_PS4_
	.p2align	8
	.type	_ZN9rocsparseL42csr2bsr_wavefront_per_row_multipass_kernelILj256ELj64ELj8E21rocsparse_complex_numIfEliEEv20rocsparse_direction_T4_S4_S4_S4_S4_21rocsparse_index_base_PKT2_PKT3_PKS4_S5_PS6_PS9_PS4_,@function
_ZN9rocsparseL42csr2bsr_wavefront_per_row_multipass_kernelILj256ELj64ELj8E21rocsparse_complex_numIfEliEEv20rocsparse_direction_T4_S4_S4_S4_S4_21rocsparse_index_base_PKT2_PKT3_PKS4_S5_PS6_PS9_PS4_: ; @_ZN9rocsparseL42csr2bsr_wavefront_per_row_multipass_kernelILj256ELj64ELj8E21rocsparse_complex_numIfEliEEv20rocsparse_direction_T4_S4_S4_S4_S4_21rocsparse_index_base_PKT2_PKT3_PKS4_S5_PS6_PS9_PS4_
; %bb.0:
	s_load_dwordx2 s[14:15], s[0:1], 0x0
	s_load_dwordx4 s[4:7], s[0:1], 0xc
	s_load_dwordx2 s[8:9], s[0:1], 0x28
	v_lshrrev_b32_e32 v24, 6, v0
	v_bfe_u32 v8, v0, 3, 3
	v_lshl_or_b32 v6, s2, 2, v24
	s_waitcnt lgkmcnt(0)
	v_mad_u64_u32 v[4:5], s[2:3], v6, s6, v[8:9]
	v_cmp_gt_i32_e64 s[2:3], s15, v4
	v_cmp_gt_i32_e32 vcc, s6, v8
	v_mov_b64_e32 v[2:3], 0
	s_and_b64 s[10:11], vcc, s[2:3]
	v_mov_b64_e32 v[10:11], v[2:3]
	s_and_saveexec_b64 s[12:13], s[10:11]
	s_cbranch_execz .LBB83_2
; %bb.1:
	v_ashrrev_i32_e32 v5, 31, v4
	v_lshl_add_u64 v[10:11], v[4:5], 3, s[8:9]
	global_load_dwordx2 v[10:11], v[10:11], off
	s_waitcnt vmcnt(0)
	v_subrev_co_u32_e64 v10, s[2:3], s7, v10
	s_nop 1
	v_subbrev_co_u32_e64 v11, s[2:3], 0, v11, s[2:3]
.LBB83_2:
	s_or_b64 exec, exec, s[12:13]
	s_and_saveexec_b64 s[12:13], s[10:11]
	s_cbranch_execz .LBB83_4
; %bb.3:
	v_ashrrev_i32_e32 v5, 31, v4
	v_lshl_add_u64 v[2:3], v[4:5], 3, s[8:9]
	global_load_dwordx2 v[2:3], v[2:3], off offset:8
	s_waitcnt vmcnt(0)
	v_subrev_co_u32_e64 v2, s[2:3], s7, v2
	s_nop 1
	v_subbrev_co_u32_e64 v3, s[2:3], 0, v3, s[2:3]
.LBB83_4:
	s_or_b64 exec, exec, s[12:13]
	s_load_dword s20, s[0:1], 0x38
	v_cmp_gt_i32_e64 s[2:3], s4, v6
	v_mov_b64_e32 v[4:5], 0
	s_and_saveexec_b64 s[8:9], s[2:3]
	s_cbranch_execz .LBB83_6
; %bb.5:
	s_load_dwordx2 s[2:3], s[0:1], 0x48
	v_ashrrev_i32_e32 v7, 31, v6
	s_waitcnt lgkmcnt(0)
	v_lshl_add_u64 v[4:5], v[6:7], 3, s[2:3]
	global_load_dwordx2 v[4:5], v[4:5], off
	s_waitcnt vmcnt(0)
	v_subrev_co_u32_e64 v4, s[2:3], s20, v4
	s_nop 1
	v_subbrev_co_u32_e64 v5, s[2:3], 0, v5, s[2:3]
.LBB83_6:
	s_or_b64 exec, exec, s[8:9]
	s_cmp_lt_i32 s5, 1
	s_cbranch_scc1 .LBB83_21
; %bb.7:
	s_load_dwordx2 s[2:3], s[0:1], 0x20
	s_load_dwordx2 s[8:9], s[0:1], 0x50
	;; [unrolled: 1-line block ×4, first 2 shown]
	v_lshlrev_b32_e32 v12, 3, v8
	s_movk_i32 s0, 0xc0
	v_and_b32_e32 v6, 7, v0
	v_and_or_b32 v25, v0, s0, v12
	v_or_b32_e32 v0, v25, v6
	v_lshlrev_b32_e32 v26, 3, v0
	v_mov_b32_e32 v7, 0
	v_mbcnt_lo_u32_b32 v0, -1, 0
	v_cmp_gt_u32_e64 s[0:1], s6, v6
	v_mbcnt_hi_u32_b32 v14, -1, v0
	s_and_b64 s[12:13], vcc, s[0:1]
	v_mul_lo_u32 v0, v6, s6
	v_mov_b32_e32 v1, v7
	s_cmp_eq_u32 s14, 0
	s_waitcnt lgkmcnt(0)
	v_lshl_add_u64 v[0:1], v[0:1], 3, s[16:17]
	v_mov_b32_e32 v13, v7
	v_mul_lo_u32 v8, v8, s6
	v_mov_b32_e32 v9, v7
	v_lshl_add_u64 v[0:1], v[0:1], 0, v[12:13]
	v_lshl_add_u64 v[8:9], v[8:9], 3, s[16:17]
	v_lshlrev_b32_e32 v12, 3, v6
	s_cselect_b64 vcc, -1, 0
	s_abs_i32 s4, s6
	v_lshl_add_u64 v[8:9], v[8:9], 0, v[12:13]
	v_cvt_f32_u32_e32 v12, s4
	v_cndmask_b32_e32 v1, v1, v9, vcc
	s_sub_i32 s0, 0, s4
	v_cndmask_b32_e32 v0, v0, v8, vcc
	v_rcp_iflag_f32_e32 v12, v12
	v_lshlrev_b32_e32 v13, 2, v14
	v_or_b32_e32 v27, 28, v13
	s_mul_hi_u32 s21, s6, s6
	v_mul_f32_e32 v9, 0x4f7ffffe, v12
	v_cvt_u32_f32_e32 v9, v9
	s_mul_i32 s22, s6, s6
	v_or_b32_e32 v28, 0xfc, v13
	s_ashr_i32 s23, s6, 31
	v_mul_lo_u32 v8, s0, v9
	v_mul_hi_u32 v8, v9, v8
	v_add_u32_e32 v29, v9, v8
	s_mov_b64 s[14:15], 0
	v_mov_b64_e32 v[12:13], 0
	v_mov_b32_e32 v8, v7
	v_mov_b32_e32 v9, v7
	;; [unrolled: 1-line block ×3, first 2 shown]
	s_branch .LBB83_10
.LBB83_8:                               ;   in Loop: Header=BB83_10 Depth=1
	s_or_b64 exec, exec, s[16:17]
	v_mov_b64_e32 v[14:15], 1
.LBB83_9:                               ;   in Loop: Header=BB83_10 Depth=1
	s_or_b64 exec, exec, s[0:1]
	v_mov_b32_dpp v12, v31 row_shr:1 row_mask:0xf bank_mask:0xf
	v_min_i32_e32 v12, v12, v31
	v_lshl_add_u64 v[4:5], v[14:15], 0, v[4:5]
	s_waitcnt lgkmcnt(0)
	v_mov_b32_dpp v13, v12 row_shr:2 row_mask:0xf bank_mask:0xf
	v_min_i32_e32 v12, v13, v12
	s_nop 1
	v_mov_b32_dpp v13, v12 row_shr:4 row_mask:0xf bank_mask:0xe
	v_min_i32_e32 v12, v13, v12
	s_nop 1
	;; [unrolled: 3-line block ×3, first 2 shown]
	v_mov_b32_dpp v13, v12 row_bcast:15 row_mask:0xa bank_mask:0xf
	v_min_i32_e32 v12, v13, v12
	s_nop 1
	v_mov_b32_dpp v13, v12 row_bcast:31 row_mask:0xc bank_mask:0xf
	v_min_i32_e32 v12, v13, v12
	ds_bpermute_b32 v12, v28, v12
	s_waitcnt lgkmcnt(0)
	v_cmp_le_i32_e32 vcc, s5, v12
	v_ashrrev_i32_e32 v13, 31, v12
	s_or_b64 s[14:15], vcc, s[14:15]
	s_andn2_b64 exec, exec, s[14:15]
	s_cbranch_execz .LBB83_21
.LBB83_10:                              ; =>This Loop Header: Depth=1
                                        ;     Child Loop BB83_13 Depth 2
	v_lshl_add_u64 v[10:11], v[10:11], 0, v[6:7]
	v_cmp_lt_i64_e32 vcc, v[10:11], v[2:3]
	v_mov_b32_e32 v31, s5
	v_mov_b64_e32 v[18:19], v[2:3]
	ds_write_b8 v24, v7 offset:2048
	ds_write_b64 v26, v[8:9]
	s_waitcnt lgkmcnt(0)
	s_and_saveexec_b64 s[16:17], vcc
	s_cbranch_execz .LBB83_18
; %bb.11:                               ;   in Loop: Header=BB83_10 Depth=1
	v_lshl_add_u64 v[14:15], v[10:11], 3, s[2:3]
	v_lshl_add_u64 v[16:17], v[10:11], 2, s[10:11]
	s_mov_b64 s[18:19], 0
	v_mov_b32_e32 v31, s5
	v_mov_b64_e32 v[18:19], v[2:3]
	s_branch .LBB83_13
.LBB83_12:                              ;   in Loop: Header=BB83_13 Depth=2
	s_or_b64 exec, exec, s[0:1]
	v_lshl_add_u64 v[10:11], v[10:11], 0, 8
	v_cmp_ge_i64_e64 s[0:1], v[10:11], v[2:3]
	s_xor_b64 s[24:25], vcc, -1
	s_or_b64 s[0:1], s[24:25], s[0:1]
	s_and_b64 s[0:1], exec, s[0:1]
	v_lshl_add_u64 v[14:15], v[14:15], 0, 64
	s_or_b64 s[18:19], s[0:1], s[18:19]
	v_lshl_add_u64 v[16:17], v[16:17], 0, 32
	s_andn2_b64 exec, exec, s[18:19]
	s_cbranch_execz .LBB83_17
.LBB83_13:                              ;   Parent Loop BB83_10 Depth=1
                                        ; =>  This Inner Loop Header: Depth=2
	global_load_dword v20, v[16:17], off
	s_waitcnt vmcnt(0)
	v_subrev_u32_e32 v32, s7, v20
	v_sub_u32_e32 v21, 0, v32
	v_max_i32_e32 v21, v32, v21
	v_mul_hi_u32 v22, v21, v29
	v_mul_lo_u32 v23, v22, s4
	v_sub_u32_e32 v21, v21, v23
	v_add_u32_e32 v33, 1, v22
	v_cmp_le_u32_e32 vcc, s4, v21
	v_subrev_u32_e32 v23, s4, v21
	v_ashrrev_i32_e32 v20, 31, v32
	v_cndmask_b32_e32 v22, v22, v33, vcc
	v_cndmask_b32_e32 v21, v21, v23, vcc
	v_add_u32_e32 v23, 1, v22
	v_cmp_le_u32_e32 vcc, s4, v21
	v_xor_b32_e32 v20, s23, v20
	s_nop 0
	v_cndmask_b32_e32 v21, v22, v23, vcc
	v_xor_b32_e32 v21, v21, v20
	v_sub_u32_e32 v20, v21, v20
	v_ashrrev_i32_e32 v21, 31, v20
	v_cmp_eq_u64_e32 vcc, v[12:13], v[20:21]
	v_cmp_ne_u64_e64 s[0:1], v[12:13], v[20:21]
	v_mov_b64_e32 v[22:23], v[18:19]
	s_and_saveexec_b64 s[24:25], s[0:1]
	s_xor_b64 s[0:1], exec, s[24:25]
; %bb.14:                               ;   in Loop: Header=BB83_13 Depth=2
	v_min_i32_e32 v31, v20, v31
                                        ; implicit-def: $vgpr20
                                        ; implicit-def: $vgpr32
                                        ; implicit-def: $vgpr22_vgpr23
; %bb.15:                               ;   in Loop: Header=BB83_13 Depth=2
	s_or_saveexec_b64 s[0:1], s[0:1]
	v_mov_b64_e32 v[18:19], v[10:11]
	s_xor_b64 exec, exec, s[0:1]
	s_cbranch_execz .LBB83_12
; %bb.16:                               ;   in Loop: Header=BB83_13 Depth=2
	global_load_dwordx2 v[18:19], v[14:15], off
	v_mul_lo_u32 v20, v20, s6
	v_sub_u32_e32 v20, v32, v20
	v_add_lshl_u32 v20, v20, v25, 3
	ds_write_b8 v24, v30 offset:2048
	s_waitcnt vmcnt(0)
	ds_write_b64 v20, v[18:19]
	v_mov_b64_e32 v[18:19], v[22:23]
	s_branch .LBB83_12
.LBB83_17:                              ;   in Loop: Header=BB83_10 Depth=1
	s_or_b64 exec, exec, s[18:19]
.LBB83_18:                              ;   in Loop: Header=BB83_10 Depth=1
	s_or_b64 exec, exec, s[16:17]
	v_mov_b32_dpp v10, v18 row_shr:1 row_mask:0xf bank_mask:0xf
	v_mov_b32_dpp v11, v19 row_shr:1 row_mask:0xf bank_mask:0xf
	v_cmp_lt_i64_e32 vcc, v[10:11], v[18:19]
	s_waitcnt lgkmcnt(0)
	ds_read_u8 v13, v24 offset:2048
	v_cndmask_b32_e32 v11, v19, v11, vcc
	v_cndmask_b32_e32 v10, v18, v10, vcc
	s_waitcnt lgkmcnt(0)
	v_and_b32_e32 v13, 1, v13
	v_mov_b32_dpp v14, v10 row_shr:2 row_mask:0xf bank_mask:0xf
	v_mov_b32_dpp v15, v11 row_shr:2 row_mask:0xf bank_mask:0xf
	v_cmp_lt_i64_e32 vcc, v[14:15], v[10:11]
	s_nop 1
	v_cndmask_b32_e32 v11, v11, v15, vcc
	v_cndmask_b32_e32 v10, v10, v14, vcc
	s_nop 0
	v_mov_b32_dpp v15, v11 row_shr:4 row_mask:0xf bank_mask:0xe
	v_mov_b32_dpp v14, v10 row_shr:4 row_mask:0xf bank_mask:0xe
	v_cmp_lt_i64_e32 vcc, v[14:15], v[10:11]
	s_nop 1
	v_cndmask_b32_e32 v11, v11, v15, vcc
	v_cndmask_b32_e32 v10, v10, v14, vcc
	ds_bpermute_b32 v10, v27, v10
	ds_bpermute_b32 v11, v27, v11
	v_cmp_eq_u32_e32 vcc, 1, v13
	v_mov_b64_e32 v[14:15], 0
	s_and_saveexec_b64 s[0:1], vcc
	s_cbranch_execz .LBB83_9
; %bb.19:                               ;   in Loop: Header=BB83_10 Depth=1
	v_add_u32_e32 v14, s20, v12
	v_lshl_add_u64 v[12:13], v[4:5], 2, s[8:9]
	global_store_dword v[12:13], v14, off
	s_and_saveexec_b64 s[16:17], s[12:13]
	s_cbranch_execz .LBB83_8
; %bb.20:                               ;   in Loop: Header=BB83_10 Depth=1
	ds_read_b64 v[12:13], v26
	v_mul_lo_u32 v16, s21, v4
	v_mul_lo_u32 v17, s22, v5
	v_mad_u64_u32 v[14:15], s[18:19], s22, v4, 0
	v_add3_u32 v15, v15, v17, v16
	v_lshl_add_u64 v[14:15], v[14:15], 3, v[0:1]
	s_waitcnt lgkmcnt(0)
	global_store_dwordx2 v[14:15], v[12:13], off
	s_branch .LBB83_8
.LBB83_21:
	s_endpgm
	.section	.rodata,"a",@progbits
	.p2align	6, 0x0
	.amdhsa_kernel _ZN9rocsparseL42csr2bsr_wavefront_per_row_multipass_kernelILj256ELj64ELj8E21rocsparse_complex_numIfEliEEv20rocsparse_direction_T4_S4_S4_S4_S4_21rocsparse_index_base_PKT2_PKT3_PKS4_S5_PS6_PS9_PS4_
		.amdhsa_group_segment_fixed_size 2052
		.amdhsa_private_segment_fixed_size 0
		.amdhsa_kernarg_size 88
		.amdhsa_user_sgpr_count 2
		.amdhsa_user_sgpr_dispatch_ptr 0
		.amdhsa_user_sgpr_queue_ptr 0
		.amdhsa_user_sgpr_kernarg_segment_ptr 1
		.amdhsa_user_sgpr_dispatch_id 0
		.amdhsa_user_sgpr_kernarg_preload_length 0
		.amdhsa_user_sgpr_kernarg_preload_offset 0
		.amdhsa_user_sgpr_private_segment_size 0
		.amdhsa_uses_dynamic_stack 0
		.amdhsa_enable_private_segment 0
		.amdhsa_system_sgpr_workgroup_id_x 1
		.amdhsa_system_sgpr_workgroup_id_y 0
		.amdhsa_system_sgpr_workgroup_id_z 0
		.amdhsa_system_sgpr_workgroup_info 0
		.amdhsa_system_vgpr_workitem_id 0
		.amdhsa_next_free_vgpr 34
		.amdhsa_next_free_sgpr 26
		.amdhsa_accum_offset 36
		.amdhsa_reserve_vcc 1
		.amdhsa_float_round_mode_32 0
		.amdhsa_float_round_mode_16_64 0
		.amdhsa_float_denorm_mode_32 3
		.amdhsa_float_denorm_mode_16_64 3
		.amdhsa_dx10_clamp 1
		.amdhsa_ieee_mode 1
		.amdhsa_fp16_overflow 0
		.amdhsa_tg_split 0
		.amdhsa_exception_fp_ieee_invalid_op 0
		.amdhsa_exception_fp_denorm_src 0
		.amdhsa_exception_fp_ieee_div_zero 0
		.amdhsa_exception_fp_ieee_overflow 0
		.amdhsa_exception_fp_ieee_underflow 0
		.amdhsa_exception_fp_ieee_inexact 0
		.amdhsa_exception_int_div_zero 0
	.end_amdhsa_kernel
	.section	.text._ZN9rocsparseL42csr2bsr_wavefront_per_row_multipass_kernelILj256ELj64ELj8E21rocsparse_complex_numIfEliEEv20rocsparse_direction_T4_S4_S4_S4_S4_21rocsparse_index_base_PKT2_PKT3_PKS4_S5_PS6_PS9_PS4_,"axG",@progbits,_ZN9rocsparseL42csr2bsr_wavefront_per_row_multipass_kernelILj256ELj64ELj8E21rocsparse_complex_numIfEliEEv20rocsparse_direction_T4_S4_S4_S4_S4_21rocsparse_index_base_PKT2_PKT3_PKS4_S5_PS6_PS9_PS4_,comdat
.Lfunc_end83:
	.size	_ZN9rocsparseL42csr2bsr_wavefront_per_row_multipass_kernelILj256ELj64ELj8E21rocsparse_complex_numIfEliEEv20rocsparse_direction_T4_S4_S4_S4_S4_21rocsparse_index_base_PKT2_PKT3_PKS4_S5_PS6_PS9_PS4_, .Lfunc_end83-_ZN9rocsparseL42csr2bsr_wavefront_per_row_multipass_kernelILj256ELj64ELj8E21rocsparse_complex_numIfEliEEv20rocsparse_direction_T4_S4_S4_S4_S4_21rocsparse_index_base_PKT2_PKT3_PKS4_S5_PS6_PS9_PS4_
                                        ; -- End function
	.section	.AMDGPU.csdata,"",@progbits
; Kernel info:
; codeLenInByte = 1300
; NumSgprs: 32
; NumVgprs: 34
; NumAgprs: 0
; TotalNumVgprs: 34
; ScratchSize: 0
; MemoryBound: 0
; FloatMode: 240
; IeeeMode: 1
; LDSByteSize: 2052 bytes/workgroup (compile time only)
; SGPRBlocks: 3
; VGPRBlocks: 4
; NumSGPRsForWavesPerEU: 32
; NumVGPRsForWavesPerEU: 34
; AccumOffset: 36
; Occupancy: 8
; WaveLimiterHint : 0
; COMPUTE_PGM_RSRC2:SCRATCH_EN: 0
; COMPUTE_PGM_RSRC2:USER_SGPR: 2
; COMPUTE_PGM_RSRC2:TRAP_HANDLER: 0
; COMPUTE_PGM_RSRC2:TGID_X_EN: 1
; COMPUTE_PGM_RSRC2:TGID_Y_EN: 0
; COMPUTE_PGM_RSRC2:TGID_Z_EN: 0
; COMPUTE_PGM_RSRC2:TIDIG_COMP_CNT: 0
; COMPUTE_PGM_RSRC3_GFX90A:ACCUM_OFFSET: 8
; COMPUTE_PGM_RSRC3_GFX90A:TG_SPLIT: 0
	.section	.text._ZN9rocsparseL42csr2bsr_wavefront_per_row_multipass_kernelILj256ELj32ELj8E21rocsparse_complex_numIfEliEEv20rocsparse_direction_T4_S4_S4_S4_S4_21rocsparse_index_base_PKT2_PKT3_PKS4_S5_PS6_PS9_PS4_,"axG",@progbits,_ZN9rocsparseL42csr2bsr_wavefront_per_row_multipass_kernelILj256ELj32ELj8E21rocsparse_complex_numIfEliEEv20rocsparse_direction_T4_S4_S4_S4_S4_21rocsparse_index_base_PKT2_PKT3_PKS4_S5_PS6_PS9_PS4_,comdat
	.globl	_ZN9rocsparseL42csr2bsr_wavefront_per_row_multipass_kernelILj256ELj32ELj8E21rocsparse_complex_numIfEliEEv20rocsparse_direction_T4_S4_S4_S4_S4_21rocsparse_index_base_PKT2_PKT3_PKS4_S5_PS6_PS9_PS4_ ; -- Begin function _ZN9rocsparseL42csr2bsr_wavefront_per_row_multipass_kernelILj256ELj32ELj8E21rocsparse_complex_numIfEliEEv20rocsparse_direction_T4_S4_S4_S4_S4_21rocsparse_index_base_PKT2_PKT3_PKS4_S5_PS6_PS9_PS4_
	.p2align	8
	.type	_ZN9rocsparseL42csr2bsr_wavefront_per_row_multipass_kernelILj256ELj32ELj8E21rocsparse_complex_numIfEliEEv20rocsparse_direction_T4_S4_S4_S4_S4_21rocsparse_index_base_PKT2_PKT3_PKS4_S5_PS6_PS9_PS4_,@function
_ZN9rocsparseL42csr2bsr_wavefront_per_row_multipass_kernelILj256ELj32ELj8E21rocsparse_complex_numIfEliEEv20rocsparse_direction_T4_S4_S4_S4_S4_21rocsparse_index_base_PKT2_PKT3_PKS4_S5_PS6_PS9_PS4_: ; @_ZN9rocsparseL42csr2bsr_wavefront_per_row_multipass_kernelILj256ELj32ELj8E21rocsparse_complex_numIfEliEEv20rocsparse_direction_T4_S4_S4_S4_S4_21rocsparse_index_base_PKT2_PKT3_PKS4_S5_PS6_PS9_PS4_
; %bb.0:
	s_load_dwordx2 s[4:5], s[0:1], 0x0
	s_load_dwordx4 s[8:11], s[0:1], 0xc
	s_load_dwordx2 s[6:7], s[0:1], 0x28
	v_lshrrev_b32_e32 v32, 5, v0
	v_bfe_u32 v10, v0, 2, 3
	v_lshl_or_b32 v6, s2, 3, v32
	s_waitcnt lgkmcnt(0)
	v_mad_u64_u32 v[4:5], s[2:3], v6, s10, v[10:11]
	v_cmp_gt_i32_e32 vcc, s5, v4
	v_cmp_gt_i32_e64 s[2:3], s10, v10
	v_mov_b64_e32 v[2:3], 0
	s_and_b64 s[12:13], s[2:3], vcc
	v_mov_b64_e32 v[18:19], v[2:3]
	s_and_saveexec_b64 s[14:15], s[12:13]
	s_cbranch_execz .LBB84_2
; %bb.1:
	v_ashrrev_i32_e32 v5, 31, v4
	v_lshl_add_u64 v[8:9], v[4:5], 3, s[6:7]
	global_load_dwordx2 v[8:9], v[8:9], off
	s_waitcnt vmcnt(0)
	v_subrev_co_u32_e32 v18, vcc, s11, v8
	s_nop 1
	v_subbrev_co_u32_e32 v19, vcc, 0, v9, vcc
.LBB84_2:
	s_or_b64 exec, exec, s[14:15]
	s_and_saveexec_b64 s[14:15], s[12:13]
	s_cbranch_execz .LBB84_4
; %bb.3:
	v_ashrrev_i32_e32 v5, 31, v4
	v_lshl_add_u64 v[2:3], v[4:5], 3, s[6:7]
	global_load_dwordx2 v[2:3], v[2:3], off offset:8
	s_waitcnt vmcnt(0)
	v_subrev_co_u32_e32 v2, vcc, s11, v2
	s_nop 1
	v_subbrev_co_u32_e32 v3, vcc, 0, v3, vcc
.LBB84_4:
	s_or_b64 exec, exec, s[14:15]
	s_load_dword s24, s[0:1], 0x38
	v_cmp_gt_i32_e32 vcc, s8, v6
	v_mov_b64_e32 v[4:5], 0
	s_and_saveexec_b64 s[6:7], vcc
	s_cbranch_execz .LBB84_6
; %bb.5:
	s_load_dwordx2 s[12:13], s[0:1], 0x48
	v_ashrrev_i32_e32 v7, 31, v6
	s_waitcnt lgkmcnt(0)
	v_lshl_add_u64 v[4:5], v[6:7], 3, s[12:13]
	global_load_dwordx2 v[4:5], v[4:5], off
	s_waitcnt vmcnt(0)
	v_subrev_co_u32_e32 v4, vcc, s24, v4
	s_nop 1
	v_subbrev_co_u32_e32 v5, vcc, 0, v5, vcc
.LBB84_6:
	s_or_b64 exec, exec, s[6:7]
	s_cmp_lt_i32 s9, 1
	s_cbranch_scc1 .LBB84_23
; %bb.7:
	s_load_dwordx2 s[6:7], s[0:1], 0x20
	s_load_dwordx2 s[12:13], s[0:1], 0x50
	;; [unrolled: 1-line block ×4, first 2 shown]
	v_mbcnt_lo_u32_b32 v8, -1, 0
	v_lshlrev_b32_e32 v6, 3, v10
	v_mov_b32_e32 v7, 0
	v_mbcnt_hi_u32_b32 v8, -1, v8
	v_and_b32_e32 v0, 3, v0
	v_lshl_or_b32 v33, v32, 6, v6
	v_lshlrev_b32_e32 v12, 2, v8
	s_cmp_eq_u32 s4, 0
	s_waitcnt lgkmcnt(0)
	v_lshl_add_u64 v[8:9], s[16:17], 0, v[6:7]
	v_mul_lo_u32 v6, v10, s10
	s_cselect_b64 vcc, -1, 0
	v_lshl_add_u64 v[10:11], v[6:7], 3, s[16:17]
	v_or_b32_e32 v6, v33, v0
	s_abs_i32 s26, s10
	v_lshlrev_b32_e32 v36, 3, v6
	v_cvt_f32_u32_e32 v6, s26
	v_cmp_gt_u32_e64 s[0:1], s10, v0
	s_and_b64 s[16:17], s[0:1], s[2:3]
	s_sub_i32 s0, 0, s26
	v_rcp_iflag_f32_e32 v6, v6
	s_mov_b32 s20, 0
	v_or_b32_e32 v14, 4, v0
	v_or_b32_e32 v34, 12, v12
	v_mul_f32_e32 v6, 0x4f7ffffe, v6
	v_cvt_u32_f32_e32 v6, v6
	v_or_b32_e32 v35, 0x7c, v12
	v_mul_lo_u32 v12, v0, s10
	v_cmp_gt_u32_e64 s[4:5], s10, v14
	v_mul_lo_u32 v16, s0, v6
	v_mul_hi_u32 v16, v6, v16
	s_mov_b32 s21, s20
	v_mov_b32_e32 v1, v7
	s_mul_hi_u32 s8, s10, s10
	s_mul_i32 s25, s10, s10
	v_mov_b32_e32 v13, v7
	v_lshl_add_u32 v14, s10, 2, v12
	v_mov_b32_e32 v15, v7
	s_and_b64 s[4:5], s[2:3], s[4:5]
	s_ashr_i32 s27, s10, 31
	v_add_u32_e32 v37, v6, v16
	s_mov_b64 s[18:19], 0
	v_mov_b64_e32 v[20:21], 0
	v_mov_b64_e32 v[16:17], s[20:21]
	v_mov_b32_e32 v38, 1
	s_branch .LBB84_10
.LBB84_8:                               ;   in Loop: Header=BB84_10 Depth=1
	s_or_b64 exec, exec, s[0:1]
	v_mov_b64_e32 v[22:23], 1
.LBB84_9:                               ;   in Loop: Header=BB84_10 Depth=1
	s_or_b64 exec, exec, s[2:3]
	v_mov_b32_dpp v6, v39 row_shr:1 row_mask:0xf bank_mask:0xf
	v_min_i32_e32 v6, v6, v39
	v_lshl_add_u64 v[4:5], v[22:23], 0, v[4:5]
	s_waitcnt lgkmcnt(0)
	v_mov_b32_dpp v20, v6 row_shr:2 row_mask:0xf bank_mask:0xf
	v_min_i32_e32 v6, v20, v6
	s_nop 1
	v_mov_b32_dpp v20, v6 row_shr:4 row_mask:0xf bank_mask:0xe
	v_min_i32_e32 v6, v20, v6
	s_nop 1
	;; [unrolled: 3-line block ×3, first 2 shown]
	v_mov_b32_dpp v20, v6 row_bcast:15 row_mask:0xa bank_mask:0xf
	v_min_i32_e32 v6, v20, v6
	ds_bpermute_b32 v20, v35, v6
	s_waitcnt lgkmcnt(0)
	v_cmp_le_i32_e64 s[0:1], s9, v20
	v_ashrrev_i32_e32 v21, 31, v20
	s_or_b64 s[18:19], s[0:1], s[18:19]
	s_andn2_b64 exec, exec, s[18:19]
	s_cbranch_execz .LBB84_23
.LBB84_10:                              ; =>This Loop Header: Depth=1
                                        ;     Child Loop BB84_13 Depth 2
	v_lshl_add_u64 v[18:19], v[18:19], 0, v[0:1]
	v_cmp_lt_i64_e64 s[0:1], v[18:19], v[2:3]
	v_mov_b32_e32 v39, s9
	v_mov_b64_e32 v[26:27], v[2:3]
	ds_write_b8 v32, v7 offset:4096
	ds_write2_b64 v36, v[16:17], v[16:17] offset1:4
	s_waitcnt lgkmcnt(0)
	s_and_saveexec_b64 s[20:21], s[0:1]
	s_cbranch_execz .LBB84_18
; %bb.11:                               ;   in Loop: Header=BB84_10 Depth=1
	v_lshl_add_u64 v[22:23], v[18:19], 3, s[6:7]
	v_lshl_add_u64 v[24:25], v[18:19], 2, s[14:15]
	s_mov_b64 s[22:23], 0
	v_mov_b32_e32 v39, s9
	v_mov_b64_e32 v[26:27], v[2:3]
	s_branch .LBB84_13
.LBB84_12:                              ;   in Loop: Header=BB84_13 Depth=2
	s_or_b64 exec, exec, s[2:3]
	v_lshl_add_u64 v[18:19], v[18:19], 0, 4
	v_cmp_ge_i64_e64 s[2:3], v[18:19], v[2:3]
	s_xor_b64 s[0:1], s[0:1], -1
	s_or_b64 s[0:1], s[0:1], s[2:3]
	s_and_b64 s[0:1], exec, s[0:1]
	v_lshl_add_u64 v[22:23], v[22:23], 0, 32
	s_or_b64 s[22:23], s[0:1], s[22:23]
	v_lshl_add_u64 v[24:25], v[24:25], 0, 16
	s_andn2_b64 exec, exec, s[22:23]
	s_cbranch_execz .LBB84_17
.LBB84_13:                              ;   Parent Loop BB84_10 Depth=1
                                        ; =>  This Inner Loop Header: Depth=2
	global_load_dword v6, v[24:25], off
	s_waitcnt vmcnt(0)
	v_subrev_u32_e32 v6, s11, v6
	v_sub_u32_e32 v29, 0, v6
	v_max_i32_e32 v29, v6, v29
	v_mul_hi_u32 v30, v29, v37
	v_mul_lo_u32 v31, v30, s26
	v_sub_u32_e32 v29, v29, v31
	v_add_u32_e32 v40, 1, v30
	v_cmp_le_u32_e64 s[0:1], s26, v29
	v_subrev_u32_e32 v31, s26, v29
	v_ashrrev_i32_e32 v28, 31, v6
	v_cndmask_b32_e64 v30, v30, v40, s[0:1]
	v_cndmask_b32_e64 v29, v29, v31, s[0:1]
	v_add_u32_e32 v31, 1, v30
	v_cmp_le_u32_e64 s[0:1], s26, v29
	v_xor_b32_e32 v28, s27, v28
	s_nop 0
	v_cndmask_b32_e64 v29, v30, v31, s[0:1]
	v_xor_b32_e32 v29, v29, v28
	v_sub_u32_e32 v28, v29, v28
	v_ashrrev_i32_e32 v29, 31, v28
	v_cmp_eq_u64_e64 s[0:1], v[20:21], v[28:29]
	v_cmp_ne_u64_e64 s[2:3], v[20:21], v[28:29]
	v_mov_b64_e32 v[30:31], v[26:27]
	s_and_saveexec_b64 s[28:29], s[2:3]
	s_xor_b64 s[2:3], exec, s[28:29]
; %bb.14:                               ;   in Loop: Header=BB84_13 Depth=2
	v_min_i32_e32 v39, v28, v39
                                        ; implicit-def: $vgpr28
                                        ; implicit-def: $vgpr6
                                        ; implicit-def: $vgpr30_vgpr31
; %bb.15:                               ;   in Loop: Header=BB84_13 Depth=2
	s_or_saveexec_b64 s[2:3], s[2:3]
	v_mov_b64_e32 v[26:27], v[18:19]
	s_xor_b64 exec, exec, s[2:3]
	s_cbranch_execz .LBB84_12
; %bb.16:                               ;   in Loop: Header=BB84_13 Depth=2
	global_load_dwordx2 v[26:27], v[22:23], off
	v_mul_lo_u32 v28, v28, s10
	v_sub_u32_e32 v6, v6, v28
	v_add_lshl_u32 v6, v33, v6, 3
	ds_write_b8 v32, v38 offset:4096
	s_waitcnt vmcnt(0)
	ds_write_b64 v6, v[26:27]
	v_mov_b64_e32 v[26:27], v[30:31]
	s_branch .LBB84_12
.LBB84_17:                              ;   in Loop: Header=BB84_10 Depth=1
	s_or_b64 exec, exec, s[22:23]
.LBB84_18:                              ;   in Loop: Header=BB84_10 Depth=1
	s_or_b64 exec, exec, s[20:21]
	v_mov_b32_dpp v18, v26 row_shr:1 row_mask:0xf bank_mask:0xf
	v_mov_b32_dpp v19, v27 row_shr:1 row_mask:0xf bank_mask:0xf
	v_cmp_lt_i64_e64 s[0:1], v[18:19], v[26:27]
	s_waitcnt lgkmcnt(0)
	ds_read_u8 v21, v32 offset:4096
	v_cndmask_b32_e64 v19, v27, v19, s[0:1]
	v_cndmask_b32_e64 v18, v26, v18, s[0:1]
	s_nop 0
	v_mov_b32_dpp v23, v19 row_shr:2 row_mask:0xf bank_mask:0xf
	v_mov_b32_dpp v22, v18 row_shr:2 row_mask:0xf bank_mask:0xf
	v_cmp_lt_i64_e64 s[0:1], v[22:23], v[18:19]
	s_nop 1
	v_cndmask_b32_e64 v6, v19, v23, s[0:1]
	v_cndmask_b32_e64 v18, v18, v22, s[0:1]
	ds_bpermute_b32 v18, v34, v18
	ds_bpermute_b32 v19, v34, v6
	s_waitcnt lgkmcnt(2)
	v_and_b32_e32 v6, 1, v21
	v_cmp_eq_u32_e64 s[0:1], 1, v6
	v_mov_b64_e32 v[22:23], 0
	s_and_saveexec_b64 s[2:3], s[0:1]
	s_cbranch_execz .LBB84_9
; %bb.19:                               ;   in Loop: Header=BB84_10 Depth=1
	v_add_u32_e32 v6, s24, v20
	v_lshl_add_u64 v[20:21], v[4:5], 2, s[12:13]
	global_store_dword v[20:21], v6, off
	v_mul_lo_u32 v6, s8, v4
	v_mul_lo_u32 v22, s25, v5
	v_mad_u64_u32 v[20:21], s[0:1], s25, v4, 0
	v_add3_u32 v21, v21, v22, v6
	v_lshlrev_b64 v[22:23], 3, v[20:21]
	v_lshl_add_u64 v[20:21], v[8:9], 0, v[22:23]
	v_lshl_add_u64 v[22:23], v[10:11], 0, v[22:23]
	v_lshlrev_b32_e32 v6, 3, v0
	s_and_saveexec_b64 s[0:1], s[16:17]
	s_cbranch_execz .LBB84_21
; %bb.20:                               ;   in Loop: Header=BB84_10 Depth=1
	ds_read_b64 v[24:25], v36
	v_lshl_add_u64 v[26:27], v[12:13], 3, v[20:21]
	v_lshl_add_u64 v[28:29], v[22:23], 0, v[6:7]
	v_cndmask_b32_e32 v27, v27, v29, vcc
	v_cndmask_b32_e32 v26, v26, v28, vcc
	s_waitcnt lgkmcnt(0)
	global_store_dwordx2 v[26:27], v[24:25], off
.LBB84_21:                              ;   in Loop: Header=BB84_10 Depth=1
	s_or_b64 exec, exec, s[0:1]
	s_and_saveexec_b64 s[0:1], s[4:5]
	s_cbranch_execz .LBB84_8
; %bb.22:                               ;   in Loop: Header=BB84_10 Depth=1
	ds_read_b64 v[24:25], v36 offset:32
	v_lshl_add_u64 v[22:23], v[22:23], 0, v[6:7]
	v_lshl_add_u64 v[22:23], v[22:23], 0, 32
	;; [unrolled: 1-line block ×3, first 2 shown]
	v_cndmask_b32_e32 v21, v21, v23, vcc
	v_cndmask_b32_e32 v20, v20, v22, vcc
	s_waitcnt lgkmcnt(0)
	global_store_dwordx2 v[20:21], v[24:25], off
	s_branch .LBB84_8
.LBB84_23:
	s_endpgm
	.section	.rodata,"a",@progbits
	.p2align	6, 0x0
	.amdhsa_kernel _ZN9rocsparseL42csr2bsr_wavefront_per_row_multipass_kernelILj256ELj32ELj8E21rocsparse_complex_numIfEliEEv20rocsparse_direction_T4_S4_S4_S4_S4_21rocsparse_index_base_PKT2_PKT3_PKS4_S5_PS6_PS9_PS4_
		.amdhsa_group_segment_fixed_size 4104
		.amdhsa_private_segment_fixed_size 0
		.amdhsa_kernarg_size 88
		.amdhsa_user_sgpr_count 2
		.amdhsa_user_sgpr_dispatch_ptr 0
		.amdhsa_user_sgpr_queue_ptr 0
		.amdhsa_user_sgpr_kernarg_segment_ptr 1
		.amdhsa_user_sgpr_dispatch_id 0
		.amdhsa_user_sgpr_kernarg_preload_length 0
		.amdhsa_user_sgpr_kernarg_preload_offset 0
		.amdhsa_user_sgpr_private_segment_size 0
		.amdhsa_uses_dynamic_stack 0
		.amdhsa_enable_private_segment 0
		.amdhsa_system_sgpr_workgroup_id_x 1
		.amdhsa_system_sgpr_workgroup_id_y 0
		.amdhsa_system_sgpr_workgroup_id_z 0
		.amdhsa_system_sgpr_workgroup_info 0
		.amdhsa_system_vgpr_workitem_id 0
		.amdhsa_next_free_vgpr 41
		.amdhsa_next_free_sgpr 30
		.amdhsa_accum_offset 44
		.amdhsa_reserve_vcc 1
		.amdhsa_float_round_mode_32 0
		.amdhsa_float_round_mode_16_64 0
		.amdhsa_float_denorm_mode_32 3
		.amdhsa_float_denorm_mode_16_64 3
		.amdhsa_dx10_clamp 1
		.amdhsa_ieee_mode 1
		.amdhsa_fp16_overflow 0
		.amdhsa_tg_split 0
		.amdhsa_exception_fp_ieee_invalid_op 0
		.amdhsa_exception_fp_denorm_src 0
		.amdhsa_exception_fp_ieee_div_zero 0
		.amdhsa_exception_fp_ieee_overflow 0
		.amdhsa_exception_fp_ieee_underflow 0
		.amdhsa_exception_fp_ieee_inexact 0
		.amdhsa_exception_int_div_zero 0
	.end_amdhsa_kernel
	.section	.text._ZN9rocsparseL42csr2bsr_wavefront_per_row_multipass_kernelILj256ELj32ELj8E21rocsparse_complex_numIfEliEEv20rocsparse_direction_T4_S4_S4_S4_S4_21rocsparse_index_base_PKT2_PKT3_PKS4_S5_PS6_PS9_PS4_,"axG",@progbits,_ZN9rocsparseL42csr2bsr_wavefront_per_row_multipass_kernelILj256ELj32ELj8E21rocsparse_complex_numIfEliEEv20rocsparse_direction_T4_S4_S4_S4_S4_21rocsparse_index_base_PKT2_PKT3_PKS4_S5_PS6_PS9_PS4_,comdat
.Lfunc_end84:
	.size	_ZN9rocsparseL42csr2bsr_wavefront_per_row_multipass_kernelILj256ELj32ELj8E21rocsparse_complex_numIfEliEEv20rocsparse_direction_T4_S4_S4_S4_S4_21rocsparse_index_base_PKT2_PKT3_PKS4_S5_PS6_PS9_PS4_, .Lfunc_end84-_ZN9rocsparseL42csr2bsr_wavefront_per_row_multipass_kernelILj256ELj32ELj8E21rocsparse_complex_numIfEliEEv20rocsparse_direction_T4_S4_S4_S4_S4_21rocsparse_index_base_PKT2_PKT3_PKS4_S5_PS6_PS9_PS4_
                                        ; -- End function
	.section	.AMDGPU.csdata,"",@progbits
; Kernel info:
; codeLenInByte = 1388
; NumSgprs: 36
; NumVgprs: 41
; NumAgprs: 0
; TotalNumVgprs: 41
; ScratchSize: 0
; MemoryBound: 0
; FloatMode: 240
; IeeeMode: 1
; LDSByteSize: 4104 bytes/workgroup (compile time only)
; SGPRBlocks: 4
; VGPRBlocks: 5
; NumSGPRsForWavesPerEU: 36
; NumVGPRsForWavesPerEU: 41
; AccumOffset: 44
; Occupancy: 8
; WaveLimiterHint : 0
; COMPUTE_PGM_RSRC2:SCRATCH_EN: 0
; COMPUTE_PGM_RSRC2:USER_SGPR: 2
; COMPUTE_PGM_RSRC2:TRAP_HANDLER: 0
; COMPUTE_PGM_RSRC2:TGID_X_EN: 1
; COMPUTE_PGM_RSRC2:TGID_Y_EN: 0
; COMPUTE_PGM_RSRC2:TGID_Z_EN: 0
; COMPUTE_PGM_RSRC2:TIDIG_COMP_CNT: 0
; COMPUTE_PGM_RSRC3_GFX90A:ACCUM_OFFSET: 10
; COMPUTE_PGM_RSRC3_GFX90A:TG_SPLIT: 0
	.section	.text._ZN9rocsparseL42csr2bsr_wavefront_per_row_multipass_kernelILj256ELj64ELj16E21rocsparse_complex_numIfEliEEv20rocsparse_direction_T4_S4_S4_S4_S4_21rocsparse_index_base_PKT2_PKT3_PKS4_S5_PS6_PS9_PS4_,"axG",@progbits,_ZN9rocsparseL42csr2bsr_wavefront_per_row_multipass_kernelILj256ELj64ELj16E21rocsparse_complex_numIfEliEEv20rocsparse_direction_T4_S4_S4_S4_S4_21rocsparse_index_base_PKT2_PKT3_PKS4_S5_PS6_PS9_PS4_,comdat
	.globl	_ZN9rocsparseL42csr2bsr_wavefront_per_row_multipass_kernelILj256ELj64ELj16E21rocsparse_complex_numIfEliEEv20rocsparse_direction_T4_S4_S4_S4_S4_21rocsparse_index_base_PKT2_PKT3_PKS4_S5_PS6_PS9_PS4_ ; -- Begin function _ZN9rocsparseL42csr2bsr_wavefront_per_row_multipass_kernelILj256ELj64ELj16E21rocsparse_complex_numIfEliEEv20rocsparse_direction_T4_S4_S4_S4_S4_21rocsparse_index_base_PKT2_PKT3_PKS4_S5_PS6_PS9_PS4_
	.p2align	8
	.type	_ZN9rocsparseL42csr2bsr_wavefront_per_row_multipass_kernelILj256ELj64ELj16E21rocsparse_complex_numIfEliEEv20rocsparse_direction_T4_S4_S4_S4_S4_21rocsparse_index_base_PKT2_PKT3_PKS4_S5_PS6_PS9_PS4_,@function
_ZN9rocsparseL42csr2bsr_wavefront_per_row_multipass_kernelILj256ELj64ELj16E21rocsparse_complex_numIfEliEEv20rocsparse_direction_T4_S4_S4_S4_S4_21rocsparse_index_base_PKT2_PKT3_PKS4_S5_PS6_PS9_PS4_: ; @_ZN9rocsparseL42csr2bsr_wavefront_per_row_multipass_kernelILj256ELj64ELj16E21rocsparse_complex_numIfEliEEv20rocsparse_direction_T4_S4_S4_S4_S4_21rocsparse_index_base_PKT2_PKT3_PKS4_S5_PS6_PS9_PS4_
; %bb.0:
	s_load_dwordx2 s[4:5], s[0:1], 0x0
	s_load_dwordx4 s[12:15], s[0:1], 0xc
	s_load_dwordx2 s[6:7], s[0:1], 0x28
	v_lshrrev_b32_e32 v36, 6, v0
	v_bfe_u32 v10, v0, 2, 4
	v_lshl_or_b32 v6, s2, 2, v36
	s_waitcnt lgkmcnt(0)
	v_mad_u64_u32 v[4:5], s[2:3], v6, s14, v[10:11]
	v_cmp_gt_i32_e32 vcc, s5, v4
	v_cmp_gt_i32_e64 s[2:3], s14, v10
	v_mov_b64_e32 v[2:3], 0
	s_and_b64 s[8:9], s[2:3], vcc
	v_mov_b64_e32 v[22:23], v[2:3]
	s_and_saveexec_b64 s[10:11], s[8:9]
	s_cbranch_execz .LBB85_2
; %bb.1:
	v_ashrrev_i32_e32 v5, 31, v4
	v_lshl_add_u64 v[8:9], v[4:5], 3, s[6:7]
	global_load_dwordx2 v[8:9], v[8:9], off
	s_waitcnt vmcnt(0)
	v_subrev_co_u32_e32 v22, vcc, s15, v8
	s_nop 1
	v_subbrev_co_u32_e32 v23, vcc, 0, v9, vcc
.LBB85_2:
	s_or_b64 exec, exec, s[10:11]
	s_and_saveexec_b64 s[10:11], s[8:9]
	s_cbranch_execz .LBB85_4
; %bb.3:
	v_ashrrev_i32_e32 v5, 31, v4
	v_lshl_add_u64 v[2:3], v[4:5], 3, s[6:7]
	global_load_dwordx2 v[2:3], v[2:3], off offset:8
	s_waitcnt vmcnt(0)
	v_subrev_co_u32_e32 v2, vcc, s15, v2
	s_nop 1
	v_subbrev_co_u32_e32 v3, vcc, 0, v3, vcc
.LBB85_4:
	s_or_b64 exec, exec, s[10:11]
	s_load_dword s30, s[0:1], 0x38
	v_cmp_gt_i32_e32 vcc, s12, v6
	v_mov_b64_e32 v[4:5], 0
	s_and_saveexec_b64 s[6:7], vcc
	s_cbranch_execz .LBB85_6
; %bb.5:
	s_load_dwordx2 s[8:9], s[0:1], 0x48
	v_ashrrev_i32_e32 v7, 31, v6
	s_waitcnt lgkmcnt(0)
	v_lshl_add_u64 v[4:5], v[6:7], 3, s[8:9]
	global_load_dwordx2 v[4:5], v[4:5], off
	s_waitcnt vmcnt(0)
	v_subrev_co_u32_e32 v4, vcc, s30, v4
	s_nop 1
	v_subbrev_co_u32_e32 v5, vcc, 0, v5, vcc
.LBB85_6:
	s_or_b64 exec, exec, s[6:7]
	s_cmp_lt_i32 s13, 1
	s_cbranch_scc1 .LBB85_27
; %bb.7:
	s_load_dwordx2 s[10:11], s[0:1], 0x20
	s_load_dwordx2 s[16:17], s[0:1], 0x50
	;; [unrolled: 1-line block ×4, first 2 shown]
	v_mbcnt_lo_u32_b32 v6, -1, 0
	v_mbcnt_hi_u32_b32 v6, -1, v6
	v_lshlrev_b32_e32 v1, 8, v36
	v_mov_b32_e32 v7, 0
	v_lshlrev_b32_e32 v12, 2, v6
	s_cmp_eq_u32 s4, 0
	v_lshlrev_b32_e32 v6, 3, v10
	v_and_b32_e32 v0, 3, v0
	v_lshl_or_b32 v37, v10, 4, v1
	s_cselect_b64 vcc, -1, 0
	s_waitcnt lgkmcnt(0)
	v_lshl_add_u64 v[8:9], s[6:7], 0, v[6:7]
	v_mul_lo_u32 v6, v10, s14
	s_abs_i32 s33, s14
	v_lshl_add_u64 v[10:11], v[6:7], 3, s[6:7]
	v_or_b32_e32 v6, v37, v0
	v_cvt_f32_u32_e32 v20, s33
	v_lshlrev_b32_e32 v40, 3, v6
	v_or_b32_e32 v6, 4, v0
	v_cmp_gt_u32_e64 s[4:5], s14, v6
	v_or_b32_e32 v6, 8, v0
	v_cmp_gt_u32_e64 s[6:7], s14, v6
	;; [unrolled: 2-line block ×3, first 2 shown]
	v_rcp_iflag_f32_e32 v6, v20
	v_or_b32_e32 v38, 12, v12
	v_or_b32_e32 v39, 0xfc, v12
	v_mul_lo_u32 v12, v0, s14
	v_mul_f32_e32 v6, 0x4f7ffffe, v6
	s_lshl_b32 s20, s14, 2
	v_cvt_u32_f32_e32 v6, v6
	v_add_u32_e32 v14, s20, v12
	v_cmp_gt_u32_e64 s[0:1], s14, v0
	v_add_u32_e32 v16, s20, v14
	v_add_u32_e32 v18, s20, v16
	s_and_b64 s[20:21], s[0:1], s[2:3]
	s_sub_i32 s0, 0, s33
	s_mov_b32 s24, 0
	v_mul_lo_u32 v20, s0, v6
	v_mul_hi_u32 v20, v6, v20
	s_mov_b32 s25, s24
	v_mov_b32_e32 v1, v7
	s_mul_hi_u32 s12, s14, s14
	s_mul_i32 s31, s14, s14
	v_mov_b32_e32 v13, v7
	v_mov_b32_e32 v15, v7
	v_mov_b32_e32 v17, v7
	v_mov_b32_e32 v19, v7
	s_and_b64 s[4:5], s[2:3], s[4:5]
	s_and_b64 s[6:7], s[2:3], s[6:7]
	;; [unrolled: 1-line block ×3, first 2 shown]
	s_ashr_i32 s34, s14, 31
	v_add_u32_e32 v41, v6, v20
	s_mov_b64 s[22:23], 0
	v_mov_b64_e32 v[24:25], 0
	v_mov_b64_e32 v[20:21], s[24:25]
	s_mov_b64 s[24:25], 0x60
	v_mov_b32_e32 v42, 1
	s_branch .LBB85_10
.LBB85_8:                               ;   in Loop: Header=BB85_10 Depth=1
	s_or_b64 exec, exec, s[0:1]
	v_mov_b64_e32 v[26:27], 1
.LBB85_9:                               ;   in Loop: Header=BB85_10 Depth=1
	s_or_b64 exec, exec, s[2:3]
	v_mov_b32_dpp v6, v43 row_shr:1 row_mask:0xf bank_mask:0xf
	v_min_i32_e32 v6, v6, v43
	v_lshl_add_u64 v[4:5], v[26:27], 0, v[4:5]
	s_waitcnt lgkmcnt(0)
	v_mov_b32_dpp v24, v6 row_shr:2 row_mask:0xf bank_mask:0xf
	v_min_i32_e32 v6, v24, v6
	s_nop 1
	v_mov_b32_dpp v24, v6 row_shr:4 row_mask:0xf bank_mask:0xe
	v_min_i32_e32 v6, v24, v6
	s_nop 1
	;; [unrolled: 3-line block ×3, first 2 shown]
	v_mov_b32_dpp v24, v6 row_bcast:15 row_mask:0xa bank_mask:0xf
	v_min_i32_e32 v6, v24, v6
	s_nop 1
	v_mov_b32_dpp v24, v6 row_bcast:31 row_mask:0xc bank_mask:0xf
	v_min_i32_e32 v6, v24, v6
	ds_bpermute_b32 v24, v39, v6
	s_waitcnt lgkmcnt(0)
	v_cmp_le_i32_e64 s[0:1], s13, v24
	v_ashrrev_i32_e32 v25, 31, v24
	s_or_b64 s[22:23], s[0:1], s[22:23]
	s_andn2_b64 exec, exec, s[22:23]
	s_cbranch_execz .LBB85_27
.LBB85_10:                              ; =>This Loop Header: Depth=1
                                        ;     Child Loop BB85_13 Depth 2
	v_lshl_add_u64 v[22:23], v[22:23], 0, v[0:1]
	v_cmp_lt_i64_e64 s[0:1], v[22:23], v[2:3]
	v_mov_b32_e32 v43, s13
	v_mov_b64_e32 v[30:31], v[2:3]
	ds_write_b8 v36, v7 offset:8192
	ds_write2_b64 v40, v[20:21], v[20:21] offset1:4
	ds_write2_b64 v40, v[20:21], v[20:21] offset0:8 offset1:12
	s_waitcnt lgkmcnt(0)
	s_and_saveexec_b64 s[26:27], s[0:1]
	s_cbranch_execz .LBB85_18
; %bb.11:                               ;   in Loop: Header=BB85_10 Depth=1
	v_lshl_add_u64 v[26:27], v[22:23], 3, s[10:11]
	v_lshl_add_u64 v[28:29], v[22:23], 2, s[18:19]
	s_mov_b64 s[28:29], 0
	v_mov_b32_e32 v43, s13
	v_mov_b64_e32 v[30:31], v[2:3]
	s_branch .LBB85_13
.LBB85_12:                              ;   in Loop: Header=BB85_13 Depth=2
	s_or_b64 exec, exec, s[2:3]
	v_lshl_add_u64 v[22:23], v[22:23], 0, 4
	v_cmp_ge_i64_e64 s[2:3], v[22:23], v[2:3]
	s_xor_b64 s[0:1], s[0:1], -1
	s_or_b64 s[0:1], s[0:1], s[2:3]
	s_and_b64 s[0:1], exec, s[0:1]
	v_lshl_add_u64 v[26:27], v[26:27], 0, 32
	s_or_b64 s[28:29], s[0:1], s[28:29]
	v_lshl_add_u64 v[28:29], v[28:29], 0, 16
	s_andn2_b64 exec, exec, s[28:29]
	s_cbranch_execz .LBB85_17
.LBB85_13:                              ;   Parent Loop BB85_10 Depth=1
                                        ; =>  This Inner Loop Header: Depth=2
	global_load_dword v6, v[28:29], off
	s_waitcnt vmcnt(0)
	v_subrev_u32_e32 v6, s15, v6
	v_sub_u32_e32 v33, 0, v6
	v_max_i32_e32 v33, v6, v33
	v_mul_hi_u32 v34, v33, v41
	v_mul_lo_u32 v35, v34, s33
	v_sub_u32_e32 v33, v33, v35
	v_add_u32_e32 v44, 1, v34
	v_cmp_le_u32_e64 s[0:1], s33, v33
	v_subrev_u32_e32 v35, s33, v33
	v_ashrrev_i32_e32 v32, 31, v6
	v_cndmask_b32_e64 v34, v34, v44, s[0:1]
	v_cndmask_b32_e64 v33, v33, v35, s[0:1]
	v_add_u32_e32 v35, 1, v34
	v_cmp_le_u32_e64 s[0:1], s33, v33
	v_xor_b32_e32 v32, s34, v32
	s_nop 0
	v_cndmask_b32_e64 v33, v34, v35, s[0:1]
	v_xor_b32_e32 v33, v33, v32
	v_sub_u32_e32 v32, v33, v32
	v_ashrrev_i32_e32 v33, 31, v32
	v_cmp_eq_u64_e64 s[0:1], v[24:25], v[32:33]
	v_cmp_ne_u64_e64 s[2:3], v[24:25], v[32:33]
	v_mov_b64_e32 v[34:35], v[30:31]
	s_and_saveexec_b64 s[36:37], s[2:3]
	s_xor_b64 s[2:3], exec, s[36:37]
; %bb.14:                               ;   in Loop: Header=BB85_13 Depth=2
	v_min_i32_e32 v43, v32, v43
                                        ; implicit-def: $vgpr32
                                        ; implicit-def: $vgpr6
                                        ; implicit-def: $vgpr34_vgpr35
; %bb.15:                               ;   in Loop: Header=BB85_13 Depth=2
	s_or_saveexec_b64 s[2:3], s[2:3]
	v_mov_b64_e32 v[30:31], v[22:23]
	s_xor_b64 exec, exec, s[2:3]
	s_cbranch_execz .LBB85_12
; %bb.16:                               ;   in Loop: Header=BB85_13 Depth=2
	global_load_dwordx2 v[30:31], v[26:27], off
	v_mul_lo_u32 v32, v32, s14
	v_sub_u32_e32 v6, v6, v32
	v_add_lshl_u32 v6, v37, v6, 3
	ds_write_b8 v36, v42 offset:8192
	s_waitcnt vmcnt(0)
	ds_write_b64 v6, v[30:31]
	v_mov_b64_e32 v[30:31], v[34:35]
	s_branch .LBB85_12
.LBB85_17:                              ;   in Loop: Header=BB85_10 Depth=1
	s_or_b64 exec, exec, s[28:29]
.LBB85_18:                              ;   in Loop: Header=BB85_10 Depth=1
	s_or_b64 exec, exec, s[26:27]
	v_mov_b32_dpp v22, v30 row_shr:1 row_mask:0xf bank_mask:0xf
	v_mov_b32_dpp v23, v31 row_shr:1 row_mask:0xf bank_mask:0xf
	v_cmp_lt_i64_e64 s[0:1], v[22:23], v[30:31]
	s_waitcnt lgkmcnt(0)
	ds_read_u8 v25, v36 offset:8192
	v_cndmask_b32_e64 v23, v31, v23, s[0:1]
	v_cndmask_b32_e64 v22, v30, v22, s[0:1]
	s_nop 0
	v_mov_b32_dpp v27, v23 row_shr:2 row_mask:0xf bank_mask:0xf
	v_mov_b32_dpp v26, v22 row_shr:2 row_mask:0xf bank_mask:0xf
	v_cmp_lt_i64_e64 s[0:1], v[26:27], v[22:23]
	s_nop 1
	v_cndmask_b32_e64 v6, v23, v27, s[0:1]
	v_cndmask_b32_e64 v22, v22, v26, s[0:1]
	ds_bpermute_b32 v22, v38, v22
	ds_bpermute_b32 v23, v38, v6
	s_waitcnt lgkmcnt(2)
	v_and_b32_e32 v6, 1, v25
	v_cmp_eq_u32_e64 s[0:1], 1, v6
	v_mov_b64_e32 v[26:27], 0
	s_and_saveexec_b64 s[2:3], s[0:1]
	s_cbranch_execz .LBB85_9
; %bb.19:                               ;   in Loop: Header=BB85_10 Depth=1
	v_add_u32_e32 v6, s30, v24
	v_lshl_add_u64 v[24:25], v[4:5], 2, s[16:17]
	global_store_dword v[24:25], v6, off
	v_mul_lo_u32 v6, s12, v4
	v_mul_lo_u32 v26, s31, v5
	v_mad_u64_u32 v[24:25], s[0:1], s31, v4, 0
	v_add3_u32 v25, v25, v26, v6
	v_lshlrev_b64 v[26:27], 3, v[24:25]
	v_lshl_add_u64 v[24:25], v[8:9], 0, v[26:27]
	v_lshl_add_u64 v[26:27], v[10:11], 0, v[26:27]
	v_lshlrev_b32_e32 v6, 3, v0
	s_and_saveexec_b64 s[0:1], s[20:21]
	s_cbranch_execnz .LBB85_23
; %bb.20:                               ;   in Loop: Header=BB85_10 Depth=1
	s_or_b64 exec, exec, s[0:1]
	s_and_saveexec_b64 s[0:1], s[4:5]
	s_cbranch_execnz .LBB85_24
.LBB85_21:                              ;   in Loop: Header=BB85_10 Depth=1
	s_or_b64 exec, exec, s[0:1]
	s_and_saveexec_b64 s[0:1], s[6:7]
	s_cbranch_execnz .LBB85_25
.LBB85_22:                              ;   in Loop: Header=BB85_10 Depth=1
	s_or_b64 exec, exec, s[0:1]
	s_and_saveexec_b64 s[0:1], s[8:9]
	s_cbranch_execz .LBB85_8
	s_branch .LBB85_26
.LBB85_23:                              ;   in Loop: Header=BB85_10 Depth=1
	ds_read_b64 v[28:29], v40
	v_lshl_add_u64 v[30:31], v[12:13], 3, v[24:25]
	v_lshl_add_u64 v[32:33], v[26:27], 0, v[6:7]
	v_cndmask_b32_e32 v31, v31, v33, vcc
	v_cndmask_b32_e32 v30, v30, v32, vcc
	s_waitcnt lgkmcnt(0)
	global_store_dwordx2 v[30:31], v[28:29], off
	s_or_b64 exec, exec, s[0:1]
	s_and_saveexec_b64 s[0:1], s[4:5]
	s_cbranch_execz .LBB85_21
.LBB85_24:                              ;   in Loop: Header=BB85_10 Depth=1
	ds_read_b64 v[30:31], v40 offset:32
	v_lshl_add_u64 v[28:29], v[26:27], 0, v[6:7]
	v_lshl_add_u64 v[28:29], v[28:29], 0, 32
	v_lshl_add_u64 v[32:33], v[14:15], 3, v[24:25]
	v_cndmask_b32_e32 v29, v33, v29, vcc
	v_cndmask_b32_e32 v28, v32, v28, vcc
	s_waitcnt lgkmcnt(0)
	global_store_dwordx2 v[28:29], v[30:31], off
	s_or_b64 exec, exec, s[0:1]
	s_and_saveexec_b64 s[0:1], s[6:7]
	s_cbranch_execz .LBB85_22
.LBB85_25:                              ;   in Loop: Header=BB85_10 Depth=1
	ds_read_b64 v[30:31], v40 offset:64
	v_lshl_add_u64 v[28:29], v[26:27], 0, v[6:7]
	v_lshl_add_u64 v[28:29], v[28:29], 0, 64
	;; [unrolled: 1-line block ×3, first 2 shown]
	v_cndmask_b32_e32 v29, v33, v29, vcc
	v_cndmask_b32_e32 v28, v32, v28, vcc
	s_waitcnt lgkmcnt(0)
	global_store_dwordx2 v[28:29], v[30:31], off
	s_or_b64 exec, exec, s[0:1]
	s_and_saveexec_b64 s[0:1], s[8:9]
	s_cbranch_execz .LBB85_8
.LBB85_26:                              ;   in Loop: Header=BB85_10 Depth=1
	ds_read_b64 v[28:29], v40 offset:96
	v_lshl_add_u64 v[26:27], v[26:27], 0, v[6:7]
	v_lshl_add_u64 v[26:27], v[26:27], 0, s[24:25]
	;; [unrolled: 1-line block ×3, first 2 shown]
	v_cndmask_b32_e32 v25, v25, v27, vcc
	v_cndmask_b32_e32 v24, v24, v26, vcc
	s_waitcnt lgkmcnt(0)
	global_store_dwordx2 v[24:25], v[28:29], off
	s_branch .LBB85_8
.LBB85_27:
	s_endpgm
	.section	.rodata,"a",@progbits
	.p2align	6, 0x0
	.amdhsa_kernel _ZN9rocsparseL42csr2bsr_wavefront_per_row_multipass_kernelILj256ELj64ELj16E21rocsparse_complex_numIfEliEEv20rocsparse_direction_T4_S4_S4_S4_S4_21rocsparse_index_base_PKT2_PKT3_PKS4_S5_PS6_PS9_PS4_
		.amdhsa_group_segment_fixed_size 8196
		.amdhsa_private_segment_fixed_size 0
		.amdhsa_kernarg_size 88
		.amdhsa_user_sgpr_count 2
		.amdhsa_user_sgpr_dispatch_ptr 0
		.amdhsa_user_sgpr_queue_ptr 0
		.amdhsa_user_sgpr_kernarg_segment_ptr 1
		.amdhsa_user_sgpr_dispatch_id 0
		.amdhsa_user_sgpr_kernarg_preload_length 0
		.amdhsa_user_sgpr_kernarg_preload_offset 0
		.amdhsa_user_sgpr_private_segment_size 0
		.amdhsa_uses_dynamic_stack 0
		.amdhsa_enable_private_segment 0
		.amdhsa_system_sgpr_workgroup_id_x 1
		.amdhsa_system_sgpr_workgroup_id_y 0
		.amdhsa_system_sgpr_workgroup_id_z 0
		.amdhsa_system_sgpr_workgroup_info 0
		.amdhsa_system_vgpr_workitem_id 0
		.amdhsa_next_free_vgpr 45
		.amdhsa_next_free_sgpr 38
		.amdhsa_accum_offset 48
		.amdhsa_reserve_vcc 1
		.amdhsa_float_round_mode_32 0
		.amdhsa_float_round_mode_16_64 0
		.amdhsa_float_denorm_mode_32 3
		.amdhsa_float_denorm_mode_16_64 3
		.amdhsa_dx10_clamp 1
		.amdhsa_ieee_mode 1
		.amdhsa_fp16_overflow 0
		.amdhsa_tg_split 0
		.amdhsa_exception_fp_ieee_invalid_op 0
		.amdhsa_exception_fp_denorm_src 0
		.amdhsa_exception_fp_ieee_div_zero 0
		.amdhsa_exception_fp_ieee_overflow 0
		.amdhsa_exception_fp_ieee_underflow 0
		.amdhsa_exception_fp_ieee_inexact 0
		.amdhsa_exception_int_div_zero 0
	.end_amdhsa_kernel
	.section	.text._ZN9rocsparseL42csr2bsr_wavefront_per_row_multipass_kernelILj256ELj64ELj16E21rocsparse_complex_numIfEliEEv20rocsparse_direction_T4_S4_S4_S4_S4_21rocsparse_index_base_PKT2_PKT3_PKS4_S5_PS6_PS9_PS4_,"axG",@progbits,_ZN9rocsparseL42csr2bsr_wavefront_per_row_multipass_kernelILj256ELj64ELj16E21rocsparse_complex_numIfEliEEv20rocsparse_direction_T4_S4_S4_S4_S4_21rocsparse_index_base_PKT2_PKT3_PKS4_S5_PS6_PS9_PS4_,comdat
.Lfunc_end85:
	.size	_ZN9rocsparseL42csr2bsr_wavefront_per_row_multipass_kernelILj256ELj64ELj16E21rocsparse_complex_numIfEliEEv20rocsparse_direction_T4_S4_S4_S4_S4_21rocsparse_index_base_PKT2_PKT3_PKS4_S5_PS6_PS9_PS4_, .Lfunc_end85-_ZN9rocsparseL42csr2bsr_wavefront_per_row_multipass_kernelILj256ELj64ELj16E21rocsparse_complex_numIfEliEEv20rocsparse_direction_T4_S4_S4_S4_S4_21rocsparse_index_base_PKT2_PKT3_PKS4_S5_PS6_PS9_PS4_
                                        ; -- End function
	.section	.AMDGPU.csdata,"",@progbits
; Kernel info:
; codeLenInByte = 1640
; NumSgprs: 44
; NumVgprs: 45
; NumAgprs: 0
; TotalNumVgprs: 45
; ScratchSize: 0
; MemoryBound: 0
; FloatMode: 240
; IeeeMode: 1
; LDSByteSize: 8196 bytes/workgroup (compile time only)
; SGPRBlocks: 5
; VGPRBlocks: 5
; NumSGPRsForWavesPerEU: 44
; NumVGPRsForWavesPerEU: 45
; AccumOffset: 48
; Occupancy: 7
; WaveLimiterHint : 0
; COMPUTE_PGM_RSRC2:SCRATCH_EN: 0
; COMPUTE_PGM_RSRC2:USER_SGPR: 2
; COMPUTE_PGM_RSRC2:TRAP_HANDLER: 0
; COMPUTE_PGM_RSRC2:TGID_X_EN: 1
; COMPUTE_PGM_RSRC2:TGID_Y_EN: 0
; COMPUTE_PGM_RSRC2:TGID_Z_EN: 0
; COMPUTE_PGM_RSRC2:TIDIG_COMP_CNT: 0
; COMPUTE_PGM_RSRC3_GFX90A:ACCUM_OFFSET: 11
; COMPUTE_PGM_RSRC3_GFX90A:TG_SPLIT: 0
	.section	.text._ZN9rocsparseL42csr2bsr_wavefront_per_row_multipass_kernelILj256ELj32ELj16E21rocsparse_complex_numIfEliEEv20rocsparse_direction_T4_S4_S4_S4_S4_21rocsparse_index_base_PKT2_PKT3_PKS4_S5_PS6_PS9_PS4_,"axG",@progbits,_ZN9rocsparseL42csr2bsr_wavefront_per_row_multipass_kernelILj256ELj32ELj16E21rocsparse_complex_numIfEliEEv20rocsparse_direction_T4_S4_S4_S4_S4_21rocsparse_index_base_PKT2_PKT3_PKS4_S5_PS6_PS9_PS4_,comdat
	.globl	_ZN9rocsparseL42csr2bsr_wavefront_per_row_multipass_kernelILj256ELj32ELj16E21rocsparse_complex_numIfEliEEv20rocsparse_direction_T4_S4_S4_S4_S4_21rocsparse_index_base_PKT2_PKT3_PKS4_S5_PS6_PS9_PS4_ ; -- Begin function _ZN9rocsparseL42csr2bsr_wavefront_per_row_multipass_kernelILj256ELj32ELj16E21rocsparse_complex_numIfEliEEv20rocsparse_direction_T4_S4_S4_S4_S4_21rocsparse_index_base_PKT2_PKT3_PKS4_S5_PS6_PS9_PS4_
	.p2align	8
	.type	_ZN9rocsparseL42csr2bsr_wavefront_per_row_multipass_kernelILj256ELj32ELj16E21rocsparse_complex_numIfEliEEv20rocsparse_direction_T4_S4_S4_S4_S4_21rocsparse_index_base_PKT2_PKT3_PKS4_S5_PS6_PS9_PS4_,@function
_ZN9rocsparseL42csr2bsr_wavefront_per_row_multipass_kernelILj256ELj32ELj16E21rocsparse_complex_numIfEliEEv20rocsparse_direction_T4_S4_S4_S4_S4_21rocsparse_index_base_PKT2_PKT3_PKS4_S5_PS6_PS9_PS4_: ; @_ZN9rocsparseL42csr2bsr_wavefront_per_row_multipass_kernelILj256ELj32ELj16E21rocsparse_complex_numIfEliEEv20rocsparse_direction_T4_S4_S4_S4_S4_21rocsparse_index_base_PKT2_PKT3_PKS4_S5_PS6_PS9_PS4_
; %bb.0:
	s_load_dwordx2 s[4:5], s[0:1], 0x0
	s_load_dwordx4 s[20:23], s[0:1], 0xc
	s_load_dwordx2 s[6:7], s[0:1], 0x28
	v_lshrrev_b32_e32 v44, 5, v0
	v_bfe_u32 v10, v0, 1, 4
	v_lshl_or_b32 v6, s2, 3, v44
	s_waitcnt lgkmcnt(0)
	v_mad_u64_u32 v[4:5], s[2:3], v6, s22, v[10:11]
	v_cmp_gt_i32_e32 vcc, s5, v4
	v_cmp_gt_i32_e64 s[2:3], s22, v10
	v_mov_b64_e32 v[2:3], 0
	s_and_b64 s[8:9], s[2:3], vcc
	v_mov_b64_e32 v[28:29], v[2:3]
	s_and_saveexec_b64 s[10:11], s[8:9]
	s_cbranch_execz .LBB86_2
; %bb.1:
	v_ashrrev_i32_e32 v5, 31, v4
	v_lshl_add_u64 v[8:9], v[4:5], 3, s[6:7]
	global_load_dwordx2 v[8:9], v[8:9], off
	s_waitcnt vmcnt(0)
	v_subrev_co_u32_e32 v28, vcc, s23, v8
	s_nop 1
	v_subbrev_co_u32_e32 v29, vcc, 0, v9, vcc
.LBB86_2:
	s_or_b64 exec, exec, s[10:11]
	s_and_saveexec_b64 s[10:11], s[8:9]
	s_cbranch_execz .LBB86_4
; %bb.3:
	v_ashrrev_i32_e32 v5, 31, v4
	v_lshl_add_u64 v[2:3], v[4:5], 3, s[6:7]
	global_load_dwordx2 v[2:3], v[2:3], off offset:8
	s_waitcnt vmcnt(0)
	v_subrev_co_u32_e32 v2, vcc, s23, v2
	s_nop 1
	v_subbrev_co_u32_e32 v3, vcc, 0, v3, vcc
.LBB86_4:
	s_or_b64 exec, exec, s[10:11]
	s_load_dword s33, s[0:1], 0x38
	v_cmp_gt_i32_e32 vcc, s20, v6
	v_mov_b64_e32 v[4:5], 0
	s_and_saveexec_b64 s[6:7], vcc
	s_cbranch_execz .LBB86_6
; %bb.5:
	s_load_dwordx2 s[8:9], s[0:1], 0x48
	v_ashrrev_i32_e32 v7, 31, v6
	s_waitcnt lgkmcnt(0)
	v_lshl_add_u64 v[4:5], v[6:7], 3, s[8:9]
	global_load_dwordx2 v[4:5], v[4:5], off
	s_waitcnt vmcnt(0)
	v_subrev_co_u32_e32 v4, vcc, s33, v4
	s_nop 1
	v_subbrev_co_u32_e32 v5, vcc, 0, v5, vcc
.LBB86_6:
	s_or_b64 exec, exec, s[6:7]
	s_cmp_lt_i32 s21, 1
	s_cbranch_scc1 .LBB86_35
; %bb.7:
	s_load_dwordx2 s[18:19], s[0:1], 0x20
	s_load_dwordx2 s[24:25], s[0:1], 0x50
	;; [unrolled: 1-line block ×4, first 2 shown]
	v_mbcnt_lo_u32_b32 v6, -1, 0
	v_mbcnt_hi_u32_b32 v6, -1, v6
	v_lshlrev_b32_e32 v1, 8, v44
	v_mov_b32_e32 v7, 0
	v_lshlrev_b32_e32 v12, 2, v6
	v_lshlrev_b32_e32 v6, 3, v10
	v_and_b32_e32 v0, 1, v0
	v_lshl_or_b32 v45, v10, 4, v1
	s_waitcnt lgkmcnt(0)
	v_lshl_add_u64 v[8:9], s[6:7], 0, v[6:7]
	v_mul_lo_u32 v6, v10, s22
	v_lshl_add_u64 v[10:11], v[6:7], 3, s[6:7]
	v_or_b32_e32 v6, v45, v0
	v_lshlrev_b32_e32 v48, 3, v6
	v_or_b32_e32 v6, 2, v0
	s_cmp_eq_u32 s4, 0
	v_cmp_gt_u32_e64 s[4:5], s22, v6
	v_or_b32_e32 v6, 4, v0
	v_cmp_gt_u32_e64 s[6:7], s22, v6
	v_or_b32_e32 v6, 6, v0
	;; [unrolled: 2-line block ×5, first 2 shown]
	s_cselect_b64 vcc, -1, 0
	v_cmp_gt_u32_e64 s[14:15], s22, v6
	v_or_b32_e32 v6, 14, v0
	s_abs_i32 s45, s22
	v_cmp_gt_u32_e64 s[16:17], s22, v6
	v_cvt_f32_u32_e32 v6, s45
	v_or_b32_e32 v46, 4, v12
	v_or_b32_e32 v47, 0x7c, v12
	v_mul_lo_u32 v12, v0, s22
	v_rcp_iflag_f32_e32 v6, v6
	s_lshl_b32 s28, s22, 1
	v_add_u32_e32 v14, s28, v12
	v_add_u32_e32 v16, s28, v14
	v_add_u32_e32 v18, s28, v16
	v_mul_f32_e32 v6, 0x4f7ffffe, v6
	v_add_u32_e32 v20, s28, v18
	v_cvt_u32_f32_e32 v6, v6
	v_add_u32_e32 v22, s28, v20
	v_cmp_gt_u32_e64 s[0:1], s22, v0
	v_add_u32_e32 v24, s28, v22
	v_add_u32_e32 v26, s28, v24
	s_and_b64 s[28:29], s[0:1], s[2:3]
	s_sub_i32 s0, 0, s45
	s_mov_b32 s34, 0
	v_mul_lo_u32 v30, s0, v6
	v_mul_hi_u32 v30, v6, v30
	s_mov_b32 s35, s34
	v_mov_b32_e32 v1, v7
	s_mul_hi_u32 s20, s22, s22
	s_mul_i32 s44, s22, s22
	v_mov_b32_e32 v13, v7
	v_mov_b32_e32 v15, v7
	;; [unrolled: 1-line block ×8, first 2 shown]
	s_and_b64 s[4:5], s[2:3], s[4:5]
	s_and_b64 s[6:7], s[2:3], s[6:7]
	;; [unrolled: 1-line block ×7, first 2 shown]
	s_ashr_i32 s46, s22, 31
	v_add_u32_e32 v49, v6, v30
	s_mov_b64 s[30:31], 0
	v_mov_b64_e32 v[32:33], 0
	v_mov_b64_e32 v[30:31], s[34:35]
	s_mov_b64 s[34:35], 0x50
	s_mov_b64 s[36:37], 0x60
	;; [unrolled: 1-line block ×3, first 2 shown]
	v_mov_b32_e32 v50, 1
	v_lshlrev_b32_e32 v6, 3, v0
	s_branch .LBB86_10
.LBB86_8:                               ;   in Loop: Header=BB86_10 Depth=1
	s_or_b64 exec, exec, s[0:1]
	v_mov_b64_e32 v[34:35], 1
.LBB86_9:                               ;   in Loop: Header=BB86_10 Depth=1
	s_or_b64 exec, exec, s[2:3]
	v_mov_b32_dpp v32, v51 row_shr:1 row_mask:0xf bank_mask:0xf
	v_min_i32_e32 v32, v32, v51
	v_lshl_add_u64 v[4:5], v[34:35], 0, v[4:5]
	s_waitcnt lgkmcnt(0)
	v_mov_b32_dpp v33, v32 row_shr:2 row_mask:0xf bank_mask:0xf
	v_min_i32_e32 v32, v33, v32
	s_nop 1
	v_mov_b32_dpp v33, v32 row_shr:4 row_mask:0xf bank_mask:0xe
	v_min_i32_e32 v32, v33, v32
	s_nop 1
	;; [unrolled: 3-line block ×3, first 2 shown]
	v_mov_b32_dpp v33, v32 row_bcast:15 row_mask:0xa bank_mask:0xf
	v_min_i32_e32 v32, v33, v32
	ds_bpermute_b32 v32, v47, v32
	s_waitcnt lgkmcnt(0)
	v_cmp_le_i32_e64 s[0:1], s21, v32
	v_ashrrev_i32_e32 v33, 31, v32
	s_or_b64 s[30:31], s[0:1], s[30:31]
	s_andn2_b64 exec, exec, s[30:31]
	s_cbranch_execz .LBB86_35
.LBB86_10:                              ; =>This Loop Header: Depth=1
                                        ;     Child Loop BB86_13 Depth 2
	v_lshl_add_u64 v[28:29], v[28:29], 0, v[0:1]
	v_cmp_lt_i64_e64 s[0:1], v[28:29], v[2:3]
	v_mov_b32_e32 v51, s21
	v_mov_b64_e32 v[38:39], v[2:3]
	ds_write_b8 v44, v7 offset:16384
	ds_write2_b64 v48, v[30:31], v[30:31] offset1:2
	ds_write2_b64 v48, v[30:31], v[30:31] offset0:4 offset1:6
	ds_write2_b64 v48, v[30:31], v[30:31] offset0:8 offset1:10
	;; [unrolled: 1-line block ×3, first 2 shown]
	s_waitcnt lgkmcnt(0)
	s_and_saveexec_b64 s[40:41], s[0:1]
	s_cbranch_execz .LBB86_18
; %bb.11:                               ;   in Loop: Header=BB86_10 Depth=1
	v_lshl_add_u64 v[34:35], v[28:29], 3, s[18:19]
	v_lshl_add_u64 v[36:37], v[28:29], 2, s[26:27]
	s_mov_b64 s[42:43], 0
	v_mov_b32_e32 v51, s21
	v_mov_b64_e32 v[38:39], v[2:3]
	s_branch .LBB86_13
.LBB86_12:                              ;   in Loop: Header=BB86_13 Depth=2
	s_or_b64 exec, exec, s[2:3]
	v_lshl_add_u64 v[28:29], v[28:29], 0, 2
	v_cmp_ge_i64_e64 s[2:3], v[28:29], v[2:3]
	s_xor_b64 s[0:1], s[0:1], -1
	s_or_b64 s[0:1], s[0:1], s[2:3]
	s_and_b64 s[0:1], exec, s[0:1]
	v_lshl_add_u64 v[34:35], v[34:35], 0, 16
	s_or_b64 s[42:43], s[0:1], s[42:43]
	v_lshl_add_u64 v[36:37], v[36:37], 0, 8
	s_andn2_b64 exec, exec, s[42:43]
	s_cbranch_execz .LBB86_17
.LBB86_13:                              ;   Parent Loop BB86_10 Depth=1
                                        ; =>  This Inner Loop Header: Depth=2
	global_load_dword v40, v[36:37], off
	s_waitcnt vmcnt(0)
	v_subrev_u32_e32 v52, s23, v40
	v_sub_u32_e32 v41, 0, v52
	v_max_i32_e32 v41, v52, v41
	v_mul_hi_u32 v42, v41, v49
	v_mul_lo_u32 v43, v42, s45
	v_sub_u32_e32 v41, v41, v43
	v_add_u32_e32 v53, 1, v42
	v_cmp_le_u32_e64 s[0:1], s45, v41
	v_subrev_u32_e32 v43, s45, v41
	v_ashrrev_i32_e32 v40, 31, v52
	v_cndmask_b32_e64 v42, v42, v53, s[0:1]
	v_cndmask_b32_e64 v41, v41, v43, s[0:1]
	v_add_u32_e32 v43, 1, v42
	v_cmp_le_u32_e64 s[0:1], s45, v41
	v_xor_b32_e32 v40, s46, v40
	s_nop 0
	v_cndmask_b32_e64 v41, v42, v43, s[0:1]
	v_xor_b32_e32 v41, v41, v40
	v_sub_u32_e32 v40, v41, v40
	v_ashrrev_i32_e32 v41, 31, v40
	v_cmp_eq_u64_e64 s[0:1], v[32:33], v[40:41]
	v_cmp_ne_u64_e64 s[2:3], v[32:33], v[40:41]
	v_mov_b64_e32 v[42:43], v[38:39]
	s_and_saveexec_b64 s[48:49], s[2:3]
	s_xor_b64 s[2:3], exec, s[48:49]
; %bb.14:                               ;   in Loop: Header=BB86_13 Depth=2
	v_min_i32_e32 v51, v40, v51
                                        ; implicit-def: $vgpr40
                                        ; implicit-def: $vgpr52
                                        ; implicit-def: $vgpr42_vgpr43
; %bb.15:                               ;   in Loop: Header=BB86_13 Depth=2
	s_or_saveexec_b64 s[2:3], s[2:3]
	v_mov_b64_e32 v[38:39], v[28:29]
	s_xor_b64 exec, exec, s[2:3]
	s_cbranch_execz .LBB86_12
; %bb.16:                               ;   in Loop: Header=BB86_13 Depth=2
	global_load_dwordx2 v[38:39], v[34:35], off
	v_mul_lo_u32 v40, v40, s22
	v_sub_u32_e32 v40, v52, v40
	v_add_lshl_u32 v40, v45, v40, 3
	ds_write_b8 v44, v50 offset:16384
	s_waitcnt vmcnt(0)
	ds_write_b64 v40, v[38:39]
	v_mov_b64_e32 v[38:39], v[42:43]
	s_branch .LBB86_12
.LBB86_17:                              ;   in Loop: Header=BB86_10 Depth=1
	s_or_b64 exec, exec, s[42:43]
.LBB86_18:                              ;   in Loop: Header=BB86_10 Depth=1
	s_or_b64 exec, exec, s[40:41]
	v_mov_b32_dpp v28, v38 row_shr:1 row_mask:0xf bank_mask:0xf
	v_mov_b32_dpp v29, v39 row_shr:1 row_mask:0xf bank_mask:0xf
	s_waitcnt lgkmcnt(0)
	v_cmp_lt_i64_e64 s[0:1], v[28:29], v[38:39]
	ds_read_u8 v33, v44 offset:16384
	v_mov_b64_e32 v[34:35], 0
	v_cndmask_b32_e64 v29, v39, v29, s[0:1]
	v_cndmask_b32_e64 v28, v38, v28, s[0:1]
	ds_bpermute_b32 v28, v46, v28
	ds_bpermute_b32 v29, v46, v29
	s_waitcnt lgkmcnt(2)
	v_and_b32_e32 v33, 1, v33
	v_cmp_eq_u32_e64 s[0:1], 1, v33
	s_and_saveexec_b64 s[2:3], s[0:1]
	s_cbranch_execz .LBB86_9
; %bb.19:                               ;   in Loop: Header=BB86_10 Depth=1
	v_add_u32_e32 v34, s33, v32
	v_lshl_add_u64 v[32:33], v[4:5], 2, s[24:25]
	global_store_dword v[32:33], v34, off
	v_mul_lo_u32 v34, s20, v4
	v_mul_lo_u32 v35, s44, v5
	v_mad_u64_u32 v[32:33], s[0:1], s44, v4, 0
	v_add3_u32 v33, v33, v35, v34
	v_lshlrev_b64 v[34:35], 3, v[32:33]
	v_lshl_add_u64 v[32:33], v[8:9], 0, v[34:35]
	v_lshl_add_u64 v[34:35], v[10:11], 0, v[34:35]
	s_and_saveexec_b64 s[0:1], s[28:29]
	s_cbranch_execnz .LBB86_27
; %bb.20:                               ;   in Loop: Header=BB86_10 Depth=1
	s_or_b64 exec, exec, s[0:1]
	s_and_saveexec_b64 s[0:1], s[4:5]
	s_cbranch_execnz .LBB86_28
.LBB86_21:                              ;   in Loop: Header=BB86_10 Depth=1
	s_or_b64 exec, exec, s[0:1]
	s_and_saveexec_b64 s[0:1], s[6:7]
	s_cbranch_execnz .LBB86_29
.LBB86_22:                              ;   in Loop: Header=BB86_10 Depth=1
	s_or_b64 exec, exec, s[0:1]
	s_and_saveexec_b64 s[0:1], s[8:9]
	s_cbranch_execnz .LBB86_30
.LBB86_23:                              ;   in Loop: Header=BB86_10 Depth=1
	s_or_b64 exec, exec, s[0:1]
	s_and_saveexec_b64 s[0:1], s[10:11]
	s_cbranch_execnz .LBB86_31
.LBB86_24:                              ;   in Loop: Header=BB86_10 Depth=1
	s_or_b64 exec, exec, s[0:1]
	s_and_saveexec_b64 s[0:1], s[12:13]
	s_cbranch_execnz .LBB86_32
.LBB86_25:                              ;   in Loop: Header=BB86_10 Depth=1
	s_or_b64 exec, exec, s[0:1]
	s_and_saveexec_b64 s[0:1], s[14:15]
	s_cbranch_execnz .LBB86_33
.LBB86_26:                              ;   in Loop: Header=BB86_10 Depth=1
	s_or_b64 exec, exec, s[0:1]
	s_and_saveexec_b64 s[0:1], s[16:17]
	s_cbranch_execz .LBB86_8
	s_branch .LBB86_34
.LBB86_27:                              ;   in Loop: Header=BB86_10 Depth=1
	ds_read_b64 v[36:37], v48
	v_lshl_add_u64 v[38:39], v[12:13], 3, v[32:33]
	v_lshl_add_u64 v[40:41], v[34:35], 0, v[6:7]
	v_cndmask_b32_e32 v39, v39, v41, vcc
	v_cndmask_b32_e32 v38, v38, v40, vcc
	s_waitcnt lgkmcnt(0)
	global_store_dwordx2 v[38:39], v[36:37], off
	s_or_b64 exec, exec, s[0:1]
	s_and_saveexec_b64 s[0:1], s[4:5]
	s_cbranch_execz .LBB86_21
.LBB86_28:                              ;   in Loop: Header=BB86_10 Depth=1
	ds_read_b64 v[38:39], v48 offset:16
	v_lshl_add_u64 v[36:37], v[34:35], 0, v[6:7]
	v_lshl_add_u64 v[36:37], v[36:37], 0, 16
	;; [unrolled: 1-line block ×3, first 2 shown]
	v_cndmask_b32_e32 v37, v41, v37, vcc
	v_cndmask_b32_e32 v36, v40, v36, vcc
	s_waitcnt lgkmcnt(0)
	global_store_dwordx2 v[36:37], v[38:39], off
	s_or_b64 exec, exec, s[0:1]
	s_and_saveexec_b64 s[0:1], s[6:7]
	s_cbranch_execz .LBB86_22
.LBB86_29:                              ;   in Loop: Header=BB86_10 Depth=1
	ds_read_b64 v[38:39], v48 offset:32
	v_lshl_add_u64 v[36:37], v[34:35], 0, v[6:7]
	v_lshl_add_u64 v[36:37], v[36:37], 0, 32
	;; [unrolled: 1-line block ×3, first 2 shown]
	v_cndmask_b32_e32 v37, v41, v37, vcc
	v_cndmask_b32_e32 v36, v40, v36, vcc
	s_waitcnt lgkmcnt(0)
	global_store_dwordx2 v[36:37], v[38:39], off
	s_or_b64 exec, exec, s[0:1]
	s_and_saveexec_b64 s[0:1], s[8:9]
	s_cbranch_execz .LBB86_23
.LBB86_30:                              ;   in Loop: Header=BB86_10 Depth=1
	ds_read_b64 v[38:39], v48 offset:48
	v_lshl_add_u64 v[36:37], v[34:35], 0, v[6:7]
	v_lshl_add_u64 v[36:37], v[36:37], 0, 48
	v_lshl_add_u64 v[40:41], v[18:19], 3, v[32:33]
	v_cndmask_b32_e32 v37, v41, v37, vcc
	v_cndmask_b32_e32 v36, v40, v36, vcc
	s_waitcnt lgkmcnt(0)
	global_store_dwordx2 v[36:37], v[38:39], off
	s_or_b64 exec, exec, s[0:1]
	s_and_saveexec_b64 s[0:1], s[10:11]
	s_cbranch_execz .LBB86_24
.LBB86_31:                              ;   in Loop: Header=BB86_10 Depth=1
	ds_read_b64 v[38:39], v48 offset:64
	v_lshl_add_u64 v[36:37], v[34:35], 0, v[6:7]
	v_lshl_add_u64 v[36:37], v[36:37], 0, 64
	;; [unrolled: 1-line block ×3, first 2 shown]
	v_cndmask_b32_e32 v37, v41, v37, vcc
	v_cndmask_b32_e32 v36, v40, v36, vcc
	s_waitcnt lgkmcnt(0)
	global_store_dwordx2 v[36:37], v[38:39], off
	s_or_b64 exec, exec, s[0:1]
	s_and_saveexec_b64 s[0:1], s[12:13]
	s_cbranch_execz .LBB86_25
.LBB86_32:                              ;   in Loop: Header=BB86_10 Depth=1
	ds_read_b64 v[38:39], v48 offset:80
	v_lshl_add_u64 v[36:37], v[34:35], 0, v[6:7]
	v_lshl_add_u64 v[36:37], v[36:37], 0, s[34:35]
	v_lshl_add_u64 v[40:41], v[22:23], 3, v[32:33]
	v_cndmask_b32_e32 v37, v41, v37, vcc
	v_cndmask_b32_e32 v36, v40, v36, vcc
	s_waitcnt lgkmcnt(0)
	global_store_dwordx2 v[36:37], v[38:39], off
	s_or_b64 exec, exec, s[0:1]
	s_and_saveexec_b64 s[0:1], s[14:15]
	s_cbranch_execz .LBB86_26
.LBB86_33:                              ;   in Loop: Header=BB86_10 Depth=1
	ds_read_b64 v[38:39], v48 offset:96
	v_lshl_add_u64 v[36:37], v[34:35], 0, v[6:7]
	v_lshl_add_u64 v[36:37], v[36:37], 0, s[36:37]
	;; [unrolled: 1-line block ×3, first 2 shown]
	v_cndmask_b32_e32 v37, v41, v37, vcc
	v_cndmask_b32_e32 v36, v40, v36, vcc
	s_waitcnt lgkmcnt(0)
	global_store_dwordx2 v[36:37], v[38:39], off
	s_or_b64 exec, exec, s[0:1]
	s_and_saveexec_b64 s[0:1], s[16:17]
	s_cbranch_execz .LBB86_8
.LBB86_34:                              ;   in Loop: Header=BB86_10 Depth=1
	ds_read_b64 v[36:37], v48 offset:112
	v_lshl_add_u64 v[34:35], v[34:35], 0, v[6:7]
	v_lshl_add_u64 v[34:35], v[34:35], 0, s[38:39]
	;; [unrolled: 1-line block ×3, first 2 shown]
	v_cndmask_b32_e32 v33, v33, v35, vcc
	v_cndmask_b32_e32 v32, v32, v34, vcc
	s_waitcnt lgkmcnt(0)
	global_store_dwordx2 v[32:33], v[36:37], off
	s_branch .LBB86_8
.LBB86_35:
	s_endpgm
	.section	.rodata,"a",@progbits
	.p2align	6, 0x0
	.amdhsa_kernel _ZN9rocsparseL42csr2bsr_wavefront_per_row_multipass_kernelILj256ELj32ELj16E21rocsparse_complex_numIfEliEEv20rocsparse_direction_T4_S4_S4_S4_S4_21rocsparse_index_base_PKT2_PKT3_PKS4_S5_PS6_PS9_PS4_
		.amdhsa_group_segment_fixed_size 16392
		.amdhsa_private_segment_fixed_size 0
		.amdhsa_kernarg_size 88
		.amdhsa_user_sgpr_count 2
		.amdhsa_user_sgpr_dispatch_ptr 0
		.amdhsa_user_sgpr_queue_ptr 0
		.amdhsa_user_sgpr_kernarg_segment_ptr 1
		.amdhsa_user_sgpr_dispatch_id 0
		.amdhsa_user_sgpr_kernarg_preload_length 0
		.amdhsa_user_sgpr_kernarg_preload_offset 0
		.amdhsa_user_sgpr_private_segment_size 0
		.amdhsa_uses_dynamic_stack 0
		.amdhsa_enable_private_segment 0
		.amdhsa_system_sgpr_workgroup_id_x 1
		.amdhsa_system_sgpr_workgroup_id_y 0
		.amdhsa_system_sgpr_workgroup_id_z 0
		.amdhsa_system_sgpr_workgroup_info 0
		.amdhsa_system_vgpr_workitem_id 0
		.amdhsa_next_free_vgpr 54
		.amdhsa_next_free_sgpr 50
		.amdhsa_accum_offset 56
		.amdhsa_reserve_vcc 1
		.amdhsa_float_round_mode_32 0
		.amdhsa_float_round_mode_16_64 0
		.amdhsa_float_denorm_mode_32 3
		.amdhsa_float_denorm_mode_16_64 3
		.amdhsa_dx10_clamp 1
		.amdhsa_ieee_mode 1
		.amdhsa_fp16_overflow 0
		.amdhsa_tg_split 0
		.amdhsa_exception_fp_ieee_invalid_op 0
		.amdhsa_exception_fp_denorm_src 0
		.amdhsa_exception_fp_ieee_div_zero 0
		.amdhsa_exception_fp_ieee_overflow 0
		.amdhsa_exception_fp_ieee_underflow 0
		.amdhsa_exception_fp_ieee_inexact 0
		.amdhsa_exception_int_div_zero 0
	.end_amdhsa_kernel
	.section	.text._ZN9rocsparseL42csr2bsr_wavefront_per_row_multipass_kernelILj256ELj32ELj16E21rocsparse_complex_numIfEliEEv20rocsparse_direction_T4_S4_S4_S4_S4_21rocsparse_index_base_PKT2_PKT3_PKS4_S5_PS6_PS9_PS4_,"axG",@progbits,_ZN9rocsparseL42csr2bsr_wavefront_per_row_multipass_kernelILj256ELj32ELj16E21rocsparse_complex_numIfEliEEv20rocsparse_direction_T4_S4_S4_S4_S4_21rocsparse_index_base_PKT2_PKT3_PKS4_S5_PS6_PS9_PS4_,comdat
.Lfunc_end86:
	.size	_ZN9rocsparseL42csr2bsr_wavefront_per_row_multipass_kernelILj256ELj32ELj16E21rocsparse_complex_numIfEliEEv20rocsparse_direction_T4_S4_S4_S4_S4_21rocsparse_index_base_PKT2_PKT3_PKS4_S5_PS6_PS9_PS4_, .Lfunc_end86-_ZN9rocsparseL42csr2bsr_wavefront_per_row_multipass_kernelILj256ELj32ELj16E21rocsparse_complex_numIfEliEEv20rocsparse_direction_T4_S4_S4_S4_S4_21rocsparse_index_base_PKT2_PKT3_PKS4_S5_PS6_PS9_PS4_
                                        ; -- End function
	.section	.AMDGPU.csdata,"",@progbits
; Kernel info:
; codeLenInByte = 2008
; NumSgprs: 56
; NumVgprs: 54
; NumAgprs: 0
; TotalNumVgprs: 54
; ScratchSize: 0
; MemoryBound: 0
; FloatMode: 240
; IeeeMode: 1
; LDSByteSize: 16392 bytes/workgroup (compile time only)
; SGPRBlocks: 6
; VGPRBlocks: 6
; NumSGPRsForWavesPerEU: 56
; NumVGPRsForWavesPerEU: 54
; AccumOffset: 56
; Occupancy: 3
; WaveLimiterHint : 0
; COMPUTE_PGM_RSRC2:SCRATCH_EN: 0
; COMPUTE_PGM_RSRC2:USER_SGPR: 2
; COMPUTE_PGM_RSRC2:TRAP_HANDLER: 0
; COMPUTE_PGM_RSRC2:TGID_X_EN: 1
; COMPUTE_PGM_RSRC2:TGID_Y_EN: 0
; COMPUTE_PGM_RSRC2:TGID_Z_EN: 0
; COMPUTE_PGM_RSRC2:TIDIG_COMP_CNT: 0
; COMPUTE_PGM_RSRC3_GFX90A:ACCUM_OFFSET: 13
; COMPUTE_PGM_RSRC3_GFX90A:TG_SPLIT: 0
	.section	.text._ZN9rocsparseL38csr2bsr_block_per_row_multipass_kernelILj256ELj32E21rocsparse_complex_numIfEliEEv20rocsparse_direction_T3_S4_S4_S4_S4_21rocsparse_index_base_PKT1_PKT2_PKS4_S5_PS6_PS9_PS4_,"axG",@progbits,_ZN9rocsparseL38csr2bsr_block_per_row_multipass_kernelILj256ELj32E21rocsparse_complex_numIfEliEEv20rocsparse_direction_T3_S4_S4_S4_S4_21rocsparse_index_base_PKT1_PKT2_PKS4_S5_PS6_PS9_PS4_,comdat
	.globl	_ZN9rocsparseL38csr2bsr_block_per_row_multipass_kernelILj256ELj32E21rocsparse_complex_numIfEliEEv20rocsparse_direction_T3_S4_S4_S4_S4_21rocsparse_index_base_PKT1_PKT2_PKS4_S5_PS6_PS9_PS4_ ; -- Begin function _ZN9rocsparseL38csr2bsr_block_per_row_multipass_kernelILj256ELj32E21rocsparse_complex_numIfEliEEv20rocsparse_direction_T3_S4_S4_S4_S4_21rocsparse_index_base_PKT1_PKT2_PKS4_S5_PS6_PS9_PS4_
	.p2align	8
	.type	_ZN9rocsparseL38csr2bsr_block_per_row_multipass_kernelILj256ELj32E21rocsparse_complex_numIfEliEEv20rocsparse_direction_T3_S4_S4_S4_S4_21rocsparse_index_base_PKT1_PKT2_PKS4_S5_PS6_PS9_PS4_,@function
_ZN9rocsparseL38csr2bsr_block_per_row_multipass_kernelILj256ELj32E21rocsparse_complex_numIfEliEEv20rocsparse_direction_T3_S4_S4_S4_S4_21rocsparse_index_base_PKT1_PKT2_PKS4_S5_PS6_PS9_PS4_: ; @_ZN9rocsparseL38csr2bsr_block_per_row_multipass_kernelILj256ELj32E21rocsparse_complex_numIfEliEEv20rocsparse_direction_T3_S4_S4_S4_S4_21rocsparse_index_base_PKT1_PKT2_PKS4_S5_PS6_PS9_PS4_
; %bb.0:
	s_load_dwordx4 s[20:23], s[0:1], 0x10
	s_load_dwordx2 s[6:7], s[0:1], 0x0
	s_load_dwordx2 s[8:9], s[0:1], 0x28
	v_lshrrev_b32_e32 v1, 3, v0
	v_mov_b64_e32 v[2:3], 0
	s_waitcnt lgkmcnt(0)
	s_mul_i32 s3, s2, s21
	v_add_u32_e32 v4, s3, v1
	v_cmp_gt_i32_e64 s[4:5], s7, v4
	v_cmp_gt_i32_e32 vcc, s21, v1
	s_and_b64 s[10:11], vcc, s[4:5]
	v_mov_b64_e32 v[18:19], v[2:3]
	s_and_saveexec_b64 s[12:13], s[10:11]
	s_cbranch_execnz .LBB87_3
; %bb.1:
	s_or_b64 exec, exec, s[12:13]
	s_and_saveexec_b64 s[12:13], s[10:11]
	s_cbranch_execnz .LBB87_4
.LBB87_2:
	s_or_b64 exec, exec, s[12:13]
	s_cmp_lt_i32 s20, 1
	s_cbranch_scc0 .LBB87_5
	s_branch .LBB87_41
.LBB87_3:
	v_ashrrev_i32_e32 v5, 31, v4
	v_lshl_add_u64 v[6:7], v[4:5], 3, s[8:9]
	global_load_dwordx2 v[6:7], v[6:7], off
	s_waitcnt vmcnt(0)
	v_subrev_co_u32_e64 v18, s[4:5], s22, v6
	s_nop 1
	v_subbrev_co_u32_e64 v19, s[4:5], 0, v7, s[4:5]
	s_or_b64 exec, exec, s[12:13]
	s_and_saveexec_b64 s[12:13], s[10:11]
	s_cbranch_execz .LBB87_2
.LBB87_4:
	v_ashrrev_i32_e32 v5, 31, v4
	v_lshl_add_u64 v[2:3], v[4:5], 3, s[8:9]
	global_load_dwordx2 v[2:3], v[2:3], off offset:8
	s_waitcnt vmcnt(0)
	v_subrev_co_u32_e64 v2, s[4:5], s22, v2
	s_nop 1
	v_subbrev_co_u32_e64 v3, s[4:5], 0, v3, s[4:5]
	s_or_b64 exec, exec, s[12:13]
	s_cmp_lt_i32 s20, 1
	s_cbranch_scc1 .LBB87_41
.LBB87_5:
	s_load_dwordx4 s[8:11], s[0:1], 0x40
	s_load_dwordx2 s[24:25], s[0:1], 0x50
	s_load_dword s23, s[0:1], 0x38
	s_ashr_i32 s3, s2, 31
	s_lshl_b64 s[2:3], s[2:3], 3
	s_waitcnt lgkmcnt(0)
	s_add_u32 s2, s10, s2
	s_addc_u32 s3, s11, s3
	s_load_dwordx2 s[4:5], s[2:3], 0x0
	s_load_dwordx2 s[26:27], s[0:1], 0x20
	;; [unrolled: 1-line block ×3, first 2 shown]
	v_mov_b32_e32 v5, 0
	v_and_b32_e32 v4, 7, v0
	s_waitcnt lgkmcnt(0)
	s_sub_u32 s30, s4, s23
	s_subb_u32 s31, s5, 0
	s_cmp_eq_u32 s6, 0
	s_cselect_b64 s[0:1], -1, 0
	s_abs_i32 s51, s21
	v_cvt_f32_u32_e32 v14, s51
	v_mul_lo_u32 v8, v1, s21
	v_mov_b32_e32 v9, v5
	v_lshl_add_u64 v[8:9], v[8:9], 3, s[8:9]
	v_lshlrev_b32_e32 v10, 3, v4
	v_mov_b32_e32 v11, v5
	v_rcp_iflag_f32_e32 v16, v14
	v_lshl_add_u64 v[8:9], v[8:9], 0, v[10:11]
	v_cmp_gt_u32_e64 s[18:19], s21, v4
	v_or_b32_e32 v10, 8, v4
	s_and_b64 s[34:35], vcc, s[18:19]
	v_cmp_gt_u32_e64 s[18:19], s21, v10
	v_or_b32_e32 v12, 16, v4
	v_mbcnt_lo_u32_b32 v6, -1, 0
	s_and_b64 s[36:37], vcc, s[18:19]
	v_cmp_gt_u32_e64 s[18:19], s21, v12
	v_or_b32_e32 v15, 24, v4
	v_mbcnt_hi_u32_b32 v6, -1, v6
	s_and_b64 s[38:39], vcc, s[18:19]
	v_cmp_gt_u32_e64 s[18:19], s21, v15
	v_mul_f32_e32 v15, 0x4f7ffffe, v16
	v_lshlrev_b32_e32 v32, 5, v1
	v_lshl_or_b32 v33, v6, 2, 28
	v_lshlrev_b32_e32 v6, 3, v1
	v_mov_b32_e32 v7, v5
	s_movk_i32 s2, 0x80
	v_cvt_u32_f32_e32 v16, v15
	v_lshl_add_u64 v[6:7], s[8:9], 0, v[6:7]
	v_lshlrev_b32_e32 v34, 2, v0
	v_cmp_gt_u32_e64 s[2:3], s2, v0
	v_cmp_gt_u32_e64 s[4:5], 64, v0
	;; [unrolled: 1-line block ×7, first 2 shown]
	v_cmp_eq_u32_e64 s[16:17], 0, v0
	v_or_b32_e32 v0, v32, v4
	v_lshlrev_b32_e32 v35, 3, v0
	v_mul_lo_u32 v0, v4, s21
	s_lshl_b32 s43, s21, 3
	v_add_u32_e32 v10, s43, v0
	s_and_b64 s[40:41], vcc, s[18:19]
	s_sub_i32 s18, 0, s51
	s_mov_b32 s42, 0
	v_add_u32_e32 v12, s43, v10
	v_mul_lo_u32 v17, s18, v16
	v_add_u32_e32 v14, s43, v12
	v_mul_hi_u32 v17, v16, v17
	s_mov_b32 s43, s42
	s_mul_hi_u32 s33, s21, s21
	s_mul_i32 s50, s21, s21
	v_mov_b32_e32 v1, v5
	v_mov_b32_e32 v13, v5
	;; [unrolled: 1-line block ×3, first 2 shown]
	s_ashr_i32 s52, s21, 31
	v_add_u32_e32 v36, v16, v17
	v_mov_b64_e32 v[20:21], 0
	v_mov_b64_e32 v[16:17], s[42:43]
	s_mov_b64 s[42:43], 0x80
	s_mov_b64 s[44:45], 0xc0
	v_mov_b32_e32 v37, 1
	s_branch .LBB87_7
.LBB87_6:                               ;   in Loop: Header=BB87_7 Depth=1
	s_or_b64 exec, exec, s[46:47]
	s_waitcnt lgkmcnt(0)
	s_barrier
	ds_read_b32 v20, v5
	s_add_u32 s30, s18, s30
	s_addc_u32 s31, s19, s31
	s_waitcnt lgkmcnt(0)
	s_barrier
	v_cmp_gt_i32_e32 vcc, s20, v20
	v_ashrrev_i32_e32 v21, 31, v20
	s_cbranch_vccz .LBB87_41
.LBB87_7:                               ; =>This Loop Header: Depth=1
                                        ;     Child Loop BB87_10 Depth 2
	v_lshl_add_u64 v[18:19], v[18:19], 0, v[4:5]
	v_cmp_lt_i64_e32 vcc, v[18:19], v[2:3]
	v_mov_b32_e32 v38, s20
	v_mov_b64_e32 v[26:27], v[2:3]
	ds_write_b8 v5, v5 offset:8192
	ds_write2_b64 v35, v[16:17], v[16:17] offset1:8
	ds_write2_b64 v35, v[16:17], v[16:17] offset0:16 offset1:24
	s_waitcnt lgkmcnt(0)
	s_barrier
	s_and_saveexec_b64 s[46:47], vcc
	s_cbranch_execz .LBB87_15
; %bb.8:                                ;   in Loop: Header=BB87_7 Depth=1
	v_lshl_add_u64 v[22:23], v[18:19], 3, s[26:27]
	v_lshl_add_u64 v[24:25], v[18:19], 2, s[28:29]
	s_mov_b64 s[48:49], 0
	v_mov_b32_e32 v38, s20
	v_mov_b64_e32 v[26:27], v[2:3]
	s_branch .LBB87_10
.LBB87_9:                               ;   in Loop: Header=BB87_10 Depth=2
	s_or_b64 exec, exec, s[18:19]
	v_lshl_add_u64 v[18:19], v[18:19], 0, 8
	v_cmp_ge_i64_e64 s[18:19], v[18:19], v[2:3]
	s_xor_b64 s[54:55], vcc, -1
	s_or_b64 s[18:19], s[54:55], s[18:19]
	s_and_b64 s[18:19], exec, s[18:19]
	v_lshl_add_u64 v[22:23], v[22:23], 0, 64
	s_or_b64 s[48:49], s[18:19], s[48:49]
	v_lshl_add_u64 v[24:25], v[24:25], 0, 32
	s_andn2_b64 exec, exec, s[48:49]
	s_cbranch_execz .LBB87_14
.LBB87_10:                              ;   Parent Loop BB87_7 Depth=1
                                        ; =>  This Inner Loop Header: Depth=2
	global_load_dword v28, v[24:25], off
	s_waitcnt vmcnt(0)
	v_subrev_u32_e32 v39, s22, v28
	v_sub_u32_e32 v29, 0, v39
	v_max_i32_e32 v29, v39, v29
	v_mul_hi_u32 v30, v29, v36
	v_mul_lo_u32 v31, v30, s51
	v_sub_u32_e32 v29, v29, v31
	v_add_u32_e32 v40, 1, v30
	v_cmp_le_u32_e32 vcc, s51, v29
	v_subrev_u32_e32 v31, s51, v29
	v_ashrrev_i32_e32 v28, 31, v39
	v_cndmask_b32_e32 v30, v30, v40, vcc
	v_cndmask_b32_e32 v29, v29, v31, vcc
	v_add_u32_e32 v31, 1, v30
	v_cmp_le_u32_e32 vcc, s51, v29
	v_xor_b32_e32 v28, s52, v28
	s_nop 0
	v_cndmask_b32_e32 v29, v30, v31, vcc
	v_xor_b32_e32 v29, v29, v28
	v_sub_u32_e32 v28, v29, v28
	v_ashrrev_i32_e32 v29, 31, v28
	v_cmp_eq_u64_e32 vcc, v[20:21], v[28:29]
	v_cmp_ne_u64_e64 s[18:19], v[20:21], v[28:29]
	v_mov_b64_e32 v[30:31], v[26:27]
	s_and_saveexec_b64 s[54:55], s[18:19]
	s_xor_b64 s[18:19], exec, s[54:55]
; %bb.11:                               ;   in Loop: Header=BB87_10 Depth=2
	v_min_i32_e32 v38, v28, v38
                                        ; implicit-def: $vgpr28
                                        ; implicit-def: $vgpr39
                                        ; implicit-def: $vgpr30_vgpr31
; %bb.12:                               ;   in Loop: Header=BB87_10 Depth=2
	s_or_saveexec_b64 s[18:19], s[18:19]
	v_mov_b64_e32 v[26:27], v[18:19]
	s_xor_b64 exec, exec, s[18:19]
	s_cbranch_execz .LBB87_9
; %bb.13:                               ;   in Loop: Header=BB87_10 Depth=2
	global_load_dwordx2 v[26:27], v[22:23], off
	v_mul_lo_u32 v28, v28, s21
	v_sub_u32_e32 v28, v39, v28
	v_add_lshl_u32 v28, v28, v32, 3
	ds_write_b8 v5, v37 offset:8192
	s_waitcnt vmcnt(0)
	ds_write_b64 v28, v[26:27]
	v_mov_b64_e32 v[26:27], v[30:31]
	s_branch .LBB87_9
.LBB87_14:                              ;   in Loop: Header=BB87_7 Depth=1
	s_or_b64 exec, exec, s[48:49]
.LBB87_15:                              ;   in Loop: Header=BB87_7 Depth=1
	s_or_b64 exec, exec, s[46:47]
	v_mov_b32_dpp v18, v26 row_shr:1 row_mask:0xf bank_mask:0xf
	v_mov_b32_dpp v19, v27 row_shr:1 row_mask:0xf bank_mask:0xf
	v_cmp_lt_i64_e32 vcc, v[18:19], v[26:27]
	s_waitcnt lgkmcnt(0)
	s_barrier
	v_cndmask_b32_e32 v19, v27, v19, vcc
	v_cndmask_b32_e32 v18, v26, v18, vcc
	s_nop 0
	v_mov_b32_dpp v23, v19 row_shr:2 row_mask:0xf bank_mask:0xf
	v_mov_b32_dpp v22, v18 row_shr:2 row_mask:0xf bank_mask:0xf
	v_cmp_lt_i64_e32 vcc, v[22:23], v[18:19]
	ds_read_u8 v21, v5 offset:8192
	s_mov_b64 s[18:19], 0
	v_cndmask_b32_e32 v19, v19, v23, vcc
	v_cndmask_b32_e32 v18, v18, v22, vcc
	s_nop 0
	v_mov_b32_dpp v23, v19 row_shr:4 row_mask:0xf bank_mask:0xe
	v_mov_b32_dpp v22, v18 row_shr:4 row_mask:0xf bank_mask:0xe
	v_cmp_lt_i64_e32 vcc, v[22:23], v[18:19]
	s_nop 1
	v_cndmask_b32_e32 v19, v19, v23, vcc
	v_cndmask_b32_e32 v18, v18, v22, vcc
	ds_bpermute_b32 v18, v33, v18
	ds_bpermute_b32 v19, v33, v19
	s_waitcnt lgkmcnt(2)
	v_cmp_eq_u32_e32 vcc, 0, v21
	s_cbranch_vccnz .LBB87_22
; %bb.16:                               ;   in Loop: Header=BB87_7 Depth=1
	s_lshl_b64 s[18:19], s[30:31], 2
	s_add_u32 s18, s24, s18
	v_add_u32_e32 v20, s23, v20
	s_addc_u32 s19, s25, s19
	global_store_dword v5, v20, s[18:19]
	s_mul_i32 s18, s50, s31
	s_mul_hi_u32 s19, s50, s30
	s_add_i32 s18, s19, s18
	s_mul_i32 s19, s33, s30
	s_add_i32 s19, s18, s19
	s_mul_i32 s18, s50, s30
	s_lshl_b64 s[18:19], s[18:19], 3
	v_lshl_add_u64 v[20:21], v[6:7], 0, s[18:19]
	v_lshl_add_u64 v[22:23], v[8:9], 0, s[18:19]
	s_and_saveexec_b64 s[18:19], s[34:35]
	s_cbranch_execnz .LBB87_38
; %bb.17:                               ;   in Loop: Header=BB87_7 Depth=1
	s_or_b64 exec, exec, s[18:19]
	s_and_saveexec_b64 s[18:19], s[36:37]
	s_cbranch_execnz .LBB87_39
.LBB87_18:                              ;   in Loop: Header=BB87_7 Depth=1
	s_or_b64 exec, exec, s[18:19]
	s_and_saveexec_b64 s[18:19], s[38:39]
	s_cbranch_execnz .LBB87_40
.LBB87_19:                              ;   in Loop: Header=BB87_7 Depth=1
	s_or_b64 exec, exec, s[18:19]
	s_and_saveexec_b64 s[18:19], s[40:41]
	s_cbranch_execz .LBB87_21
.LBB87_20:                              ;   in Loop: Header=BB87_7 Depth=1
	ds_read_b64 v[24:25], v35 offset:192
	v_lshl_add_u64 v[22:23], v[22:23], 0, s[44:45]
	v_lshl_add_u64 v[20:21], v[14:15], 3, v[20:21]
	v_cndmask_b32_e64 v21, v21, v23, s[0:1]
	v_cndmask_b32_e64 v20, v20, v22, s[0:1]
	s_waitcnt lgkmcnt(0)
	global_store_dwordx2 v[20:21], v[24:25], off
.LBB87_21:                              ;   in Loop: Header=BB87_7 Depth=1
	s_or_b64 exec, exec, s[18:19]
	s_mov_b64 s[18:19], 1
.LBB87_22:                              ;   in Loop: Header=BB87_7 Depth=1
	s_waitcnt lgkmcnt(0)
	s_barrier
	ds_write_b32 v34, v38
	s_waitcnt lgkmcnt(0)
	s_barrier
	s_and_saveexec_b64 s[46:47], s[2:3]
	s_cbranch_execz .LBB87_24
; %bb.23:                               ;   in Loop: Header=BB87_7 Depth=1
	ds_read2st64_b32 v[20:21], v34 offset1:2
	s_waitcnt lgkmcnt(0)
	v_min_i32_e32 v20, v21, v20
	ds_write_b32 v34, v20
.LBB87_24:                              ;   in Loop: Header=BB87_7 Depth=1
	s_or_b64 exec, exec, s[46:47]
	s_waitcnt lgkmcnt(0)
	s_barrier
	s_and_saveexec_b64 s[46:47], s[4:5]
	s_cbranch_execz .LBB87_26
; %bb.25:                               ;   in Loop: Header=BB87_7 Depth=1
	ds_read2st64_b32 v[20:21], v34 offset1:1
	s_waitcnt lgkmcnt(0)
	v_min_i32_e32 v20, v21, v20
	ds_write_b32 v34, v20
.LBB87_26:                              ;   in Loop: Header=BB87_7 Depth=1
	s_or_b64 exec, exec, s[46:47]
	s_waitcnt lgkmcnt(0)
	s_barrier
	s_and_saveexec_b64 s[46:47], s[6:7]
	s_cbranch_execz .LBB87_28
; %bb.27:                               ;   in Loop: Header=BB87_7 Depth=1
	ds_read2_b32 v[20:21], v34 offset1:32
	s_waitcnt lgkmcnt(0)
	v_min_i32_e32 v20, v21, v20
	ds_write_b32 v34, v20
.LBB87_28:                              ;   in Loop: Header=BB87_7 Depth=1
	s_or_b64 exec, exec, s[46:47]
	s_waitcnt lgkmcnt(0)
	s_barrier
	s_and_saveexec_b64 s[46:47], s[8:9]
	s_cbranch_execz .LBB87_30
; %bb.29:                               ;   in Loop: Header=BB87_7 Depth=1
	ds_read2_b32 v[20:21], v34 offset1:16
	s_waitcnt lgkmcnt(0)
	v_min_i32_e32 v20, v21, v20
	ds_write_b32 v34, v20
.LBB87_30:                              ;   in Loop: Header=BB87_7 Depth=1
	;; [unrolled: 11-line block ×5, first 2 shown]
	s_or_b64 exec, exec, s[46:47]
	s_waitcnt lgkmcnt(0)
	s_barrier
	s_and_saveexec_b64 s[46:47], s[16:17]
	s_cbranch_execz .LBB87_6
; %bb.37:                               ;   in Loop: Header=BB87_7 Depth=1
	ds_read_b64 v[20:21], v5
	s_waitcnt lgkmcnt(0)
	v_min_i32_e32 v20, v21, v20
	ds_write_b32 v5, v20
	s_branch .LBB87_6
.LBB87_38:                              ;   in Loop: Header=BB87_7 Depth=1
	ds_read_b64 v[24:25], v35
	v_lshl_add_u64 v[26:27], v[0:1], 3, v[20:21]
	v_cndmask_b32_e64 v27, v27, v23, s[0:1]
	v_cndmask_b32_e64 v26, v26, v22, s[0:1]
	s_waitcnt lgkmcnt(0)
	global_store_dwordx2 v[26:27], v[24:25], off
	s_or_b64 exec, exec, s[18:19]
	s_and_saveexec_b64 s[18:19], s[36:37]
	s_cbranch_execz .LBB87_18
.LBB87_39:                              ;   in Loop: Header=BB87_7 Depth=1
	ds_read_b64 v[24:25], v35 offset:64
	v_lshl_add_u64 v[26:27], v[22:23], 0, 64
	v_lshl_add_u64 v[28:29], v[10:11], 3, v[20:21]
	v_cndmask_b32_e64 v27, v29, v27, s[0:1]
	v_cndmask_b32_e64 v26, v28, v26, s[0:1]
	s_waitcnt lgkmcnt(0)
	global_store_dwordx2 v[26:27], v[24:25], off
	s_or_b64 exec, exec, s[18:19]
	s_and_saveexec_b64 s[18:19], s[38:39]
	s_cbranch_execz .LBB87_19
.LBB87_40:                              ;   in Loop: Header=BB87_7 Depth=1
	ds_read_b64 v[24:25], v35 offset:128
	v_lshl_add_u64 v[26:27], v[22:23], 0, s[42:43]
	v_lshl_add_u64 v[28:29], v[12:13], 3, v[20:21]
	v_cndmask_b32_e64 v27, v29, v27, s[0:1]
	v_cndmask_b32_e64 v26, v28, v26, s[0:1]
	s_waitcnt lgkmcnt(0)
	global_store_dwordx2 v[26:27], v[24:25], off
	s_or_b64 exec, exec, s[18:19]
	s_and_saveexec_b64 s[18:19], s[40:41]
	s_cbranch_execnz .LBB87_20
	s_branch .LBB87_21
.LBB87_41:
	s_endpgm
	.section	.rodata,"a",@progbits
	.p2align	6, 0x0
	.amdhsa_kernel _ZN9rocsparseL38csr2bsr_block_per_row_multipass_kernelILj256ELj32E21rocsparse_complex_numIfEliEEv20rocsparse_direction_T3_S4_S4_S4_S4_21rocsparse_index_base_PKT1_PKT2_PKS4_S5_PS6_PS9_PS4_
		.amdhsa_group_segment_fixed_size 8196
		.amdhsa_private_segment_fixed_size 0
		.amdhsa_kernarg_size 88
		.amdhsa_user_sgpr_count 2
		.amdhsa_user_sgpr_dispatch_ptr 0
		.amdhsa_user_sgpr_queue_ptr 0
		.amdhsa_user_sgpr_kernarg_segment_ptr 1
		.amdhsa_user_sgpr_dispatch_id 0
		.amdhsa_user_sgpr_kernarg_preload_length 0
		.amdhsa_user_sgpr_kernarg_preload_offset 0
		.amdhsa_user_sgpr_private_segment_size 0
		.amdhsa_uses_dynamic_stack 0
		.amdhsa_enable_private_segment 0
		.amdhsa_system_sgpr_workgroup_id_x 1
		.amdhsa_system_sgpr_workgroup_id_y 0
		.amdhsa_system_sgpr_workgroup_id_z 0
		.amdhsa_system_sgpr_workgroup_info 0
		.amdhsa_system_vgpr_workitem_id 0
		.amdhsa_next_free_vgpr 41
		.amdhsa_next_free_sgpr 56
		.amdhsa_accum_offset 44
		.amdhsa_reserve_vcc 1
		.amdhsa_float_round_mode_32 0
		.amdhsa_float_round_mode_16_64 0
		.amdhsa_float_denorm_mode_32 3
		.amdhsa_float_denorm_mode_16_64 3
		.amdhsa_dx10_clamp 1
		.amdhsa_ieee_mode 1
		.amdhsa_fp16_overflow 0
		.amdhsa_tg_split 0
		.amdhsa_exception_fp_ieee_invalid_op 0
		.amdhsa_exception_fp_denorm_src 0
		.amdhsa_exception_fp_ieee_div_zero 0
		.amdhsa_exception_fp_ieee_overflow 0
		.amdhsa_exception_fp_ieee_underflow 0
		.amdhsa_exception_fp_ieee_inexact 0
		.amdhsa_exception_int_div_zero 0
	.end_amdhsa_kernel
	.section	.text._ZN9rocsparseL38csr2bsr_block_per_row_multipass_kernelILj256ELj32E21rocsparse_complex_numIfEliEEv20rocsparse_direction_T3_S4_S4_S4_S4_21rocsparse_index_base_PKT1_PKT2_PKS4_S5_PS6_PS9_PS4_,"axG",@progbits,_ZN9rocsparseL38csr2bsr_block_per_row_multipass_kernelILj256ELj32E21rocsparse_complex_numIfEliEEv20rocsparse_direction_T3_S4_S4_S4_S4_21rocsparse_index_base_PKT1_PKT2_PKS4_S5_PS6_PS9_PS4_,comdat
.Lfunc_end87:
	.size	_ZN9rocsparseL38csr2bsr_block_per_row_multipass_kernelILj256ELj32E21rocsparse_complex_numIfEliEEv20rocsparse_direction_T3_S4_S4_S4_S4_21rocsparse_index_base_PKT1_PKT2_PKS4_S5_PS6_PS9_PS4_, .Lfunc_end87-_ZN9rocsparseL38csr2bsr_block_per_row_multipass_kernelILj256ELj32E21rocsparse_complex_numIfEliEEv20rocsparse_direction_T3_S4_S4_S4_S4_21rocsparse_index_base_PKT1_PKT2_PKS4_S5_PS6_PS9_PS4_
                                        ; -- End function
	.section	.AMDGPU.csdata,"",@progbits
; Kernel info:
; codeLenInByte = 1948
; NumSgprs: 62
; NumVgprs: 41
; NumAgprs: 0
; TotalNumVgprs: 41
; ScratchSize: 0
; MemoryBound: 0
; FloatMode: 240
; IeeeMode: 1
; LDSByteSize: 8196 bytes/workgroup (compile time only)
; SGPRBlocks: 7
; VGPRBlocks: 5
; NumSGPRsForWavesPerEU: 62
; NumVGPRsForWavesPerEU: 41
; AccumOffset: 44
; Occupancy: 7
; WaveLimiterHint : 0
; COMPUTE_PGM_RSRC2:SCRATCH_EN: 0
; COMPUTE_PGM_RSRC2:USER_SGPR: 2
; COMPUTE_PGM_RSRC2:TRAP_HANDLER: 0
; COMPUTE_PGM_RSRC2:TGID_X_EN: 1
; COMPUTE_PGM_RSRC2:TGID_Y_EN: 0
; COMPUTE_PGM_RSRC2:TGID_Z_EN: 0
; COMPUTE_PGM_RSRC2:TIDIG_COMP_CNT: 0
; COMPUTE_PGM_RSRC3_GFX90A:ACCUM_OFFSET: 10
; COMPUTE_PGM_RSRC3_GFX90A:TG_SPLIT: 0
	.section	.text._ZN9rocsparseL38csr2bsr_block_per_row_multipass_kernelILj256ELj64E21rocsparse_complex_numIfEliEEv20rocsparse_direction_T3_S4_S4_S4_S4_21rocsparse_index_base_PKT1_PKT2_PKS4_S5_PS6_PS9_PS4_,"axG",@progbits,_ZN9rocsparseL38csr2bsr_block_per_row_multipass_kernelILj256ELj64E21rocsparse_complex_numIfEliEEv20rocsparse_direction_T3_S4_S4_S4_S4_21rocsparse_index_base_PKT1_PKT2_PKS4_S5_PS6_PS9_PS4_,comdat
	.globl	_ZN9rocsparseL38csr2bsr_block_per_row_multipass_kernelILj256ELj64E21rocsparse_complex_numIfEliEEv20rocsparse_direction_T3_S4_S4_S4_S4_21rocsparse_index_base_PKT1_PKT2_PKS4_S5_PS6_PS9_PS4_ ; -- Begin function _ZN9rocsparseL38csr2bsr_block_per_row_multipass_kernelILj256ELj64E21rocsparse_complex_numIfEliEEv20rocsparse_direction_T3_S4_S4_S4_S4_21rocsparse_index_base_PKT1_PKT2_PKS4_S5_PS6_PS9_PS4_
	.p2align	8
	.type	_ZN9rocsparseL38csr2bsr_block_per_row_multipass_kernelILj256ELj64E21rocsparse_complex_numIfEliEEv20rocsparse_direction_T3_S4_S4_S4_S4_21rocsparse_index_base_PKT1_PKT2_PKS4_S5_PS6_PS9_PS4_,@function
_ZN9rocsparseL38csr2bsr_block_per_row_multipass_kernelILj256ELj64E21rocsparse_complex_numIfEliEEv20rocsparse_direction_T3_S4_S4_S4_S4_21rocsparse_index_base_PKT1_PKT2_PKS4_S5_PS6_PS9_PS4_: ; @_ZN9rocsparseL38csr2bsr_block_per_row_multipass_kernelILj256ELj64E21rocsparse_complex_numIfEliEEv20rocsparse_direction_T3_S4_S4_S4_S4_21rocsparse_index_base_PKT1_PKT2_PKS4_S5_PS6_PS9_PS4_
; %bb.0:
	s_load_dwordx4 s[20:23], s[0:1], 0x10
	s_load_dwordx2 s[6:7], s[0:1], 0x0
	s_load_dwordx2 s[8:9], s[0:1], 0x28
	v_lshrrev_b32_e32 v1, 2, v0
	v_mov_b64_e32 v[2:3], 0
	s_waitcnt lgkmcnt(0)
	s_mul_i32 s3, s2, s21
	v_add_u32_e32 v4, s3, v1
	v_cmp_gt_i32_e64 s[4:5], s7, v4
	v_cmp_gt_i32_e32 vcc, s21, v1
	s_and_b64 s[10:11], vcc, s[4:5]
	v_mov_b64_e32 v[28:29], v[2:3]
	s_and_saveexec_b64 s[12:13], s[10:11]
	s_cbranch_execnz .LBB88_3
; %bb.1:
	s_or_b64 exec, exec, s[12:13]
	s_and_saveexec_b64 s[12:13], s[10:11]
	s_cbranch_execnz .LBB88_4
.LBB88_2:
	s_or_b64 exec, exec, s[12:13]
	s_cmp_lt_i32 s20, 1
	s_cbranch_scc0 .LBB88_5
	s_branch .LBB88_65
.LBB88_3:
	v_ashrrev_i32_e32 v5, 31, v4
	v_lshl_add_u64 v[6:7], v[4:5], 3, s[8:9]
	global_load_dwordx2 v[6:7], v[6:7], off
	s_waitcnt vmcnt(0)
	v_subrev_co_u32_e64 v28, s[4:5], s22, v6
	s_nop 1
	v_subbrev_co_u32_e64 v29, s[4:5], 0, v7, s[4:5]
	s_or_b64 exec, exec, s[12:13]
	s_and_saveexec_b64 s[12:13], s[10:11]
	s_cbranch_execz .LBB88_2
.LBB88_4:
	v_ashrrev_i32_e32 v5, 31, v4
	v_lshl_add_u64 v[2:3], v[4:5], 3, s[8:9]
	global_load_dwordx2 v[2:3], v[2:3], off offset:8
	s_waitcnt vmcnt(0)
	v_subrev_co_u32_e64 v2, s[4:5], s22, v2
	s_nop 1
	v_subbrev_co_u32_e64 v3, s[4:5], 0, v3, s[4:5]
	s_or_b64 exec, exec, s[12:13]
	s_cmp_lt_i32 s20, 1
	s_cbranch_scc1 .LBB88_65
.LBB88_5:
	s_load_dwordx4 s[8:11], s[0:1], 0x40
	s_load_dwordx2 s[24:25], s[0:1], 0x50
	s_load_dword s23, s[0:1], 0x38
	s_ashr_i32 s3, s2, 31
	s_lshl_b64 s[2:3], s[2:3], 3
	s_waitcnt lgkmcnt(0)
	s_add_u32 s2, s10, s2
	s_addc_u32 s3, s11, s3
	s_load_dwordx2 s[4:5], s[2:3], 0x0
	s_load_dwordx2 s[26:27], s[0:1], 0x20
	;; [unrolled: 1-line block ×3, first 2 shown]
	v_mov_b32_e32 v5, 0
	v_and_b32_e32 v4, 3, v0
	s_waitcnt lgkmcnt(0)
	s_sub_u32 s30, s4, s23
	v_mul_lo_u32 v8, v1, s21
	v_mov_b32_e32 v9, v5
	s_subb_u32 s31, s5, 0
	v_lshl_add_u64 v[8:9], v[8:9], 3, s[8:9]
	v_lshlrev_b32_e32 v10, 3, v4
	v_mov_b32_e32 v11, v5
	s_cmp_eq_u32 s6, 0
	v_lshl_add_u64 v[8:9], v[8:9], 0, v[10:11]
	v_cmp_gt_u32_e64 s[18:19], s21, v4
	v_or_b32_e32 v10, 4, v4
	s_cselect_b64 s[0:1], -1, 0
	s_and_b64 s[34:35], vcc, s[18:19]
	v_cmp_gt_u32_e64 s[18:19], s21, v10
	v_or_b32_e32 v12, 8, v4
	v_mbcnt_lo_u32_b32 v6, -1, 0
	s_and_b64 s[36:37], vcc, s[18:19]
	v_cmp_gt_u32_e64 s[18:19], s21, v12
	v_or_b32_e32 v14, 12, v4
	v_mbcnt_hi_u32_b32 v6, -1, v6
	s_and_b64 s[38:39], vcc, s[18:19]
	v_cmp_gt_u32_e64 s[18:19], s21, v14
	v_or_b32_e32 v16, 16, v4
	v_lshlrev_b32_e32 v56, 6, v1
	v_lshl_or_b32 v57, v6, 2, 12
	v_lshlrev_b32_e32 v6, 3, v1
	v_mov_b32_e32 v7, v5
	s_movk_i32 s2, 0x80
	s_and_b64 s[40:41], vcc, s[18:19]
	v_cmp_gt_u32_e64 s[18:19], s21, v16
	v_or_b32_e32 v18, 20, v4
	v_lshl_add_u64 v[6:7], s[8:9], 0, v[6:7]
	v_lshlrev_b32_e32 v58, 2, v0
	v_cmp_gt_u32_e64 s[2:3], s2, v0
	v_cmp_gt_u32_e64 s[4:5], 64, v0
	;; [unrolled: 1-line block ×7, first 2 shown]
	v_cmp_eq_u32_e64 s[16:17], 0, v0
	v_or_b32_e32 v0, v56, v4
	s_and_b64 s[42:43], vcc, s[18:19]
	v_cmp_gt_u32_e64 s[18:19], s21, v18
	v_or_b32_e32 v20, 24, v4
	v_lshlrev_b32_e32 v59, 3, v0
	v_mul_lo_u32 v0, v4, s21
	s_lshl_b32 s67, s21, 2
	s_and_b64 s[44:45], vcc, s[18:19]
	v_cmp_gt_u32_e64 s[18:19], s21, v20
	v_or_b32_e32 v22, 28, v4
	s_abs_i32 s97, s21
	v_add_u32_e32 v10, s67, v0
	s_and_b64 s[46:47], vcc, s[18:19]
	v_cmp_gt_u32_e64 s[18:19], s21, v22
	v_or_b32_e32 v24, 32, v4
	v_cvt_f32_u32_e32 v40, s97
	v_add_u32_e32 v12, s67, v10
	s_and_b64 s[48:49], vcc, s[18:19]
	v_cmp_gt_u32_e64 s[18:19], s21, v24
	v_or_b32_e32 v26, 36, v4
	v_add_u32_e32 v14, s67, v12
	s_and_b64 s[50:51], vcc, s[18:19]
	v_cmp_gt_u32_e64 s[18:19], s21, v26
	v_or_b32_e32 v30, 40, v4
	;; [unrolled: 4-line block ×4, first 2 shown]
	v_rcp_iflag_f32_e32 v42, v40
	v_add_u32_e32 v20, s67, v18
	s_and_b64 s[56:57], vcc, s[18:19]
	v_cmp_gt_u32_e64 s[18:19], s21, v34
	v_or_b32_e32 v36, 52, v4
	v_add_u32_e32 v22, s67, v20
	s_and_b64 s[58:59], vcc, s[18:19]
	v_cmp_gt_u32_e64 s[18:19], s21, v36
	v_or_b32_e32 v38, 56, v4
	v_add_u32_e32 v24, s67, v22
	s_and_b64 s[60:61], vcc, s[18:19]
	v_cmp_gt_u32_e64 s[18:19], s21, v38
	v_or_b32_e32 v41, 60, v4
	v_add_u32_e32 v26, s67, v24
	s_and_b64 s[62:63], vcc, s[18:19]
	v_cmp_gt_u32_e64 s[18:19], s21, v41
	v_mul_f32_e32 v41, 0x4f7ffffe, v42
	v_add_u32_e32 v30, s67, v26
	v_cvt_u32_f32_e32 v42, v41
	v_add_u32_e32 v32, s67, v30
	v_add_u32_e32 v34, s67, v32
	;; [unrolled: 1-line block ×3, first 2 shown]
	s_and_b64 s[64:65], vcc, s[18:19]
	s_sub_i32 s18, 0, s97
	s_mov_b32 s66, 0
	v_add_u32_e32 v38, s67, v36
	v_mul_lo_u32 v43, s18, v42
	v_add_u32_e32 v40, s67, v38
	v_mul_hi_u32 v43, v42, v43
	s_mov_b32 s67, s66
	s_mul_hi_u32 s33, s21, s21
	s_mul_i32 s96, s21, s21
	v_mov_b32_e32 v1, v5
	v_mov_b32_e32 v13, v5
	v_mov_b32_e32 v15, v5
	v_mov_b32_e32 v17, v5
	v_mov_b32_e32 v19, v5
	v_mov_b32_e32 v21, v5
	v_mov_b32_e32 v23, v5
	v_mov_b32_e32 v25, v5
	v_mov_b32_e32 v27, v5
	v_mov_b32_e32 v31, v5
	v_mov_b32_e32 v33, v5
	v_mov_b32_e32 v35, v5
	v_mov_b32_e32 v37, v5
	v_mov_b32_e32 v39, v5
	v_mov_b32_e32 v41, v5
	s_ashr_i32 s98, s21, 31
	v_add_u32_e32 v60, v42, v43
	v_mov_b64_e32 v[44:45], 0
	v_mov_b64_e32 v[42:43], s[66:67]
	s_mov_b64 s[70:71], 0xa0
	s_mov_b64 s[72:73], 0xc0
	;; [unrolled: 1-line block ×11, first 2 shown]
	v_mov_b32_e32 v61, 1
	s_branch .LBB88_7
.LBB88_6:                               ;   in Loop: Header=BB88_7 Depth=1
	s_or_b64 exec, exec, s[92:93]
	s_waitcnt lgkmcnt(0)
	s_barrier
	ds_read_b32 v44, v5
	s_add_u32 s30, s18, s30
	s_addc_u32 s31, s19, s31
	s_waitcnt lgkmcnt(0)
	s_barrier
	v_cmp_gt_i32_e32 vcc, s20, v44
	v_ashrrev_i32_e32 v45, 31, v44
	s_cbranch_vccz .LBB88_65
.LBB88_7:                               ; =>This Loop Header: Depth=1
                                        ;     Child Loop BB88_10 Depth 2
	v_lshl_add_u64 v[28:29], v[28:29], 0, v[4:5]
	v_cmp_lt_i64_e32 vcc, v[28:29], v[2:3]
	v_mov_b32_e32 v62, s20
	v_mov_b64_e32 v[50:51], v[2:3]
	ds_write_b8 v5, v5 offset:32768
	ds_write2_b64 v59, v[42:43], v[42:43] offset1:4
	ds_write2_b64 v59, v[42:43], v[42:43] offset0:8 offset1:12
	ds_write2_b64 v59, v[42:43], v[42:43] offset0:16 offset1:20
	;; [unrolled: 1-line block ×7, first 2 shown]
	s_waitcnt lgkmcnt(0)
	s_barrier
	s_and_saveexec_b64 s[92:93], vcc
	s_cbranch_execz .LBB88_15
; %bb.8:                                ;   in Loop: Header=BB88_7 Depth=1
	v_lshl_add_u64 v[46:47], v[28:29], 3, s[26:27]
	v_lshl_add_u64 v[48:49], v[28:29], 2, s[28:29]
	s_mov_b64 s[94:95], 0
	v_mov_b32_e32 v62, s20
	v_mov_b64_e32 v[50:51], v[2:3]
	s_branch .LBB88_10
.LBB88_9:                               ;   in Loop: Header=BB88_10 Depth=2
	s_or_b64 exec, exec, s[18:19]
	v_lshl_add_u64 v[28:29], v[28:29], 0, 4
	v_cmp_ge_i64_e64 s[18:19], v[28:29], v[2:3]
	s_xor_b64 s[66:67], vcc, -1
	s_or_b64 s[18:19], s[66:67], s[18:19]
	s_and_b64 s[18:19], exec, s[18:19]
	v_lshl_add_u64 v[46:47], v[46:47], 0, 32
	s_or_b64 s[94:95], s[18:19], s[94:95]
	v_lshl_add_u64 v[48:49], v[48:49], 0, 16
	s_andn2_b64 exec, exec, s[94:95]
	s_cbranch_execz .LBB88_14
.LBB88_10:                              ;   Parent Loop BB88_7 Depth=1
                                        ; =>  This Inner Loop Header: Depth=2
	global_load_dword v52, v[48:49], off
	s_waitcnt vmcnt(0)
	v_subrev_u32_e32 v63, s22, v52
	v_sub_u32_e32 v53, 0, v63
	v_max_i32_e32 v53, v63, v53
	v_mul_hi_u32 v54, v53, v60
	v_mul_lo_u32 v55, v54, s97
	v_sub_u32_e32 v53, v53, v55
	v_add_u32_e32 v64, 1, v54
	v_cmp_le_u32_e32 vcc, s97, v53
	v_subrev_u32_e32 v55, s97, v53
	v_ashrrev_i32_e32 v52, 31, v63
	v_cndmask_b32_e32 v54, v54, v64, vcc
	v_cndmask_b32_e32 v53, v53, v55, vcc
	v_add_u32_e32 v55, 1, v54
	v_cmp_le_u32_e32 vcc, s97, v53
	v_xor_b32_e32 v52, s98, v52
	s_nop 0
	v_cndmask_b32_e32 v53, v54, v55, vcc
	v_xor_b32_e32 v53, v53, v52
	v_sub_u32_e32 v52, v53, v52
	v_ashrrev_i32_e32 v53, 31, v52
	v_cmp_eq_u64_e32 vcc, v[44:45], v[52:53]
	v_cmp_ne_u64_e64 s[18:19], v[44:45], v[52:53]
	v_mov_b64_e32 v[54:55], v[50:51]
	s_and_saveexec_b64 s[66:67], s[18:19]
	s_xor_b64 s[18:19], exec, s[66:67]
; %bb.11:                               ;   in Loop: Header=BB88_10 Depth=2
	v_min_i32_e32 v62, v52, v62
                                        ; implicit-def: $vgpr52
                                        ; implicit-def: $vgpr63
                                        ; implicit-def: $vgpr54_vgpr55
; %bb.12:                               ;   in Loop: Header=BB88_10 Depth=2
	s_or_saveexec_b64 s[18:19], s[18:19]
	v_mov_b64_e32 v[50:51], v[28:29]
	s_xor_b64 exec, exec, s[18:19]
	s_cbranch_execz .LBB88_9
; %bb.13:                               ;   in Loop: Header=BB88_10 Depth=2
	global_load_dwordx2 v[50:51], v[46:47], off
	v_mul_lo_u32 v52, v52, s21
	v_sub_u32_e32 v52, v63, v52
	v_add_lshl_u32 v52, v52, v56, 3
	ds_write_b8 v5, v61 offset:32768
	s_waitcnt vmcnt(0)
	ds_write_b64 v52, v[50:51]
	v_mov_b64_e32 v[50:51], v[54:55]
	s_branch .LBB88_9
.LBB88_14:                              ;   in Loop: Header=BB88_7 Depth=1
	s_or_b64 exec, exec, s[94:95]
.LBB88_15:                              ;   in Loop: Header=BB88_7 Depth=1
	s_or_b64 exec, exec, s[92:93]
	v_mov_b32_dpp v28, v50 row_shr:1 row_mask:0xf bank_mask:0xf
	v_mov_b32_dpp v29, v51 row_shr:1 row_mask:0xf bank_mask:0xf
	v_cmp_lt_i64_e32 vcc, v[28:29], v[50:51]
	s_waitcnt lgkmcnt(0)
	s_barrier
	v_cndmask_b32_e32 v29, v51, v29, vcc
	v_cndmask_b32_e32 v28, v50, v28, vcc
	s_nop 0
	v_mov_b32_dpp v47, v29 row_shr:2 row_mask:0xf bank_mask:0xf
	v_mov_b32_dpp v46, v28 row_shr:2 row_mask:0xf bank_mask:0xf
	v_cmp_lt_i64_e32 vcc, v[46:47], v[28:29]
	ds_read_u8 v45, v5 offset:32768
	s_mov_b64 s[18:19], 0
	v_cndmask_b32_e32 v29, v29, v47, vcc
	v_cndmask_b32_e32 v28, v28, v46, vcc
	ds_bpermute_b32 v28, v57, v28
	ds_bpermute_b32 v29, v57, v29
	s_waitcnt lgkmcnt(2)
	v_cmp_eq_u32_e32 vcc, 0, v45
	s_cbranch_vccnz .LBB88_34
; %bb.16:                               ;   in Loop: Header=BB88_7 Depth=1
	s_lshl_b64 s[18:19], s[30:31], 2
	s_add_u32 s18, s24, s18
	v_add_u32_e32 v44, s23, v44
	s_addc_u32 s19, s25, s19
	global_store_dword v5, v44, s[18:19]
	s_mul_i32 s18, s96, s31
	s_mul_hi_u32 s19, s96, s30
	s_add_i32 s18, s19, s18
	s_mul_i32 s19, s33, s30
	s_add_i32 s19, s18, s19
	s_mul_i32 s18, s96, s30
	s_lshl_b64 s[18:19], s[18:19], 3
	v_lshl_add_u64 v[44:45], v[6:7], 0, s[18:19]
	v_lshl_add_u64 v[46:47], v[8:9], 0, s[18:19]
	s_and_saveexec_b64 s[18:19], s[34:35]
	s_cbranch_execnz .LBB88_50
; %bb.17:                               ;   in Loop: Header=BB88_7 Depth=1
	s_or_b64 exec, exec, s[18:19]
	s_and_saveexec_b64 s[18:19], s[36:37]
	s_cbranch_execnz .LBB88_51
.LBB88_18:                              ;   in Loop: Header=BB88_7 Depth=1
	s_or_b64 exec, exec, s[18:19]
	s_and_saveexec_b64 s[18:19], s[38:39]
	s_cbranch_execnz .LBB88_52
.LBB88_19:                              ;   in Loop: Header=BB88_7 Depth=1
	s_or_b64 exec, exec, s[18:19]
	s_and_saveexec_b64 s[18:19], s[40:41]
	s_cbranch_execnz .LBB88_53
.LBB88_20:                              ;   in Loop: Header=BB88_7 Depth=1
	s_or_b64 exec, exec, s[18:19]
	s_and_saveexec_b64 s[18:19], s[42:43]
	s_cbranch_execnz .LBB88_54
.LBB88_21:                              ;   in Loop: Header=BB88_7 Depth=1
	s_or_b64 exec, exec, s[18:19]
	s_and_saveexec_b64 s[18:19], s[44:45]
	s_cbranch_execnz .LBB88_55
.LBB88_22:                              ;   in Loop: Header=BB88_7 Depth=1
	s_or_b64 exec, exec, s[18:19]
	s_and_saveexec_b64 s[18:19], s[46:47]
	s_cbranch_execnz .LBB88_56
.LBB88_23:                              ;   in Loop: Header=BB88_7 Depth=1
	s_or_b64 exec, exec, s[18:19]
	s_and_saveexec_b64 s[18:19], s[48:49]
	s_cbranch_execnz .LBB88_57
.LBB88_24:                              ;   in Loop: Header=BB88_7 Depth=1
	s_or_b64 exec, exec, s[18:19]
	s_and_saveexec_b64 s[18:19], s[50:51]
	s_cbranch_execnz .LBB88_58
.LBB88_25:                              ;   in Loop: Header=BB88_7 Depth=1
	s_or_b64 exec, exec, s[18:19]
	s_and_saveexec_b64 s[18:19], s[52:53]
	s_cbranch_execnz .LBB88_59
.LBB88_26:                              ;   in Loop: Header=BB88_7 Depth=1
	s_or_b64 exec, exec, s[18:19]
	s_and_saveexec_b64 s[18:19], s[54:55]
	s_cbranch_execnz .LBB88_60
.LBB88_27:                              ;   in Loop: Header=BB88_7 Depth=1
	s_or_b64 exec, exec, s[18:19]
	s_and_saveexec_b64 s[18:19], s[56:57]
	s_cbranch_execnz .LBB88_61
.LBB88_28:                              ;   in Loop: Header=BB88_7 Depth=1
	s_or_b64 exec, exec, s[18:19]
	s_and_saveexec_b64 s[18:19], s[58:59]
	s_cbranch_execnz .LBB88_62
.LBB88_29:                              ;   in Loop: Header=BB88_7 Depth=1
	s_or_b64 exec, exec, s[18:19]
	s_and_saveexec_b64 s[18:19], s[60:61]
	s_cbranch_execnz .LBB88_63
.LBB88_30:                              ;   in Loop: Header=BB88_7 Depth=1
	s_or_b64 exec, exec, s[18:19]
	s_and_saveexec_b64 s[18:19], s[62:63]
	s_cbranch_execnz .LBB88_64
.LBB88_31:                              ;   in Loop: Header=BB88_7 Depth=1
	s_or_b64 exec, exec, s[18:19]
	s_and_saveexec_b64 s[18:19], s[64:65]
	s_cbranch_execz .LBB88_33
.LBB88_32:                              ;   in Loop: Header=BB88_7 Depth=1
	ds_read_b64 v[48:49], v59 offset:480
	v_lshl_add_u64 v[46:47], v[46:47], 0, s[90:91]
	v_lshl_add_u64 v[44:45], v[40:41], 3, v[44:45]
	v_cndmask_b32_e64 v45, v45, v47, s[0:1]
	v_cndmask_b32_e64 v44, v44, v46, s[0:1]
	s_waitcnt lgkmcnt(0)
	global_store_dwordx2 v[44:45], v[48:49], off
.LBB88_33:                              ;   in Loop: Header=BB88_7 Depth=1
	s_or_b64 exec, exec, s[18:19]
	s_mov_b64 s[18:19], 1
.LBB88_34:                              ;   in Loop: Header=BB88_7 Depth=1
	s_waitcnt lgkmcnt(0)
	s_barrier
	ds_write_b32 v58, v62
	s_waitcnt lgkmcnt(0)
	s_barrier
	s_and_saveexec_b64 s[92:93], s[2:3]
	s_cbranch_execz .LBB88_36
; %bb.35:                               ;   in Loop: Header=BB88_7 Depth=1
	ds_read2st64_b32 v[44:45], v58 offset1:2
	s_waitcnt lgkmcnt(0)
	v_min_i32_e32 v44, v45, v44
	ds_write_b32 v58, v44
.LBB88_36:                              ;   in Loop: Header=BB88_7 Depth=1
	s_or_b64 exec, exec, s[92:93]
	s_waitcnt lgkmcnt(0)
	s_barrier
	s_and_saveexec_b64 s[92:93], s[4:5]
	s_cbranch_execz .LBB88_38
; %bb.37:                               ;   in Loop: Header=BB88_7 Depth=1
	ds_read2st64_b32 v[44:45], v58 offset1:1
	s_waitcnt lgkmcnt(0)
	v_min_i32_e32 v44, v45, v44
	ds_write_b32 v58, v44
.LBB88_38:                              ;   in Loop: Header=BB88_7 Depth=1
	s_or_b64 exec, exec, s[92:93]
	s_waitcnt lgkmcnt(0)
	s_barrier
	s_and_saveexec_b64 s[92:93], s[6:7]
	s_cbranch_execz .LBB88_40
; %bb.39:                               ;   in Loop: Header=BB88_7 Depth=1
	ds_read2_b32 v[44:45], v58 offset1:32
	s_waitcnt lgkmcnt(0)
	v_min_i32_e32 v44, v45, v44
	ds_write_b32 v58, v44
.LBB88_40:                              ;   in Loop: Header=BB88_7 Depth=1
	s_or_b64 exec, exec, s[92:93]
	s_waitcnt lgkmcnt(0)
	s_barrier
	s_and_saveexec_b64 s[92:93], s[8:9]
	s_cbranch_execz .LBB88_42
; %bb.41:                               ;   in Loop: Header=BB88_7 Depth=1
	ds_read2_b32 v[44:45], v58 offset1:16
	s_waitcnt lgkmcnt(0)
	v_min_i32_e32 v44, v45, v44
	ds_write_b32 v58, v44
.LBB88_42:                              ;   in Loop: Header=BB88_7 Depth=1
	;; [unrolled: 11-line block ×5, first 2 shown]
	s_or_b64 exec, exec, s[92:93]
	s_waitcnt lgkmcnt(0)
	s_barrier
	s_and_saveexec_b64 s[92:93], s[16:17]
	s_cbranch_execz .LBB88_6
; %bb.49:                               ;   in Loop: Header=BB88_7 Depth=1
	ds_read_b64 v[44:45], v5
	s_waitcnt lgkmcnt(0)
	v_min_i32_e32 v44, v45, v44
	ds_write_b32 v5, v44
	s_branch .LBB88_6
.LBB88_50:                              ;   in Loop: Header=BB88_7 Depth=1
	ds_read_b64 v[48:49], v59
	v_lshl_add_u64 v[50:51], v[0:1], 3, v[44:45]
	v_cndmask_b32_e64 v51, v51, v47, s[0:1]
	v_cndmask_b32_e64 v50, v50, v46, s[0:1]
	s_waitcnt lgkmcnt(0)
	global_store_dwordx2 v[50:51], v[48:49], off
	s_or_b64 exec, exec, s[18:19]
	s_and_saveexec_b64 s[18:19], s[36:37]
	s_cbranch_execz .LBB88_18
.LBB88_51:                              ;   in Loop: Header=BB88_7 Depth=1
	ds_read_b64 v[48:49], v59 offset:32
	v_lshl_add_u64 v[50:51], v[46:47], 0, 32
	v_lshl_add_u64 v[52:53], v[10:11], 3, v[44:45]
	v_cndmask_b32_e64 v51, v53, v51, s[0:1]
	v_cndmask_b32_e64 v50, v52, v50, s[0:1]
	s_waitcnt lgkmcnt(0)
	global_store_dwordx2 v[50:51], v[48:49], off
	s_or_b64 exec, exec, s[18:19]
	s_and_saveexec_b64 s[18:19], s[38:39]
	s_cbranch_execz .LBB88_19
.LBB88_52:                              ;   in Loop: Header=BB88_7 Depth=1
	ds_read_b64 v[48:49], v59 offset:64
	v_lshl_add_u64 v[50:51], v[46:47], 0, 64
	v_lshl_add_u64 v[52:53], v[12:13], 3, v[44:45]
	v_cndmask_b32_e64 v51, v53, v51, s[0:1]
	v_cndmask_b32_e64 v50, v52, v50, s[0:1]
	s_waitcnt lgkmcnt(0)
	global_store_dwordx2 v[50:51], v[48:49], off
	s_or_b64 exec, exec, s[18:19]
	s_and_saveexec_b64 s[18:19], s[40:41]
	s_cbranch_execz .LBB88_20
.LBB88_53:                              ;   in Loop: Header=BB88_7 Depth=1
	ds_read_b64 v[48:49], v59 offset:96
	s_mov_b64 s[66:67], 0x60
	v_lshl_add_u64 v[50:51], v[46:47], 0, s[66:67]
	v_lshl_add_u64 v[52:53], v[14:15], 3, v[44:45]
	v_cndmask_b32_e64 v51, v53, v51, s[0:1]
	v_cndmask_b32_e64 v50, v52, v50, s[0:1]
	s_waitcnt lgkmcnt(0)
	global_store_dwordx2 v[50:51], v[48:49], off
	s_or_b64 exec, exec, s[18:19]
	s_and_saveexec_b64 s[18:19], s[42:43]
	s_cbranch_execz .LBB88_21
.LBB88_54:                              ;   in Loop: Header=BB88_7 Depth=1
	ds_read_b64 v[48:49], v59 offset:128
	s_mov_b64 s[66:67], 0x80
	v_lshl_add_u64 v[50:51], v[46:47], 0, s[66:67]
	v_lshl_add_u64 v[52:53], v[16:17], 3, v[44:45]
	v_cndmask_b32_e64 v51, v53, v51, s[0:1]
	v_cndmask_b32_e64 v50, v52, v50, s[0:1]
	s_waitcnt lgkmcnt(0)
	global_store_dwordx2 v[50:51], v[48:49], off
	s_or_b64 exec, exec, s[18:19]
	s_and_saveexec_b64 s[18:19], s[44:45]
	s_cbranch_execz .LBB88_22
.LBB88_55:                              ;   in Loop: Header=BB88_7 Depth=1
	ds_read_b64 v[48:49], v59 offset:160
	v_lshl_add_u64 v[50:51], v[46:47], 0, s[70:71]
	v_lshl_add_u64 v[52:53], v[18:19], 3, v[44:45]
	v_cndmask_b32_e64 v51, v53, v51, s[0:1]
	v_cndmask_b32_e64 v50, v52, v50, s[0:1]
	s_waitcnt lgkmcnt(0)
	global_store_dwordx2 v[50:51], v[48:49], off
	s_or_b64 exec, exec, s[18:19]
	s_and_saveexec_b64 s[18:19], s[46:47]
	s_cbranch_execz .LBB88_23
.LBB88_56:                              ;   in Loop: Header=BB88_7 Depth=1
	ds_read_b64 v[48:49], v59 offset:192
	v_lshl_add_u64 v[50:51], v[46:47], 0, s[72:73]
	v_lshl_add_u64 v[52:53], v[20:21], 3, v[44:45]
	v_cndmask_b32_e64 v51, v53, v51, s[0:1]
	v_cndmask_b32_e64 v50, v52, v50, s[0:1]
	s_waitcnt lgkmcnt(0)
	global_store_dwordx2 v[50:51], v[48:49], off
	s_or_b64 exec, exec, s[18:19]
	s_and_saveexec_b64 s[18:19], s[48:49]
	s_cbranch_execz .LBB88_24
.LBB88_57:                              ;   in Loop: Header=BB88_7 Depth=1
	ds_read_b64 v[48:49], v59 offset:224
	v_lshl_add_u64 v[50:51], v[46:47], 0, s[74:75]
	v_lshl_add_u64 v[52:53], v[22:23], 3, v[44:45]
	v_cndmask_b32_e64 v51, v53, v51, s[0:1]
	v_cndmask_b32_e64 v50, v52, v50, s[0:1]
	s_waitcnt lgkmcnt(0)
	global_store_dwordx2 v[50:51], v[48:49], off
	s_or_b64 exec, exec, s[18:19]
	s_and_saveexec_b64 s[18:19], s[50:51]
	s_cbranch_execz .LBB88_25
.LBB88_58:                              ;   in Loop: Header=BB88_7 Depth=1
	ds_read_b64 v[48:49], v59 offset:256
	v_lshl_add_u64 v[50:51], v[46:47], 0, s[76:77]
	v_lshl_add_u64 v[52:53], v[24:25], 3, v[44:45]
	v_cndmask_b32_e64 v51, v53, v51, s[0:1]
	v_cndmask_b32_e64 v50, v52, v50, s[0:1]
	s_waitcnt lgkmcnt(0)
	global_store_dwordx2 v[50:51], v[48:49], off
	s_or_b64 exec, exec, s[18:19]
	s_and_saveexec_b64 s[18:19], s[52:53]
	s_cbranch_execz .LBB88_26
.LBB88_59:                              ;   in Loop: Header=BB88_7 Depth=1
	ds_read_b64 v[48:49], v59 offset:288
	v_lshl_add_u64 v[50:51], v[46:47], 0, s[78:79]
	v_lshl_add_u64 v[52:53], v[26:27], 3, v[44:45]
	v_cndmask_b32_e64 v51, v53, v51, s[0:1]
	v_cndmask_b32_e64 v50, v52, v50, s[0:1]
	s_waitcnt lgkmcnt(0)
	global_store_dwordx2 v[50:51], v[48:49], off
	s_or_b64 exec, exec, s[18:19]
	s_and_saveexec_b64 s[18:19], s[54:55]
	s_cbranch_execz .LBB88_27
.LBB88_60:                              ;   in Loop: Header=BB88_7 Depth=1
	ds_read_b64 v[48:49], v59 offset:320
	v_lshl_add_u64 v[50:51], v[46:47], 0, s[80:81]
	v_lshl_add_u64 v[52:53], v[30:31], 3, v[44:45]
	v_cndmask_b32_e64 v51, v53, v51, s[0:1]
	v_cndmask_b32_e64 v50, v52, v50, s[0:1]
	s_waitcnt lgkmcnt(0)
	global_store_dwordx2 v[50:51], v[48:49], off
	s_or_b64 exec, exec, s[18:19]
	s_and_saveexec_b64 s[18:19], s[56:57]
	s_cbranch_execz .LBB88_28
.LBB88_61:                              ;   in Loop: Header=BB88_7 Depth=1
	ds_read_b64 v[48:49], v59 offset:352
	v_lshl_add_u64 v[50:51], v[46:47], 0, s[82:83]
	v_lshl_add_u64 v[52:53], v[32:33], 3, v[44:45]
	v_cndmask_b32_e64 v51, v53, v51, s[0:1]
	v_cndmask_b32_e64 v50, v52, v50, s[0:1]
	s_waitcnt lgkmcnt(0)
	global_store_dwordx2 v[50:51], v[48:49], off
	s_or_b64 exec, exec, s[18:19]
	s_and_saveexec_b64 s[18:19], s[58:59]
	s_cbranch_execz .LBB88_29
.LBB88_62:                              ;   in Loop: Header=BB88_7 Depth=1
	ds_read_b64 v[48:49], v59 offset:384
	v_lshl_add_u64 v[50:51], v[46:47], 0, s[84:85]
	v_lshl_add_u64 v[52:53], v[34:35], 3, v[44:45]
	v_cndmask_b32_e64 v51, v53, v51, s[0:1]
	v_cndmask_b32_e64 v50, v52, v50, s[0:1]
	s_waitcnt lgkmcnt(0)
	global_store_dwordx2 v[50:51], v[48:49], off
	s_or_b64 exec, exec, s[18:19]
	s_and_saveexec_b64 s[18:19], s[60:61]
	s_cbranch_execz .LBB88_30
.LBB88_63:                              ;   in Loop: Header=BB88_7 Depth=1
	ds_read_b64 v[48:49], v59 offset:416
	v_lshl_add_u64 v[50:51], v[46:47], 0, s[86:87]
	v_lshl_add_u64 v[52:53], v[36:37], 3, v[44:45]
	v_cndmask_b32_e64 v51, v53, v51, s[0:1]
	v_cndmask_b32_e64 v50, v52, v50, s[0:1]
	s_waitcnt lgkmcnt(0)
	global_store_dwordx2 v[50:51], v[48:49], off
	s_or_b64 exec, exec, s[18:19]
	s_and_saveexec_b64 s[18:19], s[62:63]
	s_cbranch_execz .LBB88_31
.LBB88_64:                              ;   in Loop: Header=BB88_7 Depth=1
	ds_read_b64 v[48:49], v59 offset:448
	v_lshl_add_u64 v[50:51], v[46:47], 0, s[88:89]
	v_lshl_add_u64 v[52:53], v[38:39], 3, v[44:45]
	v_cndmask_b32_e64 v51, v53, v51, s[0:1]
	v_cndmask_b32_e64 v50, v52, v50, s[0:1]
	s_waitcnt lgkmcnt(0)
	global_store_dwordx2 v[50:51], v[48:49], off
	s_or_b64 exec, exec, s[18:19]
	s_and_saveexec_b64 s[18:19], s[64:65]
	s_cbranch_execnz .LBB88_32
	s_branch .LBB88_33
.LBB88_65:
	s_endpgm
	.section	.rodata,"a",@progbits
	.p2align	6, 0x0
	.amdhsa_kernel _ZN9rocsparseL38csr2bsr_block_per_row_multipass_kernelILj256ELj64E21rocsparse_complex_numIfEliEEv20rocsparse_direction_T3_S4_S4_S4_S4_21rocsparse_index_base_PKT1_PKT2_PKS4_S5_PS6_PS9_PS4_
		.amdhsa_group_segment_fixed_size 32772
		.amdhsa_private_segment_fixed_size 0
		.amdhsa_kernarg_size 88
		.amdhsa_user_sgpr_count 2
		.amdhsa_user_sgpr_dispatch_ptr 0
		.amdhsa_user_sgpr_queue_ptr 0
		.amdhsa_user_sgpr_kernarg_segment_ptr 1
		.amdhsa_user_sgpr_dispatch_id 0
		.amdhsa_user_sgpr_kernarg_preload_length 0
		.amdhsa_user_sgpr_kernarg_preload_offset 0
		.amdhsa_user_sgpr_private_segment_size 0
		.amdhsa_uses_dynamic_stack 0
		.amdhsa_enable_private_segment 0
		.amdhsa_system_sgpr_workgroup_id_x 1
		.amdhsa_system_sgpr_workgroup_id_y 0
		.amdhsa_system_sgpr_workgroup_id_z 0
		.amdhsa_system_sgpr_workgroup_info 0
		.amdhsa_system_vgpr_workitem_id 0
		.amdhsa_next_free_vgpr 65
		.amdhsa_next_free_sgpr 99
		.amdhsa_accum_offset 68
		.amdhsa_reserve_vcc 1
		.amdhsa_float_round_mode_32 0
		.amdhsa_float_round_mode_16_64 0
		.amdhsa_float_denorm_mode_32 3
		.amdhsa_float_denorm_mode_16_64 3
		.amdhsa_dx10_clamp 1
		.amdhsa_ieee_mode 1
		.amdhsa_fp16_overflow 0
		.amdhsa_tg_split 0
		.amdhsa_exception_fp_ieee_invalid_op 0
		.amdhsa_exception_fp_denorm_src 0
		.amdhsa_exception_fp_ieee_div_zero 0
		.amdhsa_exception_fp_ieee_overflow 0
		.amdhsa_exception_fp_ieee_underflow 0
		.amdhsa_exception_fp_ieee_inexact 0
		.amdhsa_exception_int_div_zero 0
	.end_amdhsa_kernel
	.section	.text._ZN9rocsparseL38csr2bsr_block_per_row_multipass_kernelILj256ELj64E21rocsparse_complex_numIfEliEEv20rocsparse_direction_T3_S4_S4_S4_S4_21rocsparse_index_base_PKT1_PKT2_PKS4_S5_PS6_PS9_PS4_,"axG",@progbits,_ZN9rocsparseL38csr2bsr_block_per_row_multipass_kernelILj256ELj64E21rocsparse_complex_numIfEliEEv20rocsparse_direction_T3_S4_S4_S4_S4_21rocsparse_index_base_PKT1_PKT2_PKS4_S5_PS6_PS9_PS4_,comdat
.Lfunc_end88:
	.size	_ZN9rocsparseL38csr2bsr_block_per_row_multipass_kernelILj256ELj64E21rocsparse_complex_numIfEliEEv20rocsparse_direction_T3_S4_S4_S4_S4_21rocsparse_index_base_PKT1_PKT2_PKS4_S5_PS6_PS9_PS4_, .Lfunc_end88-_ZN9rocsparseL38csr2bsr_block_per_row_multipass_kernelILj256ELj64E21rocsparse_complex_numIfEliEEv20rocsparse_direction_T3_S4_S4_S4_S4_21rocsparse_index_base_PKT1_PKT2_PKS4_S5_PS6_PS9_PS4_
                                        ; -- End function
	.section	.AMDGPU.csdata,"",@progbits
; Kernel info:
; codeLenInByte = 3248
; NumSgprs: 105
; NumVgprs: 65
; NumAgprs: 0
; TotalNumVgprs: 65
; ScratchSize: 0
; MemoryBound: 0
; FloatMode: 240
; IeeeMode: 1
; LDSByteSize: 32772 bytes/workgroup (compile time only)
; SGPRBlocks: 13
; VGPRBlocks: 8
; NumSGPRsForWavesPerEU: 105
; NumVGPRsForWavesPerEU: 65
; AccumOffset: 68
; Occupancy: 1
; WaveLimiterHint : 0
; COMPUTE_PGM_RSRC2:SCRATCH_EN: 0
; COMPUTE_PGM_RSRC2:USER_SGPR: 2
; COMPUTE_PGM_RSRC2:TRAP_HANDLER: 0
; COMPUTE_PGM_RSRC2:TGID_X_EN: 1
; COMPUTE_PGM_RSRC2:TGID_Y_EN: 0
; COMPUTE_PGM_RSRC2:TGID_Z_EN: 0
; COMPUTE_PGM_RSRC2:TIDIG_COMP_CNT: 0
; COMPUTE_PGM_RSRC3_GFX90A:ACCUM_OFFSET: 16
; COMPUTE_PGM_RSRC3_GFX90A:TG_SPLIT: 0
	.section	.text._ZN9rocsparseL21csr2bsr_65_inf_kernelILj32E21rocsparse_complex_numIfEliEEv20rocsparse_direction_T2_S4_S4_S4_S4_S4_21rocsparse_index_base_PKT0_PKT1_PKS4_S5_PS6_PS9_PS4_SF_SG_SE_,"axG",@progbits,_ZN9rocsparseL21csr2bsr_65_inf_kernelILj32E21rocsparse_complex_numIfEliEEv20rocsparse_direction_T2_S4_S4_S4_S4_S4_21rocsparse_index_base_PKT0_PKT1_PKS4_S5_PS6_PS9_PS4_SF_SG_SE_,comdat
	.globl	_ZN9rocsparseL21csr2bsr_65_inf_kernelILj32E21rocsparse_complex_numIfEliEEv20rocsparse_direction_T2_S4_S4_S4_S4_S4_21rocsparse_index_base_PKT0_PKT1_PKS4_S5_PS6_PS9_PS4_SF_SG_SE_ ; -- Begin function _ZN9rocsparseL21csr2bsr_65_inf_kernelILj32E21rocsparse_complex_numIfEliEEv20rocsparse_direction_T2_S4_S4_S4_S4_S4_21rocsparse_index_base_PKT0_PKT1_PKS4_S5_PS6_PS9_PS4_SF_SG_SE_
	.p2align	8
	.type	_ZN9rocsparseL21csr2bsr_65_inf_kernelILj32E21rocsparse_complex_numIfEliEEv20rocsparse_direction_T2_S4_S4_S4_S4_S4_21rocsparse_index_base_PKT0_PKT1_PKS4_S5_PS6_PS9_PS4_SF_SG_SE_,@function
_ZN9rocsparseL21csr2bsr_65_inf_kernelILj32E21rocsparse_complex_numIfEliEEv20rocsparse_direction_T2_S4_S4_S4_S4_S4_21rocsparse_index_base_PKT0_PKT1_PKS4_S5_PS6_PS9_PS4_SF_SG_SE_: ; @_ZN9rocsparseL21csr2bsr_65_inf_kernelILj32E21rocsparse_complex_numIfEliEEv20rocsparse_direction_T2_S4_S4_S4_S4_S4_21rocsparse_index_base_PKT0_PKT1_PKS4_S5_PS6_PS9_PS4_SF_SG_SE_
; %bb.0:
	s_load_dwordx4 s[8:11], s[0:1], 0x0
	s_load_dwordx2 s[4:5], s[0:1], 0x58
	s_load_dword s33, s[0:1], 0x38
	s_mov_b32 s21, 0
	s_waitcnt lgkmcnt(0)
	s_cmp_ge_i32 s2, s11
	s_mov_b32 s11, 0
	s_cbranch_scc1 .LBB89_2
; %bb.1:
	s_load_dwordx2 s[6:7], s[0:1], 0x48
	s_ashr_i32 s3, s2, 31
	s_lshl_b64 s[12:13], s[2:3], 3
	s_waitcnt lgkmcnt(0)
	s_add_u32 s6, s6, s12
	s_addc_u32 s7, s7, s13
	s_load_dword s3, s[6:7], 0x0
	s_waitcnt lgkmcnt(0)
	s_sub_i32 s11, s3, s33
.LBB89_2:
	s_load_dwordx4 s[12:15], s[0:1], 0x14
	s_waitcnt lgkmcnt(0)
	s_mul_i32 s3, s2, s13
	s_lshl_b32 s20, s3, 6
	s_lshl_b64 s[6:7], s[20:21], 3
	s_add_u32 s22, s4, s6
	v_mul_lo_u32 v6, v0, s13
	s_addc_u32 s23, s5, s7
	s_lshl_b32 s20, s13, 5
	v_ashrrev_i32_e32 v7, 31, v6
	s_cmp_gt_i32 s13, 0
	s_cselect_b64 s[24:25], -1, 0
	s_cmp_lt_i32 s13, 1
	v_lshl_add_u64 v[2:3], v[6:7], 3, s[22:23]
	s_cbranch_scc1 .LBB89_7
; %bb.3:
	s_load_dwordx2 s[6:7], s[0:1], 0x28
	s_mov_b32 s15, 0
	s_mov_b32 s4, s15
	;; [unrolled: 1-line block ×3, first 2 shown]
	s_mul_i32 s3, s2, s12
	s_lshl_b64 s[16:17], s[20:21], 3
	v_mov_b64_e32 v[4:5], s[4:5]
	v_mov_b32_e32 v1, v0
	v_mov_b64_e32 v[8:9], v[2:3]
	s_mov_b32 s18, s13
	s_branch .LBB89_5
.LBB89_4:                               ;   in Loop: Header=BB89_5 Depth=1
	s_or_b64 exec, exec, s[4:5]
	s_add_i32 s18, s18, -1
	v_lshl_add_u64 v[8:9], v[8:9], 0, 8
	s_cmp_eq_u32 s18, 0
	v_add_u32_e32 v1, 32, v1
	s_cbranch_scc1 .LBB89_7
.LBB89_5:                               ; =>This Inner Loop Header: Depth=1
	v_add_u32_e32 v12, s3, v1
	v_cmp_gt_i32_e32 vcc, s9, v12
	v_cmp_gt_u32_e64 s[4:5], s12, v1
	v_lshl_add_u64 v[10:11], v[8:9], 0, s[16:17]
	s_and_b64 s[26:27], s[4:5], vcc
	global_store_dwordx2 v[8:9], v[4:5], off
	global_store_dwordx2 v[10:11], v[4:5], off
	s_and_saveexec_b64 s[4:5], s[26:27]
	s_cbranch_execz .LBB89_4
; %bb.6:                                ;   in Loop: Header=BB89_5 Depth=1
	v_ashrrev_i32_e32 v13, 31, v12
	s_waitcnt lgkmcnt(0)
	v_lshl_add_u64 v[12:13], v[12:13], 3, s[6:7]
	global_load_dwordx4 v[12:15], v[12:13], off
	v_mov_b32_e32 v16, s15
	s_waitcnt vmcnt(0)
	v_subrev_co_u32_e32 v12, vcc, s14, v12
	s_nop 1
	v_subb_co_u32_e32 v13, vcc, v13, v16, vcc
	v_subrev_co_u32_e32 v14, vcc, s14, v14
	s_nop 1
	v_subb_co_u32_e32 v15, vcc, v15, v16, vcc
	global_store_dwordx2 v[8:9], v[12:13], off
	global_store_dwordx2 v[10:11], v[14:15], off
	s_branch .LBB89_4
.LBB89_7:
	s_cmp_lt_i32 s10, 1
	s_cbranch_scc1 .LBB89_37
; %bb.8:
	s_load_dwordx4 s[28:31], s[0:1], 0x60
	s_load_dwordx2 s[4:5], s[0:1], 0x20
	s_waitcnt lgkmcnt(0)
	s_load_dwordx2 s[6:7], s[0:1], 0x50
	s_load_dwordx2 s[16:17], s[0:1], 0x40
	;; [unrolled: 1-line block ×3, first 2 shown]
	s_lshl_b64 s[0:1], s[20:21], 3
	s_add_u32 s0, s22, s0
	s_addc_u32 s1, s23, s1
	v_lshlrev_b64 v[8:9], 3, v[6:7]
	s_mul_i32 s20, s20, s2
	s_mov_b32 s21, 0
	v_lshl_add_u64 v[4:5], s[0:1], 0, v[8:9]
	s_lshl_b64 s[0:1], s[20:21], 2
	s_add_u32 s0, s28, s0
	s_addc_u32 s1, s29, s1
	v_lshl_add_u64 v[6:7], v[6:7], 2, s[0:1]
	s_lshl_b64 s[0:1], s[20:21], 3
	s_add_u32 s0, s30, s0
	s_addc_u32 s1, s31, s1
	s_cmp_lg_u32 s8, 0
	s_cselect_b64 s[8:9], -1, 0
	s_abs_i32 s15, s12
	v_cvt_f32_u32_e32 v1, s15
	v_mbcnt_lo_u32_b32 v11, -1, 0
	v_mbcnt_hi_u32_b32 v11, -1, v11
	v_mov_b32_e32 v12, 0x7c
	v_rcp_iflag_f32_e32 v13, v1
	v_lshl_or_b32 v1, v11, 2, v12
	s_sub_i32 s2, 0, s15
	v_lshl_add_u64 v[8:9], s[0:1], 0, v[8:9]
	v_mul_f32_e32 v11, 0x4f7ffffe, v13
	v_cvt_u32_f32_e32 v11, v11
	v_cmp_eq_u32_e64 s[0:1], 31, v0
	v_mov_b32_e32 v10, 0
	s_add_i32 s38, s11, -1
	v_mul_lo_u32 v12, s2, v11
	v_mul_hi_u32 v12, v11, v12
	v_add_u32_e32 v28, v11, v12
	v_cndmask_b32_e64 v11, 0, 1, s[24:25]
	s_mul_hi_i32 s39, s12, s12
	s_mul_i32 s40, s12, s12
	s_ashr_i32 s41, s12, 31
	v_mul_lo_u32 v29, v0, s12
	s_lshl_b32 s42, s12, 5
	s_mov_b64 s[22:23], 0
	v_cmp_ne_u32_e64 s[2:3], 1, v11
	v_mov_b32_e32 v13, 0
	v_mov_b32_e32 v12, 0
	;; [unrolled: 1-line block ×4, first 2 shown]
	s_branch .LBB89_10
.LBB89_9:                               ;   in Loop: Header=BB89_10 Depth=1
	s_waitcnt lgkmcnt(0)
	v_add_u32_e32 v12, 1, v11
	v_cmp_le_i32_e32 vcc, s10, v12
	s_or_b64 s[22:23], vcc, s[22:23]
	s_andn2_b64 exec, exec, s[22:23]
	s_cbranch_execz .LBB89_37
.LBB89_10:                              ; =>This Loop Header: Depth=1
                                        ;     Child Loop BB89_14 Depth 2
                                        ;       Child Loop BB89_17 Depth 3
                                        ;     Child Loop BB89_31 Depth 2
	s_and_b64 vcc, exec, s[2:3]
	v_mov_b32_e32 v32, s10
	s_cbranch_vccnz .LBB89_23
; %bb.11:                               ;   in Loop: Header=BB89_10 Depth=1
	s_mov_b32 s20, 0
	v_mov_b32_e32 v32, s10
	s_branch .LBB89_14
.LBB89_12:                              ;   in Loop: Header=BB89_14 Depth=2
	s_or_b64 exec, exec, s[26:27]
.LBB89_13:                              ;   in Loop: Header=BB89_14 Depth=2
	s_or_b64 exec, exec, s[24:25]
	s_add_i32 s20, s20, 1
	s_cmp_eq_u32 s20, s13
	s_cbranch_scc1 .LBB89_23
.LBB89_14:                              ;   Parent Loop BB89_10 Depth=1
                                        ; =>  This Loop Header: Depth=2
                                        ;       Child Loop BB89_17 Depth 3
	s_lshl_b64 s[24:25], s[20:21], 3
	v_lshl_add_u64 v[14:15], v[2:3], 0, s[24:25]
	v_lshl_add_u64 v[16:17], v[4:5], 0, s[24:25]
	global_load_dwordx2 v[24:25], v[14:15], off
	global_load_dwordx2 v[22:23], v[16:17], off
	v_lshl_add_u64 v[16:17], v[8:9], 0, s[24:25]
	v_mov_b32_e32 v11, v10
	global_store_dwordx2 v[16:17], v[10:11], off
	v_lshl_add_u64 v[18:19], s[20:21], 2, v[6:7]
	v_mov_b32_e32 v11, s10
	global_store_dword v[18:19], v11, off
	s_waitcnt vmcnt(2)
	v_cmp_lt_i64_e32 vcc, v[24:25], v[22:23]
	s_and_saveexec_b64 s[24:25], vcc
	s_cbranch_execz .LBB89_13
; %bb.15:                               ;   in Loop: Header=BB89_14 Depth=2
	s_waitcnt lgkmcnt(0)
	v_lshl_add_u64 v[26:27], v[24:25], 2, s[18:19]
	s_mov_b64 s[26:27], 0
                                        ; implicit-def: $sgpr28_sgpr29
                                        ; implicit-def: $sgpr34_sgpr35
                                        ; implicit-def: $sgpr30_sgpr31
	s_branch .LBB89_17
.LBB89_16:                              ;   in Loop: Header=BB89_17 Depth=3
	s_or_b64 exec, exec, s[36:37]
	s_and_b64 s[36:37], exec, s[34:35]
	s_or_b64 s[26:27], s[36:37], s[26:27]
	s_andn2_b64 s[28:29], s[28:29], exec
	s_and_b64 s[36:37], s[30:31], exec
	s_or_b64 s[28:29], s[28:29], s[36:37]
	s_andn2_b64 exec, exec, s[26:27]
	s_cbranch_execz .LBB89_19
.LBB89_17:                              ;   Parent Loop BB89_10 Depth=1
                                        ;     Parent Loop BB89_14 Depth=2
                                        ; =>    This Inner Loop Header: Depth=3
	global_load_dword v11, v[26:27], off
	v_mov_b64_e32 v[20:21], v[24:25]
	s_or_b64 s[30:31], s[30:31], exec
	s_or_b64 s[34:35], s[34:35], exec
                                        ; implicit-def: $vgpr24_vgpr25
	s_waitcnt vmcnt(0)
	v_subrev_u32_e32 v11, s14, v11
	v_cmp_lt_i32_e32 vcc, v11, v12
	s_and_saveexec_b64 s[36:37], vcc
	s_cbranch_execz .LBB89_16
; %bb.18:                               ;   in Loop: Header=BB89_17 Depth=3
	v_lshl_add_u64 v[24:25], v[20:21], 0, 1
	v_cmp_ge_i64_e32 vcc, v[24:25], v[22:23]
	s_andn2_b64 s[34:35], s[34:35], exec
	s_and_b64 s[44:45], vcc, exec
	v_lshl_add_u64 v[26:27], v[26:27], 0, 4
	s_andn2_b64 s[30:31], s[30:31], exec
	s_or_b64 s[34:35], s[34:35], s[44:45]
	s_branch .LBB89_16
.LBB89_19:                              ;   in Loop: Header=BB89_14 Depth=2
	s_or_b64 exec, exec, s[26:27]
	s_xor_b64 s[26:27], s[28:29], -1
	v_lshl_add_u64 v[22:23], v[20:21], 3, s[4:5]
	s_and_saveexec_b64 s[28:29], s[26:27]
	s_xor_b64 s[26:27], exec, s[28:29]
	s_cbranch_execz .LBB89_21
; %bb.20:                               ;   in Loop: Header=BB89_14 Depth=2
	global_load_dwordx2 v[14:15], v[22:23], off
                                        ; implicit-def: $vgpr22_vgpr23
	s_waitcnt vmcnt(0)
	global_store_dwordx2 v[16:17], v[14:15], off
	global_store_dword v[18:19], v11, off
                                        ; implicit-def: $vgpr16_vgpr17
                                        ; implicit-def: $vgpr18_vgpr19
                                        ; implicit-def: $vgpr14_vgpr15
.LBB89_21:                              ;   in Loop: Header=BB89_14 Depth=2
	s_andn2_saveexec_b64 s[26:27], s[26:27]
	s_cbranch_execz .LBB89_12
; %bb.22:                               ;   in Loop: Header=BB89_14 Depth=2
	global_load_dwordx2 v[22:23], v[22:23], off
	v_min_i32_e32 v32, v11, v32
	global_store_dword v[18:19], v11, off
	s_waitcnt vmcnt(1)
	global_store_dwordx2 v[16:17], v[22:23], off
	global_store_dwordx2 v[14:15], v[20:21], off
	s_branch .LBB89_12
.LBB89_23:                              ;   in Loop: Header=BB89_10 Depth=1
	s_nop 0
	v_mov_b32_dpp v11, v32 row_shr:1 row_mask:0xf bank_mask:0xf
	v_min_i32_e32 v11, v11, v32
	s_nop 1
	v_mov_b32_dpp v12, v11 row_shr:2 row_mask:0xf bank_mask:0xf
	v_min_i32_e32 v11, v12, v11
	;; [unrolled: 3-line block ×4, first 2 shown]
	s_nop 1
	v_mov_b32_dpp v12, v11 row_bcast:15 row_mask:0xa bank_mask:0xf
	v_min_i32_e32 v11, v12, v11
	v_cmp_gt_i32_e32 vcc, s10, v11
	s_and_b64 s[26:27], s[0:1], vcc
	s_and_saveexec_b64 s[24:25], s[26:27]
	s_cbranch_execz .LBB89_27
; %bb.24:                               ;   in Loop: Header=BB89_10 Depth=1
	v_sub_u32_e32 v14, 0, v11
	v_max_i32_e32 v14, v11, v14
	v_mul_hi_u32 v15, v14, v28
	v_mul_lo_u32 v16, v15, s15
	v_sub_u32_e32 v14, v14, v16
	v_add_u32_e32 v16, 1, v15
	v_cmp_le_u32_e32 vcc, s15, v14
	v_ashrrev_i32_e32 v12, 31, v11
	v_xor_b32_e32 v12, s41, v12
	v_cndmask_b32_e32 v15, v15, v16, vcc
	v_subrev_u32_e32 v16, s15, v14
	v_cndmask_b32_e32 v14, v14, v16, vcc
	v_add_u32_e32 v16, 1, v15
	v_cmp_le_u32_e32 vcc, s15, v14
	s_nop 1
	v_cndmask_b32_e32 v14, v15, v16, vcc
	v_xor_b32_e32 v14, v14, v12
	v_sub_u32_e32 v12, v14, v12
	v_cmp_ge_i32_e32 vcc, v12, v30
	s_and_saveexec_b64 s[26:27], vcc
	s_cbranch_execz .LBB89_26
; %bb.25:                               ;   in Loop: Header=BB89_10 Depth=1
	v_add_u32_e32 v14, s11, v31
	v_add_u32_e32 v16, 1, v31
	v_ashrrev_i32_e32 v15, 31, v14
	v_add_u32_e32 v30, 1, v12
	s_waitcnt lgkmcnt(0)
	v_lshl_add_u64 v[14:15], v[14:15], 2, s[6:7]
	v_add_u32_e32 v12, s33, v12
	v_mov_b32_e32 v31, v16
	global_store_dword v[14:15], v12, off
.LBB89_26:                              ;   in Loop: Header=BB89_10 Depth=1
	s_or_b64 exec, exec, s[26:27]
.LBB89_27:                              ;   in Loop: Header=BB89_10 Depth=1
	s_or_b64 exec, exec, s[24:25]
	ds_bpermute_b32 v11, v1, v11
	ds_bpermute_b32 v31, v1, v31
	s_and_b64 vcc, exec, s[2:3]
	s_cbranch_vccnz .LBB89_9
; %bb.28:                               ;   in Loop: Header=BB89_10 Depth=1
	s_waitcnt lgkmcnt(0)
	v_add_u32_e32 v12, s38, v31
	v_ashrrev_i32_e32 v14, 31, v12
	v_mul_lo_u32 v16, s40, v14
	v_mul_lo_u32 v17, s39, v12
	v_mad_u64_u32 v[14:15], s[24:25], s40, v12, 0
	v_add3_u32 v15, v15, v16, v17
	v_sub_u32_e32 v16, 0, v11
	v_max_i32_e32 v16, v11, v16
	v_mul_hi_u32 v17, v16, v28
	v_mul_lo_u32 v18, v17, s15
	v_sub_u32_e32 v16, v16, v18
	v_add_u32_e32 v18, 1, v17
	v_cmp_le_u32_e32 vcc, s15, v16
	v_ashrrev_i32_e32 v12, 31, v11
	v_xor_b32_e32 v12, s41, v12
	v_cndmask_b32_e32 v17, v17, v18, vcc
	v_subrev_u32_e32 v18, s15, v16
	v_cndmask_b32_e32 v16, v16, v18, vcc
	v_add_u32_e32 v18, 1, v17
	v_cmp_le_u32_e32 vcc, s15, v16
	v_lshl_add_u64 v[14:15], v[14:15], 3, s[16:17]
	s_mov_b32 s20, s13
	v_cndmask_b32_e32 v16, v17, v18, vcc
	v_xor_b32_e32 v16, v16, v12
	v_sub_u32_e32 v32, v16, v12
	v_mov_b64_e32 v[16:17], v[8:9]
	v_mov_b64_e32 v[18:19], v[6:7]
	v_mov_b32_e32 v20, v0
	v_mov_b32_e32 v12, v29
	s_branch .LBB89_31
.LBB89_29:                              ;   in Loop: Header=BB89_31 Depth=2
	v_lshl_add_u64 v[24:25], v[24:25], 3, v[14:15]
	v_lshl_add_u64 v[24:25], v[26:27], 3, v[24:25]
	s_waitcnt vmcnt(0)
	global_store_dwordx2 v[24:25], v[22:23], off
.LBB89_30:                              ;   in Loop: Header=BB89_31 Depth=2
	s_or_b64 exec, exec, s[24:25]
	s_add_i32 s20, s20, -1
	v_add_u32_e32 v12, s42, v12
	v_add_u32_e32 v20, 32, v20
	v_lshl_add_u64 v[18:19], v[18:19], 0, 4
	s_cmp_eq_u32 s20, 0
	v_lshl_add_u64 v[16:17], v[16:17], 0, 8
	s_cbranch_scc1 .LBB89_9
.LBB89_31:                              ;   Parent Loop BB89_10 Depth=1
                                        ; =>  This Inner Loop Header: Depth=2
	global_load_dword v21, v[18:19], off
	s_waitcnt vmcnt(0)
	v_cmp_gt_i32_e32 vcc, s10, v21
	s_and_saveexec_b64 s[24:25], vcc
	s_cbranch_execz .LBB89_30
; %bb.32:                               ;   in Loop: Header=BB89_31 Depth=2
	v_sub_u32_e32 v23, 0, v21
	v_max_i32_e32 v23, v21, v23
	v_mul_hi_u32 v24, v23, v28
	v_mul_lo_u32 v25, v24, s15
	v_sub_u32_e32 v34, v23, v25
	v_add_u32_e32 v23, 1, v24
	v_cmp_le_u32_e32 vcc, s15, v34
	v_subrev_u32_e32 v35, s15, v34
	v_ashrrev_i32_e32 v33, 31, v21
	v_cndmask_b32_e32 v23, v24, v23, vcc
	v_cndmask_b32_e32 v24, v34, v35, vcc
	v_add_u32_e32 v25, 1, v23
	v_cmp_le_u32_e32 vcc, s15, v24
	v_xor_b32_e32 v22, s41, v33
	s_nop 0
	v_cndmask_b32_e32 v23, v23, v25, vcc
	v_xor_b32_e32 v23, v23, v22
	v_sub_u32_e32 v22, v23, v22
	v_cmp_eq_u32_e32 vcc, v22, v32
	s_and_b64 exec, exec, vcc
	s_cbranch_execz .LBB89_30
; %bb.33:                               ;   in Loop: Header=BB89_31 Depth=2
	global_load_dwordx2 v[22:23], v[16:17], off
	s_and_b64 vcc, exec, s[8:9]
	s_cbranch_vccz .LBB89_35
; %bb.34:                               ;   in Loop: Header=BB89_31 Depth=2
	v_mul_lo_u32 v24, v32, s12
	v_sub_u32_e32 v21, v21, v24
	v_mul_lo_u32 v24, v21, s12
	v_mov_b32_e32 v21, v13
	v_ashrrev_i32_e32 v25, 31, v24
	v_mov_b64_e32 v[26:27], v[20:21]
	s_cbranch_execnz .LBB89_29
	s_branch .LBB89_36
.LBB89_35:                              ;   in Loop: Header=BB89_31 Depth=2
                                        ; implicit-def: $vgpr26_vgpr27
                                        ; implicit-def: $vgpr24_vgpr25
.LBB89_36:                              ;   in Loop: Header=BB89_31 Depth=2
	v_cmp_le_u32_e32 vcc, s15, v34
	s_nop 1
	v_cndmask_b32_e32 v21, v34, v35, vcc
	v_subrev_u32_e32 v24, s15, v21
	v_cmp_le_u32_e32 vcc, s15, v21
	s_nop 1
	v_cndmask_b32_e32 v21, v21, v24, vcc
	v_xor_b32_e32 v21, v21, v33
	v_sub_u32_e32 v26, v21, v33
	v_ashrrev_i32_e32 v27, 31, v26
	v_mov_b64_e32 v[24:25], v[12:13]
	s_branch .LBB89_29
.LBB89_37:
	s_endpgm
	.section	.rodata,"a",@progbits
	.p2align	6, 0x0
	.amdhsa_kernel _ZN9rocsparseL21csr2bsr_65_inf_kernelILj32E21rocsparse_complex_numIfEliEEv20rocsparse_direction_T2_S4_S4_S4_S4_S4_21rocsparse_index_base_PKT0_PKT1_PKS4_S5_PS6_PS9_PS4_SF_SG_SE_
		.amdhsa_group_segment_fixed_size 0
		.amdhsa_private_segment_fixed_size 0
		.amdhsa_kernarg_size 112
		.amdhsa_user_sgpr_count 2
		.amdhsa_user_sgpr_dispatch_ptr 0
		.amdhsa_user_sgpr_queue_ptr 0
		.amdhsa_user_sgpr_kernarg_segment_ptr 1
		.amdhsa_user_sgpr_dispatch_id 0
		.amdhsa_user_sgpr_kernarg_preload_length 0
		.amdhsa_user_sgpr_kernarg_preload_offset 0
		.amdhsa_user_sgpr_private_segment_size 0
		.amdhsa_uses_dynamic_stack 0
		.amdhsa_enable_private_segment 0
		.amdhsa_system_sgpr_workgroup_id_x 1
		.amdhsa_system_sgpr_workgroup_id_y 0
		.amdhsa_system_sgpr_workgroup_id_z 0
		.amdhsa_system_sgpr_workgroup_info 0
		.amdhsa_system_vgpr_workitem_id 0
		.amdhsa_next_free_vgpr 36
		.amdhsa_next_free_sgpr 46
		.amdhsa_accum_offset 36
		.amdhsa_reserve_vcc 1
		.amdhsa_float_round_mode_32 0
		.amdhsa_float_round_mode_16_64 0
		.amdhsa_float_denorm_mode_32 3
		.amdhsa_float_denorm_mode_16_64 3
		.amdhsa_dx10_clamp 1
		.amdhsa_ieee_mode 1
		.amdhsa_fp16_overflow 0
		.amdhsa_tg_split 0
		.amdhsa_exception_fp_ieee_invalid_op 0
		.amdhsa_exception_fp_denorm_src 0
		.amdhsa_exception_fp_ieee_div_zero 0
		.amdhsa_exception_fp_ieee_overflow 0
		.amdhsa_exception_fp_ieee_underflow 0
		.amdhsa_exception_fp_ieee_inexact 0
		.amdhsa_exception_int_div_zero 0
	.end_amdhsa_kernel
	.section	.text._ZN9rocsparseL21csr2bsr_65_inf_kernelILj32E21rocsparse_complex_numIfEliEEv20rocsparse_direction_T2_S4_S4_S4_S4_S4_21rocsparse_index_base_PKT0_PKT1_PKS4_S5_PS6_PS9_PS4_SF_SG_SE_,"axG",@progbits,_ZN9rocsparseL21csr2bsr_65_inf_kernelILj32E21rocsparse_complex_numIfEliEEv20rocsparse_direction_T2_S4_S4_S4_S4_S4_21rocsparse_index_base_PKT0_PKT1_PKS4_S5_PS6_PS9_PS4_SF_SG_SE_,comdat
.Lfunc_end89:
	.size	_ZN9rocsparseL21csr2bsr_65_inf_kernelILj32E21rocsparse_complex_numIfEliEEv20rocsparse_direction_T2_S4_S4_S4_S4_S4_21rocsparse_index_base_PKT0_PKT1_PKS4_S5_PS6_PS9_PS4_SF_SG_SE_, .Lfunc_end89-_ZN9rocsparseL21csr2bsr_65_inf_kernelILj32E21rocsparse_complex_numIfEliEEv20rocsparse_direction_T2_S4_S4_S4_S4_S4_21rocsparse_index_base_PKT0_PKT1_PKS4_S5_PS6_PS9_PS4_SF_SG_SE_
                                        ; -- End function
	.section	.AMDGPU.csdata,"",@progbits
; Kernel info:
; codeLenInByte = 1768
; NumSgprs: 52
; NumVgprs: 36
; NumAgprs: 0
; TotalNumVgprs: 36
; ScratchSize: 0
; MemoryBound: 0
; FloatMode: 240
; IeeeMode: 1
; LDSByteSize: 0 bytes/workgroup (compile time only)
; SGPRBlocks: 6
; VGPRBlocks: 4
; NumSGPRsForWavesPerEU: 52
; NumVGPRsForWavesPerEU: 36
; AccumOffset: 36
; Occupancy: 8
; WaveLimiterHint : 0
; COMPUTE_PGM_RSRC2:SCRATCH_EN: 0
; COMPUTE_PGM_RSRC2:USER_SGPR: 2
; COMPUTE_PGM_RSRC2:TRAP_HANDLER: 0
; COMPUTE_PGM_RSRC2:TGID_X_EN: 1
; COMPUTE_PGM_RSRC2:TGID_Y_EN: 0
; COMPUTE_PGM_RSRC2:TGID_Z_EN: 0
; COMPUTE_PGM_RSRC2:TIDIG_COMP_CNT: 0
; COMPUTE_PGM_RSRC3_GFX90A:ACCUM_OFFSET: 8
; COMPUTE_PGM_RSRC3_GFX90A:TG_SPLIT: 0
	.section	.text._ZN9rocsparseL35csr2bsr_block_dim_equals_one_kernelILj256E21rocsparse_complex_numIfEilEEvT2_S3_S3_S3_21rocsparse_index_base_PKT0_PKT1_PKS3_S4_PS5_PS8_PS3_,"axG",@progbits,_ZN9rocsparseL35csr2bsr_block_dim_equals_one_kernelILj256E21rocsparse_complex_numIfEilEEvT2_S3_S3_S3_21rocsparse_index_base_PKT0_PKT1_PKS3_S4_PS5_PS8_PS3_,comdat
	.globl	_ZN9rocsparseL35csr2bsr_block_dim_equals_one_kernelILj256E21rocsparse_complex_numIfEilEEvT2_S3_S3_S3_21rocsparse_index_base_PKT0_PKT1_PKS3_S4_PS5_PS8_PS3_ ; -- Begin function _ZN9rocsparseL35csr2bsr_block_dim_equals_one_kernelILj256E21rocsparse_complex_numIfEilEEvT2_S3_S3_S3_21rocsparse_index_base_PKT0_PKT1_PKS3_S4_PS5_PS8_PS3_
	.p2align	8
	.type	_ZN9rocsparseL35csr2bsr_block_dim_equals_one_kernelILj256E21rocsparse_complex_numIfEilEEvT2_S3_S3_S3_21rocsparse_index_base_PKT0_PKT1_PKS3_S4_PS5_PS8_PS3_,@function
_ZN9rocsparseL35csr2bsr_block_dim_equals_one_kernelILj256E21rocsparse_complex_numIfEilEEvT2_S3_S3_S3_21rocsparse_index_base_PKT0_PKT1_PKS3_S4_PS5_PS8_PS3_: ; @_ZN9rocsparseL35csr2bsr_block_dim_equals_one_kernelILj256E21rocsparse_complex_numIfEilEEvT2_S3_S3_S3_21rocsparse_index_base_PKT0_PKT1_PKS3_S4_PS5_PS8_PS3_
; %bb.0:
	s_load_dwordx2 s[8:9], s[0:1], 0x0
	s_load_dwordx4 s[4:7], s[0:1], 0x28
	v_lshl_or_b32 v0, s2, 8, v0
	s_waitcnt lgkmcnt(0)
	s_lshl_b64 s[8:9], s[8:9], 2
	s_add_u32 s8, s6, s8
	s_addc_u32 s9, s7, s9
	s_load_dword s3, s[8:9], 0x0
	s_load_dword s10, s[6:7], 0x0
	s_waitcnt lgkmcnt(0)
	s_sub_i32 s12, s3, s10
	v_cmp_gt_i32_e32 vcc, s12, v0
	s_and_saveexec_b64 s[2:3], vcc
	s_cbranch_execz .LBB90_3
; %bb.1:
	s_load_dword s10, s[0:1], 0x40
	s_load_dwordx2 s[2:3], s[0:1], 0x48
	s_load_dword s11, s[0:1], 0x20
	s_load_dword s13, s[0:1], 0x60
	s_load_dwordx2 s[6:7], s[0:1], 0x38
	s_load_dwordx2 s[8:9], s[0:1], 0x58
	s_waitcnt lgkmcnt(0)
	s_sub_u32 s0, s10, s11
	s_subb_u32 s1, 0, 0
	s_lshl_b32 s13, s13, 8
	s_mov_b64 s[10:11], 0
.LBB90_2:                               ; =>This Inner Loop Header: Depth=1
	v_ashrrev_i32_e32 v1, 31, v0
	v_lshlrev_b64 v[2:3], 3, v[0:1]
	v_lshl_add_u64 v[4:5], s[6:7], 0, v[2:3]
	global_load_dwordx2 v[4:5], v[4:5], off
	v_lshl_add_u64 v[6:7], s[8:9], 0, v[2:3]
	v_add_u32_e32 v0, s13, v0
	v_cmp_le_i32_e32 vcc, s12, v0
	s_or_b64 s[10:11], vcc, s[10:11]
	s_waitcnt vmcnt(0)
	v_lshl_add_u64 v[4:5], s[0:1], 0, v[4:5]
	global_store_dwordx2 v[6:7], v[4:5], off
	v_lshl_add_u64 v[4:5], s[4:5], 0, v[2:3]
	global_load_dwordx2 v[4:5], v[4:5], off
	v_lshl_add_u64 v[2:3], s[2:3], 0, v[2:3]
	s_waitcnt vmcnt(0)
	global_store_dwordx2 v[2:3], v[4:5], off
	s_andn2_b64 exec, exec, s[10:11]
	s_cbranch_execnz .LBB90_2
.LBB90_3:
	s_endpgm
	.section	.rodata,"a",@progbits
	.p2align	6, 0x0
	.amdhsa_kernel _ZN9rocsparseL35csr2bsr_block_dim_equals_one_kernelILj256E21rocsparse_complex_numIfEilEEvT2_S3_S3_S3_21rocsparse_index_base_PKT0_PKT1_PKS3_S4_PS5_PS8_PS3_
		.amdhsa_group_segment_fixed_size 0
		.amdhsa_private_segment_fixed_size 0
		.amdhsa_kernarg_size 352
		.amdhsa_user_sgpr_count 2
		.amdhsa_user_sgpr_dispatch_ptr 0
		.amdhsa_user_sgpr_queue_ptr 0
		.amdhsa_user_sgpr_kernarg_segment_ptr 1
		.amdhsa_user_sgpr_dispatch_id 0
		.amdhsa_user_sgpr_kernarg_preload_length 0
		.amdhsa_user_sgpr_kernarg_preload_offset 0
		.amdhsa_user_sgpr_private_segment_size 0
		.amdhsa_uses_dynamic_stack 0
		.amdhsa_enable_private_segment 0
		.amdhsa_system_sgpr_workgroup_id_x 1
		.amdhsa_system_sgpr_workgroup_id_y 0
		.amdhsa_system_sgpr_workgroup_id_z 0
		.amdhsa_system_sgpr_workgroup_info 0
		.amdhsa_system_vgpr_workitem_id 0
		.amdhsa_next_free_vgpr 8
		.amdhsa_next_free_sgpr 14
		.amdhsa_accum_offset 8
		.amdhsa_reserve_vcc 1
		.amdhsa_float_round_mode_32 0
		.amdhsa_float_round_mode_16_64 0
		.amdhsa_float_denorm_mode_32 3
		.amdhsa_float_denorm_mode_16_64 3
		.amdhsa_dx10_clamp 1
		.amdhsa_ieee_mode 1
		.amdhsa_fp16_overflow 0
		.amdhsa_tg_split 0
		.amdhsa_exception_fp_ieee_invalid_op 0
		.amdhsa_exception_fp_denorm_src 0
		.amdhsa_exception_fp_ieee_div_zero 0
		.amdhsa_exception_fp_ieee_overflow 0
		.amdhsa_exception_fp_ieee_underflow 0
		.amdhsa_exception_fp_ieee_inexact 0
		.amdhsa_exception_int_div_zero 0
	.end_amdhsa_kernel
	.section	.text._ZN9rocsparseL35csr2bsr_block_dim_equals_one_kernelILj256E21rocsparse_complex_numIfEilEEvT2_S3_S3_S3_21rocsparse_index_base_PKT0_PKT1_PKS3_S4_PS5_PS8_PS3_,"axG",@progbits,_ZN9rocsparseL35csr2bsr_block_dim_equals_one_kernelILj256E21rocsparse_complex_numIfEilEEvT2_S3_S3_S3_21rocsparse_index_base_PKT0_PKT1_PKS3_S4_PS5_PS8_PS3_,comdat
.Lfunc_end90:
	.size	_ZN9rocsparseL35csr2bsr_block_dim_equals_one_kernelILj256E21rocsparse_complex_numIfEilEEvT2_S3_S3_S3_21rocsparse_index_base_PKT0_PKT1_PKS3_S4_PS5_PS8_PS3_, .Lfunc_end90-_ZN9rocsparseL35csr2bsr_block_dim_equals_one_kernelILj256E21rocsparse_complex_numIfEilEEvT2_S3_S3_S3_21rocsparse_index_base_PKT0_PKT1_PKS3_S4_PS5_PS8_PS3_
                                        ; -- End function
	.section	.AMDGPU.csdata,"",@progbits
; Kernel info:
; codeLenInByte = 260
; NumSgprs: 20
; NumVgprs: 8
; NumAgprs: 0
; TotalNumVgprs: 8
; ScratchSize: 0
; MemoryBound: 0
; FloatMode: 240
; IeeeMode: 1
; LDSByteSize: 0 bytes/workgroup (compile time only)
; SGPRBlocks: 2
; VGPRBlocks: 0
; NumSGPRsForWavesPerEU: 20
; NumVGPRsForWavesPerEU: 8
; AccumOffset: 8
; Occupancy: 8
; WaveLimiterHint : 0
; COMPUTE_PGM_RSRC2:SCRATCH_EN: 0
; COMPUTE_PGM_RSRC2:USER_SGPR: 2
; COMPUTE_PGM_RSRC2:TRAP_HANDLER: 0
; COMPUTE_PGM_RSRC2:TGID_X_EN: 1
; COMPUTE_PGM_RSRC2:TGID_Y_EN: 0
; COMPUTE_PGM_RSRC2:TGID_Z_EN: 0
; COMPUTE_PGM_RSRC2:TIDIG_COMP_CNT: 0
; COMPUTE_PGM_RSRC3_GFX90A:ACCUM_OFFSET: 1
; COMPUTE_PGM_RSRC3_GFX90A:TG_SPLIT: 0
	.section	.text._ZN9rocsparseL42csr2bsr_wavefront_per_row_multipass_kernelILj256ELj16ELj4E21rocsparse_complex_numIfEilEEv20rocsparse_direction_T4_S4_S4_S4_S4_21rocsparse_index_base_PKT2_PKT3_PKS4_S5_PS6_PS9_PS4_,"axG",@progbits,_ZN9rocsparseL42csr2bsr_wavefront_per_row_multipass_kernelILj256ELj16ELj4E21rocsparse_complex_numIfEilEEv20rocsparse_direction_T4_S4_S4_S4_S4_21rocsparse_index_base_PKT2_PKT3_PKS4_S5_PS6_PS9_PS4_,comdat
	.globl	_ZN9rocsparseL42csr2bsr_wavefront_per_row_multipass_kernelILj256ELj16ELj4E21rocsparse_complex_numIfEilEEv20rocsparse_direction_T4_S4_S4_S4_S4_21rocsparse_index_base_PKT2_PKT3_PKS4_S5_PS6_PS9_PS4_ ; -- Begin function _ZN9rocsparseL42csr2bsr_wavefront_per_row_multipass_kernelILj256ELj16ELj4E21rocsparse_complex_numIfEilEEv20rocsparse_direction_T4_S4_S4_S4_S4_21rocsparse_index_base_PKT2_PKT3_PKS4_S5_PS6_PS9_PS4_
	.p2align	8
	.type	_ZN9rocsparseL42csr2bsr_wavefront_per_row_multipass_kernelILj256ELj16ELj4E21rocsparse_complex_numIfEilEEv20rocsparse_direction_T4_S4_S4_S4_S4_21rocsparse_index_base_PKT2_PKT3_PKS4_S5_PS6_PS9_PS4_,@function
_ZN9rocsparseL42csr2bsr_wavefront_per_row_multipass_kernelILj256ELj16ELj4E21rocsparse_complex_numIfEilEEv20rocsparse_direction_T4_S4_S4_S4_S4_21rocsparse_index_base_PKT2_PKT3_PKS4_S5_PS6_PS9_PS4_: ; @_ZN9rocsparseL42csr2bsr_wavefront_per_row_multipass_kernelILj256ELj16ELj4E21rocsparse_complex_numIfEilEEv20rocsparse_direction_T4_S4_S4_S4_S4_21rocsparse_index_base_PKT2_PKT3_PKS4_S5_PS6_PS9_PS4_
; %bb.0:
	s_load_dwordx2 s[4:5], s[0:1], 0x8
	s_load_dwordx4 s[8:11], s[0:1], 0x18
	s_load_dwordx2 s[6:7], s[0:1], 0x28
	s_load_dword s26, s[0:1], 0x30
	s_load_dwordx2 s[12:13], s[0:1], 0x40
	s_ashr_i32 s3, s2, 31
	v_lshrrev_b32_e32 v24, 4, v0
	s_lshl_b64 s[14:15], s[2:3], 4
	v_bfe_u32 v2, v0, 2, 2
	v_mov_b32_e32 v3, 0
	v_or_b32_e32 v1, s14, v24
	s_waitcnt lgkmcnt(0)
	v_mul_lo_u32 v6, v1, s7
	v_mad_u64_u32 v[4:5], s[16:17], v1, s6, v[2:3]
	s_mul_i32 s3, s15, s6
	v_add3_u32 v5, s3, v5, v6
	v_cmp_gt_i64_e32 vcc, s[4:5], v[4:5]
	v_cmp_gt_i64_e64 s[4:5], s[6:7], v[2:3]
	s_and_b64 s[14:15], s[4:5], vcc
	v_mov_b32_e32 v1, v3
	s_and_saveexec_b64 s[16:17], s[14:15]
	s_cbranch_execz .LBB91_2
; %bb.1:
	v_lshl_add_u64 v[6:7], v[4:5], 2, s[12:13]
	global_load_dword v1, v[6:7], off
	s_waitcnt vmcnt(0)
	v_subrev_u32_e32 v1, s26, v1
.LBB91_2:
	s_or_b64 exec, exec, s[16:17]
	s_and_saveexec_b64 s[16:17], s[14:15]
	s_cbranch_execz .LBB91_4
; %bb.3:
	v_lshl_add_u64 v[4:5], v[4:5], 2, s[12:13]
	global_load_dword v3, v[4:5], off offset:4
	s_waitcnt vmcnt(0)
	v_subrev_u32_e32 v3, s26, v3
.LBB91_4:
	s_or_b64 exec, exec, s[16:17]
	s_load_dword s27, s[0:1], 0x50
	v_lshl_or_b32 v6, s2, 4, v24
	v_mov_b32_e32 v7, 0
	v_cmp_gt_i64_e32 vcc, s[8:9], v[6:7]
	v_mov_b32_e32 v4, v7
	s_and_saveexec_b64 s[2:3], vcc
	s_cbranch_execz .LBB91_6
; %bb.5:
	s_load_dwordx2 s[8:9], s[0:1], 0x60
	s_waitcnt lgkmcnt(0)
	v_lshl_add_u64 v[4:5], v[6:7], 2, s[8:9]
	global_load_dword v4, v[4:5], off
	s_waitcnt vmcnt(0)
	v_subrev_u32_e32 v4, s27, v4
.LBB91_6:
	s_or_b64 exec, exec, s[2:3]
	v_cmp_lt_i64_e64 s[2:3], s[10:11], 1
	s_and_b64 vcc, exec, s[2:3]
	s_cbranch_vccnz .LBB91_25
; %bb.7:
	v_and_b32_e32 v6, 3, v0
	s_load_dwordx2 s[2:3], s[0:1], 0x68
	s_load_dwordx2 s[14:15], s[0:1], 0x58
	;; [unrolled: 1-line block ×4, first 2 shown]
	s_load_dword s16, s[0:1], 0x0
	v_and_b32_e32 v0, 0x3f0, v0
	v_mad_u64_u32 v[8:9], s[0:1], v6, s6, 0
	v_lshl_or_b32 v25, v2, 2, v0
	v_mov_b32_e32 v10, v9
	v_or_b32_e32 v0, v25, v6
	v_mad_u64_u32 v[10:11], s[0:1], v6, s7, v[10:11]
	v_lshlrev_b32_e32 v26, 3, v0
	v_mov_b32_e32 v0, 0
	v_mov_b32_e32 v9, v10
	s_waitcnt lgkmcnt(0)
	v_lshl_add_u64 v[8:9], v[8:9], 3, s[14:15]
	v_lshlrev_b32_e32 v10, 3, v2
	v_mov_b32_e32 v11, v0
	v_lshl_add_u64 v[8:9], v[8:9], 0, v[10:11]
	v_mad_u64_u32 v[10:11], s[0:1], v2, s6, 0
	v_mov_b32_e32 v12, v11
	v_mad_u64_u32 v[12:13], s[0:1], v2, s7, v[12:13]
	v_mbcnt_lo_u32_b32 v5, -1, 0
	v_mov_b32_e32 v11, v12
	v_mbcnt_hi_u32_b32 v5, -1, v5
	v_mov_b32_e32 v7, v0
	s_cmp_eq_u32 s16, 0
	s_mul_i32 s16, s6, s7
	s_mul_hi_u32 s17, s6, s6
	v_lshl_add_u64 v[10:11], v[10:11], 3, s[14:15]
	v_lshlrev_b32_e32 v12, 3, v6
	v_mov_b32_e32 v13, v0
	v_lshlrev_b32_e32 v5, 2, v5
	v_cmp_gt_u64_e32 vcc, s[6:7], v[6:7]
	v_lshl_add_u64 v[10:11], v[10:11], 0, v[12:13]
	s_cselect_b64 s[0:1], -1, 0
	s_add_i32 s14, s17, s16
	s_mov_b32 s28, 0
	v_or_b32_e32 v27, 12, v5
	s_add_i32 s29, s14, s16
	s_mul_i32 s30, s6, s6
	v_or_b32_e32 v2, 60, v5
	s_and_b64 s[4:5], s[4:5], vcc
	v_cndmask_b32_e64 v9, v9, v11, s[0:1]
	v_cndmask_b32_e64 v8, v8, v10, s[0:1]
	s_mov_b64 s[14:15], 0
	v_mov_b64_e32 v[14:15], 0
	v_mov_b32_e32 v10, 0
	v_mov_b32_e32 v11, v0
	s_ashr_i32 s16, s7, 31
	v_mov_b32_e32 v7, 1
	v_mov_b32_e32 v5, 0
	s_branch .LBB91_10
.LBB91_8:                               ;   in Loop: Header=BB91_10 Depth=1
	s_or_b64 exec, exec, s[18:19]
	v_mov_b32_e32 v15, 1
.LBB91_9:                               ;   in Loop: Header=BB91_10 Depth=1
	s_or_b64 exec, exec, s[0:1]
	v_mov_b32_dpp v16, v12 row_shr:1 row_mask:0xf bank_mask:0xf
	v_mov_b32_dpp v17, v13 row_shr:1 row_mask:0xf bank_mask:0xf
	v_cmp_lt_i64_e32 vcc, v[16:17], v[12:13]
	v_add_u32_e32 v4, v15, v4
	s_waitcnt lgkmcnt(0)
	v_cndmask_b32_e32 v13, v13, v17, vcc
	v_cndmask_b32_e32 v12, v12, v16, vcc
	s_nop 0
	v_mov_b32_dpp v17, v13 row_shr:2 row_mask:0xf bank_mask:0xf
	v_mov_b32_dpp v16, v12 row_shr:2 row_mask:0xf bank_mask:0xf
	v_cmp_lt_i64_e32 vcc, v[16:17], v[12:13]
	s_nop 1
	v_cndmask_b32_e32 v13, v13, v17, vcc
	v_cndmask_b32_e32 v12, v12, v16, vcc
	s_nop 0
	v_mov_b32_dpp v17, v13 row_shr:4 row_mask:0xf bank_mask:0xe
	v_mov_b32_dpp v16, v12 row_shr:4 row_mask:0xf bank_mask:0xe
	v_cmp_lt_i64_e32 vcc, v[16:17], v[12:13]
	s_nop 1
	;; [unrolled: 7-line block ×3, first 2 shown]
	v_cndmask_b32_e32 v5, v12, v16, vcc
	ds_bpermute_b32 v14, v2, v5
	s_waitcnt lgkmcnt(0)
	v_ashrrev_i32_e32 v15, 31, v14
	v_cmp_le_i64_e32 vcc, s[10:11], v[14:15]
	s_or_b64 s[14:15], vcc, s[14:15]
	v_mov_b32_e32 v5, v14
	s_andn2_b64 exec, exec, s[14:15]
	s_cbranch_execz .LBB91_25
.LBB91_10:                              ; =>This Loop Header: Depth=1
                                        ;     Child Loop BB91_13 Depth 2
	v_add_u32_e32 v16, v1, v6
	v_cmp_lt_i32_e32 vcc, v16, v3
	v_mov_b64_e32 v[12:13], s[10:11]
	v_mov_b32_e32 v1, v3
	ds_write_b8 v24, v0 offset:2048
	ds_write_b64 v26, v[10:11]
	s_waitcnt lgkmcnt(0)
	s_and_saveexec_b64 s[18:19], vcc
	s_cbranch_execz .LBB91_22
; %bb.11:                               ;   in Loop: Header=BB91_10 Depth=1
	v_mad_u64_u32 v[18:19], s[0:1], v14, s6, 0
	s_mov_b64 s[20:21], 0
	v_mov_b64_e32 v[12:13], s[10:11]
	v_mov_b32_e32 v19, v3
	s_branch .LBB91_13
.LBB91_12:                              ;   in Loop: Header=BB91_13 Depth=2
	s_or_b64 exec, exec, s[0:1]
	v_add_u32_e32 v16, 4, v16
	v_cmp_ge_i32_e64 s[0:1], v16, v3
	s_xor_b64 s[22:23], vcc, -1
	s_or_b64 s[0:1], s[22:23], s[0:1]
	s_and_b64 s[0:1], exec, s[0:1]
	s_or_b64 s[20:21], s[0:1], s[20:21]
	v_mov_b32_e32 v19, v1
	s_andn2_b64 exec, exec, s[20:21]
	s_cbranch_execz .LBB91_21
.LBB91_13:                              ;   Parent Loop BB91_10 Depth=1
                                        ; =>  This Inner Loop Header: Depth=2
	v_ashrrev_i32_e32 v17, 31, v16
	v_lshl_add_u64 v[20:21], v[16:17], 3, s[8:9]
	global_load_dwordx2 v[20:21], v[20:21], off
	v_mov_b32_e32 v1, s28
                                        ; implicit-def: $vgpr22_vgpr23
	s_waitcnt vmcnt(0)
	v_subrev_co_u32_e32 v20, vcc, s26, v20
	s_nop 1
	v_subb_co_u32_e32 v21, vcc, v21, v1, vcc
	v_or_b32_e32 v1, s7, v21
	v_cmp_ne_u64_e32 vcc, 0, v[0:1]
	s_and_saveexec_b64 s[0:1], vcc
	s_xor_b64 s[22:23], exec, s[0:1]
	s_cbranch_execz .LBB91_15
; %bb.14:                               ;   in Loop: Header=BB91_13 Depth=2
	s_add_u32 s0, s6, s16
	s_mov_b32 s17, s16
	s_addc_u32 s1, s7, s16
	s_xor_b64 s[24:25], s[0:1], s[16:17]
	v_cvt_f32_u32_e32 v1, s24
	v_cvt_f32_u32_e32 v22, s25
	s_sub_u32 s0, 0, s24
	s_subb_u32 s1, 0, s25
	v_mov_b32_e32 v29, v0
	v_fmac_f32_e32 v1, 0x4f800000, v22
	v_rcp_f32_e32 v1, v1
	s_nop 0
	v_mul_f32_e32 v1, 0x5f7ffffc, v1
	v_mul_f32_e32 v22, 0x2f800000, v1
	v_trunc_f32_e32 v22, v22
	v_fmac_f32_e32 v1, 0xcf800000, v22
	v_cvt_u32_f32_e32 v30, v22
	v_cvt_u32_f32_e32 v1, v1
	v_mul_lo_u32 v22, s0, v30
	v_mul_hi_u32 v28, s0, v1
	v_mul_lo_u32 v23, s1, v1
	v_add_u32_e32 v22, v28, v22
	v_mul_lo_u32 v31, s0, v1
	v_add_u32_e32 v32, v22, v23
	v_mul_hi_u32 v23, v1, v32
	v_mul_lo_u32 v22, v1, v32
	v_mul_hi_u32 v28, v1, v31
	v_lshl_add_u64 v[22:23], v[28:29], 0, v[22:23]
	v_mul_hi_u32 v29, v30, v31
	v_mul_lo_u32 v31, v30, v31
	v_add_co_u32_e32 v22, vcc, v22, v31
	v_mul_hi_u32 v28, v30, v32
	s_nop 0
	v_addc_co_u32_e32 v22, vcc, v23, v29, vcc
	v_mov_b32_e32 v23, v0
	s_nop 0
	v_addc_co_u32_e32 v29, vcc, 0, v28, vcc
	v_mul_lo_u32 v28, v30, v32
	v_lshl_add_u64 v[22:23], v[22:23], 0, v[28:29]
	v_add_co_u32_e32 v1, vcc, v1, v22
	v_mul_lo_u32 v28, s0, v1
	s_nop 0
	v_addc_co_u32_e32 v30, vcc, v30, v23, vcc
	v_mul_lo_u32 v22, s0, v30
	v_mul_hi_u32 v23, s0, v1
	v_add_u32_e32 v22, v23, v22
	v_mul_lo_u32 v23, s1, v1
	v_add_u32_e32 v31, v22, v23
	v_mul_hi_u32 v33, v30, v28
	v_mul_lo_u32 v34, v30, v28
	v_mul_hi_u32 v23, v1, v31
	v_mul_lo_u32 v22, v1, v31
	v_mul_hi_u32 v28, v1, v28
	v_mov_b32_e32 v29, v0
	v_lshl_add_u64 v[22:23], v[28:29], 0, v[22:23]
	v_add_co_u32_e32 v22, vcc, v22, v34
	v_mul_hi_u32 v32, v30, v31
	s_nop 0
	v_addc_co_u32_e32 v22, vcc, v23, v33, vcc
	v_mul_lo_u32 v28, v30, v31
	s_nop 0
	v_addc_co_u32_e32 v29, vcc, 0, v32, vcc
	v_mov_b32_e32 v23, v0
	v_lshl_add_u64 v[22:23], v[22:23], 0, v[28:29]
	v_add_co_u32_e32 v1, vcc, v1, v22
	v_ashrrev_i32_e32 v22, 31, v21
	s_nop 0
	v_addc_co_u32_e32 v32, vcc, v30, v23, vcc
	v_mov_b32_e32 v23, v22
	v_lshl_add_u64 v[28:29], v[20:21], 0, v[22:23]
	v_xor_b32_e32 v23, v28, v22
	v_xor_b32_e32 v21, v29, v22
	v_mad_u64_u32 v[28:29], s[0:1], v23, v32, 0
	v_mul_hi_u32 v30, v23, v1
	v_mov_b32_e32 v31, v0
	v_lshl_add_u64 v[28:29], v[30:31], 0, v[28:29]
	v_mad_u64_u32 v[30:31], s[0:1], v21, v32, 0
	v_mad_u64_u32 v[32:33], s[0:1], v21, v1, 0
	v_add_co_u32_e32 v1, vcc, v28, v32
	s_nop 1
	v_addc_co_u32_e32 v28, vcc, v29, v33, vcc
	v_mov_b32_e32 v29, v0
	s_nop 0
	v_addc_co_u32_e32 v31, vcc, 0, v31, vcc
	v_lshl_add_u64 v[28:29], v[28:29], 0, v[30:31]
	v_mul_lo_u32 v1, s25, v28
	v_mul_lo_u32 v32, s24, v29
	v_mad_u64_u32 v[30:31], s[0:1], s24, v28, 0
	v_add3_u32 v1, v31, v32, v1
	v_sub_u32_e32 v31, v21, v1
	v_mov_b32_e32 v32, s25
	v_sub_co_u32_e32 v23, vcc, v23, v30
	s_nop 1
	v_subb_co_u32_e64 v30, s[0:1], v31, v32, vcc
	v_subrev_co_u32_e64 v31, s[0:1], s24, v23
	v_subb_co_u32_e32 v1, vcc, v21, v1, vcc
	s_nop 0
	v_subbrev_co_u32_e64 v30, s[0:1], 0, v30, s[0:1]
	v_cmp_le_u32_e64 s[0:1], s25, v30
	v_cmp_le_u32_e32 vcc, s25, v1
	s_nop 0
	v_cndmask_b32_e64 v32, 0, -1, s[0:1]
	v_cmp_le_u32_e64 s[0:1], s24, v31
	v_cndmask_b32_e64 v21, 0, -1, vcc
	v_cmp_le_u32_e32 vcc, s24, v23
	v_cndmask_b32_e64 v31, 0, -1, s[0:1]
	v_cmp_eq_u32_e64 s[0:1], s25, v30
	v_cndmask_b32_e64 v23, 0, -1, vcc
	v_cmp_eq_u32_e32 vcc, s25, v1
	v_cndmask_b32_e64 v34, v32, v31, s[0:1]
	v_lshl_add_u64 v[30:31], v[28:29], 0, 2
	v_lshl_add_u64 v[32:33], v[28:29], 0, 1
	v_cmp_ne_u32_e64 s[0:1], 0, v34
	v_cndmask_b32_e32 v1, v21, v23, vcc
	v_cmp_ne_u32_e32 vcc, 0, v1
	v_cndmask_b32_e64 v21, v32, v30, s[0:1]
	v_cndmask_b32_e64 v31, v33, v31, s[0:1]
	v_cndmask_b32_e32 v21, v28, v21, vcc
	v_xor_b32_e32 v23, s16, v22
	v_cndmask_b32_e32 v1, v29, v31, vcc
	v_xor_b32_e32 v21, v21, v23
	v_xor_b32_e32 v1, v1, v23
	v_sub_co_u32_e32 v22, vcc, v21, v23
	s_nop 1
	v_subb_co_u32_e32 v23, vcc, v1, v23, vcc
.LBB91_15:                              ;   in Loop: Header=BB91_13 Depth=2
	s_andn2_saveexec_b64 s[0:1], s[22:23]
	s_cbranch_execz .LBB91_17
; %bb.16:                               ;   in Loop: Header=BB91_13 Depth=2
	v_cvt_f32_u32_e32 v1, s6
	s_sub_i32 s17, 0, s6
	v_rcp_iflag_f32_e32 v1, v1
	s_nop 0
	v_mul_f32_e32 v1, 0x4f7ffffe, v1
	v_cvt_u32_f32_e32 v1, v1
	v_mul_lo_u32 v21, s17, v1
	v_mul_hi_u32 v21, v1, v21
	v_add_u32_e32 v1, v1, v21
	v_mul_hi_u32 v1, v20, v1
	v_mul_lo_u32 v21, v1, s6
	v_sub_u32_e32 v21, v20, v21
	v_add_u32_e32 v22, 1, v1
	v_subrev_u32_e32 v23, s6, v21
	v_cmp_le_u32_e32 vcc, s6, v21
	s_nop 1
	v_cndmask_b32_e32 v21, v21, v23, vcc
	v_cndmask_b32_e32 v1, v1, v22, vcc
	v_add_u32_e32 v22, 1, v1
	v_cmp_le_u32_e32 vcc, s6, v21
	v_mov_b32_e32 v23, v0
	s_nop 0
	v_cndmask_b32_e32 v22, v1, v22, vcc
.LBB91_17:                              ;   in Loop: Header=BB91_13 Depth=2
	s_or_b64 exec, exec, s[0:1]
	v_cmp_eq_u64_e32 vcc, v[22:23], v[14:15]
	v_cmp_ne_u64_e64 s[0:1], v[22:23], v[14:15]
	s_and_saveexec_b64 s[22:23], s[0:1]
	s_xor_b64 s[22:23], exec, s[22:23]
; %bb.18:                               ;   in Loop: Header=BB91_13 Depth=2
	v_cmp_lt_i64_e64 s[0:1], v[22:23], v[12:13]
                                        ; implicit-def: $vgpr20_vgpr21
                                        ; implicit-def: $vgpr19
	s_nop 1
	v_cndmask_b32_e64 v13, v13, v23, s[0:1]
	v_cndmask_b32_e64 v12, v12, v22, s[0:1]
; %bb.19:                               ;   in Loop: Header=BB91_13 Depth=2
	s_or_saveexec_b64 s[0:1], s[22:23]
	v_mov_b32_e32 v1, v16
	s_xor_b64 exec, exec, s[0:1]
	s_cbranch_execz .LBB91_12
; %bb.20:                               ;   in Loop: Header=BB91_13 Depth=2
	v_lshl_add_u64 v[22:23], v[16:17], 3, s[12:13]
	global_load_dwordx2 v[22:23], v[22:23], off
	v_sub_u32_e32 v1, v20, v18
	v_add_lshl_u32 v1, v25, v1, 3
	ds_write_b8 v24, v7 offset:2048
	s_waitcnt vmcnt(0)
	ds_write_b64 v1, v[22:23]
	v_mov_b32_e32 v1, v19
	s_branch .LBB91_12
.LBB91_21:                              ;   in Loop: Header=BB91_10 Depth=1
	s_or_b64 exec, exec, s[20:21]
.LBB91_22:                              ;   in Loop: Header=BB91_10 Depth=1
	s_or_b64 exec, exec, s[18:19]
	v_mov_b32_dpp v14, v1 row_shr:1 row_mask:0xf bank_mask:0xf
	v_min_i32_e32 v1, v14, v1
	s_waitcnt lgkmcnt(0)
	ds_read_u8 v14, v24 offset:2048
	v_mov_b32_dpp v15, v1 row_shr:2 row_mask:0xf bank_mask:0xf
	v_min_i32_e32 v1, v15, v1
	ds_bpermute_b32 v1, v27, v1
	v_mov_b32_e32 v15, 0
	s_waitcnt lgkmcnt(1)
	v_and_b32_e32 v14, 1, v14
	v_cmp_eq_u32_e32 vcc, 1, v14
	s_and_saveexec_b64 s[0:1], vcc
	s_cbranch_execz .LBB91_9
; %bb.23:                               ;   in Loop: Header=BB91_10 Depth=1
	v_add_u32_e32 v14, s27, v5
	v_ashrrev_i32_e32 v5, 31, v4
	v_ashrrev_i32_e32 v15, 31, v14
	v_lshl_add_u64 v[16:17], v[4:5], 3, s[2:3]
	global_store_dwordx2 v[16:17], v[14:15], off
	s_and_saveexec_b64 s[18:19], s[4:5]
	s_cbranch_execz .LBB91_8
; %bb.24:                               ;   in Loop: Header=BB91_10 Depth=1
	ds_read_b64 v[14:15], v26
	v_mul_lo_u32 v18, s29, v4
	v_mul_lo_u32 v5, s30, v5
	v_mad_u64_u32 v[16:17], s[20:21], s30, v4, 0
	v_add3_u32 v17, v17, v5, v18
	v_lshl_add_u64 v[16:17], v[16:17], 3, v[8:9]
	s_waitcnt lgkmcnt(0)
	global_store_dwordx2 v[16:17], v[14:15], off
	s_branch .LBB91_8
.LBB91_25:
	s_endpgm
	.section	.rodata,"a",@progbits
	.p2align	6, 0x0
	.amdhsa_kernel _ZN9rocsparseL42csr2bsr_wavefront_per_row_multipass_kernelILj256ELj16ELj4E21rocsparse_complex_numIfEilEEv20rocsparse_direction_T4_S4_S4_S4_S4_21rocsparse_index_base_PKT2_PKT3_PKS4_S5_PS6_PS9_PS4_
		.amdhsa_group_segment_fixed_size 2064
		.amdhsa_private_segment_fixed_size 0
		.amdhsa_kernarg_size 112
		.amdhsa_user_sgpr_count 2
		.amdhsa_user_sgpr_dispatch_ptr 0
		.amdhsa_user_sgpr_queue_ptr 0
		.amdhsa_user_sgpr_kernarg_segment_ptr 1
		.amdhsa_user_sgpr_dispatch_id 0
		.amdhsa_user_sgpr_kernarg_preload_length 0
		.amdhsa_user_sgpr_kernarg_preload_offset 0
		.amdhsa_user_sgpr_private_segment_size 0
		.amdhsa_uses_dynamic_stack 0
		.amdhsa_enable_private_segment 0
		.amdhsa_system_sgpr_workgroup_id_x 1
		.amdhsa_system_sgpr_workgroup_id_y 0
		.amdhsa_system_sgpr_workgroup_id_z 0
		.amdhsa_system_sgpr_workgroup_info 0
		.amdhsa_system_vgpr_workitem_id 0
		.amdhsa_next_free_vgpr 35
		.amdhsa_next_free_sgpr 31
		.amdhsa_accum_offset 36
		.amdhsa_reserve_vcc 1
		.amdhsa_float_round_mode_32 0
		.amdhsa_float_round_mode_16_64 0
		.amdhsa_float_denorm_mode_32 3
		.amdhsa_float_denorm_mode_16_64 3
		.amdhsa_dx10_clamp 1
		.amdhsa_ieee_mode 1
		.amdhsa_fp16_overflow 0
		.amdhsa_tg_split 0
		.amdhsa_exception_fp_ieee_invalid_op 0
		.amdhsa_exception_fp_denorm_src 0
		.amdhsa_exception_fp_ieee_div_zero 0
		.amdhsa_exception_fp_ieee_overflow 0
		.amdhsa_exception_fp_ieee_underflow 0
		.amdhsa_exception_fp_ieee_inexact 0
		.amdhsa_exception_int_div_zero 0
	.end_amdhsa_kernel
	.section	.text._ZN9rocsparseL42csr2bsr_wavefront_per_row_multipass_kernelILj256ELj16ELj4E21rocsparse_complex_numIfEilEEv20rocsparse_direction_T4_S4_S4_S4_S4_21rocsparse_index_base_PKT2_PKT3_PKS4_S5_PS6_PS9_PS4_,"axG",@progbits,_ZN9rocsparseL42csr2bsr_wavefront_per_row_multipass_kernelILj256ELj16ELj4E21rocsparse_complex_numIfEilEEv20rocsparse_direction_T4_S4_S4_S4_S4_21rocsparse_index_base_PKT2_PKT3_PKS4_S5_PS6_PS9_PS4_,comdat
.Lfunc_end91:
	.size	_ZN9rocsparseL42csr2bsr_wavefront_per_row_multipass_kernelILj256ELj16ELj4E21rocsparse_complex_numIfEilEEv20rocsparse_direction_T4_S4_S4_S4_S4_21rocsparse_index_base_PKT2_PKT3_PKS4_S5_PS6_PS9_PS4_, .Lfunc_end91-_ZN9rocsparseL42csr2bsr_wavefront_per_row_multipass_kernelILj256ELj16ELj4E21rocsparse_complex_numIfEilEEv20rocsparse_direction_T4_S4_S4_S4_S4_21rocsparse_index_base_PKT2_PKT3_PKS4_S5_PS6_PS9_PS4_
                                        ; -- End function
	.section	.AMDGPU.csdata,"",@progbits
; Kernel info:
; codeLenInByte = 2088
; NumSgprs: 37
; NumVgprs: 35
; NumAgprs: 0
; TotalNumVgprs: 35
; ScratchSize: 0
; MemoryBound: 0
; FloatMode: 240
; IeeeMode: 1
; LDSByteSize: 2064 bytes/workgroup (compile time only)
; SGPRBlocks: 4
; VGPRBlocks: 4
; NumSGPRsForWavesPerEU: 37
; NumVGPRsForWavesPerEU: 35
; AccumOffset: 36
; Occupancy: 8
; WaveLimiterHint : 0
; COMPUTE_PGM_RSRC2:SCRATCH_EN: 0
; COMPUTE_PGM_RSRC2:USER_SGPR: 2
; COMPUTE_PGM_RSRC2:TRAP_HANDLER: 0
; COMPUTE_PGM_RSRC2:TGID_X_EN: 1
; COMPUTE_PGM_RSRC2:TGID_Y_EN: 0
; COMPUTE_PGM_RSRC2:TGID_Z_EN: 0
; COMPUTE_PGM_RSRC2:TIDIG_COMP_CNT: 0
; COMPUTE_PGM_RSRC3_GFX90A:ACCUM_OFFSET: 8
; COMPUTE_PGM_RSRC3_GFX90A:TG_SPLIT: 0
	.section	.text._ZN9rocsparseL42csr2bsr_wavefront_per_row_multipass_kernelILj256ELj64ELj8E21rocsparse_complex_numIfEilEEv20rocsparse_direction_T4_S4_S4_S4_S4_21rocsparse_index_base_PKT2_PKT3_PKS4_S5_PS6_PS9_PS4_,"axG",@progbits,_ZN9rocsparseL42csr2bsr_wavefront_per_row_multipass_kernelILj256ELj64ELj8E21rocsparse_complex_numIfEilEEv20rocsparse_direction_T4_S4_S4_S4_S4_21rocsparse_index_base_PKT2_PKT3_PKS4_S5_PS6_PS9_PS4_,comdat
	.globl	_ZN9rocsparseL42csr2bsr_wavefront_per_row_multipass_kernelILj256ELj64ELj8E21rocsparse_complex_numIfEilEEv20rocsparse_direction_T4_S4_S4_S4_S4_21rocsparse_index_base_PKT2_PKT3_PKS4_S5_PS6_PS9_PS4_ ; -- Begin function _ZN9rocsparseL42csr2bsr_wavefront_per_row_multipass_kernelILj256ELj64ELj8E21rocsparse_complex_numIfEilEEv20rocsparse_direction_T4_S4_S4_S4_S4_21rocsparse_index_base_PKT2_PKT3_PKS4_S5_PS6_PS9_PS4_
	.p2align	8
	.type	_ZN9rocsparseL42csr2bsr_wavefront_per_row_multipass_kernelILj256ELj64ELj8E21rocsparse_complex_numIfEilEEv20rocsparse_direction_T4_S4_S4_S4_S4_21rocsparse_index_base_PKT2_PKT3_PKS4_S5_PS6_PS9_PS4_,@function
_ZN9rocsparseL42csr2bsr_wavefront_per_row_multipass_kernelILj256ELj64ELj8E21rocsparse_complex_numIfEilEEv20rocsparse_direction_T4_S4_S4_S4_S4_21rocsparse_index_base_PKT2_PKT3_PKS4_S5_PS6_PS9_PS4_: ; @_ZN9rocsparseL42csr2bsr_wavefront_per_row_multipass_kernelILj256ELj64ELj8E21rocsparse_complex_numIfEilEEv20rocsparse_direction_T4_S4_S4_S4_S4_21rocsparse_index_base_PKT2_PKT3_PKS4_S5_PS6_PS9_PS4_
; %bb.0:
	s_load_dwordx2 s[4:5], s[0:1], 0x8
	s_load_dwordx4 s[8:11], s[0:1], 0x18
	s_load_dwordx2 s[6:7], s[0:1], 0x28
	s_load_dword s26, s[0:1], 0x30
	s_load_dwordx2 s[12:13], s[0:1], 0x40
	s_ashr_i32 s3, s2, 31
	v_lshrrev_b32_e32 v24, 6, v0
	s_lshl_b64 s[14:15], s[2:3], 2
	v_bfe_u32 v2, v0, 3, 3
	v_mov_b32_e32 v3, 0
	v_or_b32_e32 v1, s14, v24
	s_waitcnt lgkmcnt(0)
	v_mul_lo_u32 v6, v1, s7
	v_mad_u64_u32 v[4:5], s[16:17], v1, s6, v[2:3]
	s_mul_i32 s3, s15, s6
	v_add3_u32 v5, s3, v5, v6
	v_cmp_gt_i64_e32 vcc, s[4:5], v[4:5]
	v_cmp_gt_i64_e64 s[4:5], s[6:7], v[2:3]
	s_and_b64 s[14:15], s[4:5], vcc
	v_mov_b32_e32 v1, v3
	s_and_saveexec_b64 s[16:17], s[14:15]
	s_cbranch_execz .LBB92_2
; %bb.1:
	v_lshl_add_u64 v[6:7], v[4:5], 2, s[12:13]
	global_load_dword v1, v[6:7], off
	s_waitcnt vmcnt(0)
	v_subrev_u32_e32 v1, s26, v1
.LBB92_2:
	s_or_b64 exec, exec, s[16:17]
	s_and_saveexec_b64 s[16:17], s[14:15]
	s_cbranch_execz .LBB92_4
; %bb.3:
	v_lshl_add_u64 v[4:5], v[4:5], 2, s[12:13]
	global_load_dword v3, v[4:5], off offset:4
	s_waitcnt vmcnt(0)
	v_subrev_u32_e32 v3, s26, v3
.LBB92_4:
	s_or_b64 exec, exec, s[16:17]
	s_load_dword s27, s[0:1], 0x50
	v_lshl_or_b32 v6, s2, 2, v24
	v_mov_b32_e32 v7, 0
	v_cmp_gt_i64_e32 vcc, s[8:9], v[6:7]
	v_mov_b32_e32 v4, v7
	s_and_saveexec_b64 s[2:3], vcc
	s_cbranch_execz .LBB92_6
; %bb.5:
	s_load_dwordx2 s[8:9], s[0:1], 0x60
	s_waitcnt lgkmcnt(0)
	v_lshl_add_u64 v[4:5], v[6:7], 2, s[8:9]
	global_load_dword v4, v[4:5], off
	s_waitcnt vmcnt(0)
	v_subrev_u32_e32 v4, s27, v4
.LBB92_6:
	s_or_b64 exec, exec, s[2:3]
	v_cmp_lt_i64_e64 s[2:3], s[10:11], 1
	s_and_b64 vcc, exec, s[2:3]
	s_cbranch_vccnz .LBB92_25
; %bb.7:
	s_load_dwordx2 s[2:3], s[0:1], 0x68
	s_load_dwordx2 s[14:15], s[0:1], 0x58
	;; [unrolled: 1-line block ×4, first 2 shown]
	s_load_dword s16, s[0:1], 0x0
	v_and_b32_e32 v6, 7, v0
	v_lshlrev_b32_e32 v8, 3, v2
	s_movk_i32 s0, 0x3c0
	v_and_or_b32 v25, v0, s0, v8
	v_mad_u64_u32 v[10:11], s[0:1], v6, s6, 0
	v_mov_b32_e32 v12, v11
	v_or_b32_e32 v0, v25, v6
	v_mad_u64_u32 v[12:13], s[0:1], v6, s7, v[12:13]
	v_lshlrev_b32_e32 v26, 3, v0
	v_mov_b32_e32 v0, 0
	v_mov_b32_e32 v11, v12
	s_waitcnt lgkmcnt(0)
	v_lshl_add_u64 v[10:11], v[10:11], 3, s[14:15]
	v_mov_b32_e32 v9, v0
	v_lshl_add_u64 v[8:9], v[10:11], 0, v[8:9]
	v_mad_u64_u32 v[10:11], s[0:1], v2, s6, 0
	v_mov_b32_e32 v12, v11
	v_mad_u64_u32 v[12:13], s[0:1], v2, s7, v[12:13]
	v_mbcnt_lo_u32_b32 v5, -1, 0
	v_mov_b32_e32 v11, v12
	v_mbcnt_hi_u32_b32 v5, -1, v5
	v_mov_b32_e32 v7, v0
	s_cmp_eq_u32 s16, 0
	s_mul_i32 s16, s6, s7
	s_mul_hi_u32 s17, s6, s6
	v_lshl_add_u64 v[10:11], v[10:11], 3, s[14:15]
	v_lshlrev_b32_e32 v12, 3, v6
	v_mov_b32_e32 v13, v0
	v_lshlrev_b32_e32 v5, 2, v5
	v_cmp_gt_u64_e32 vcc, s[6:7], v[6:7]
	v_lshl_add_u64 v[10:11], v[10:11], 0, v[12:13]
	s_cselect_b64 s[0:1], -1, 0
	s_add_i32 s14, s17, s16
	s_mov_b32 s28, 0
	v_or_b32_e32 v27, 28, v5
	s_add_i32 s29, s14, s16
	s_mul_i32 s30, s6, s6
	v_or_b32_e32 v2, 0xfc, v5
	s_and_b64 s[4:5], s[4:5], vcc
	v_cndmask_b32_e64 v9, v9, v11, s[0:1]
	v_cndmask_b32_e64 v8, v8, v10, s[0:1]
	s_mov_b64 s[14:15], 0
	v_mov_b64_e32 v[14:15], 0
	v_mov_b32_e32 v10, 0
	v_mov_b32_e32 v11, v0
	s_ashr_i32 s16, s7, 31
	v_mov_b32_e32 v7, 1
	v_mov_b32_e32 v5, 0
	s_branch .LBB92_10
.LBB92_8:                               ;   in Loop: Header=BB92_10 Depth=1
	s_or_b64 exec, exec, s[18:19]
	v_mov_b32_e32 v15, 1
.LBB92_9:                               ;   in Loop: Header=BB92_10 Depth=1
	s_or_b64 exec, exec, s[0:1]
	v_mov_b32_dpp v16, v12 row_shr:1 row_mask:0xf bank_mask:0xf
	v_mov_b32_dpp v17, v13 row_shr:1 row_mask:0xf bank_mask:0xf
	v_cmp_lt_i64_e32 vcc, v[16:17], v[12:13]
	v_add_u32_e32 v4, v15, v4
	s_waitcnt lgkmcnt(0)
	v_cndmask_b32_e32 v13, v13, v17, vcc
	v_cndmask_b32_e32 v12, v12, v16, vcc
	s_nop 0
	v_mov_b32_dpp v17, v13 row_shr:2 row_mask:0xf bank_mask:0xf
	v_mov_b32_dpp v16, v12 row_shr:2 row_mask:0xf bank_mask:0xf
	v_cmp_lt_i64_e32 vcc, v[16:17], v[12:13]
	s_nop 1
	v_cndmask_b32_e32 v13, v13, v17, vcc
	v_cndmask_b32_e32 v12, v12, v16, vcc
	s_nop 0
	v_mov_b32_dpp v17, v13 row_shr:4 row_mask:0xf bank_mask:0xe
	v_mov_b32_dpp v16, v12 row_shr:4 row_mask:0xf bank_mask:0xe
	v_cmp_lt_i64_e32 vcc, v[16:17], v[12:13]
	s_nop 1
	;; [unrolled: 7-line block ×3, first 2 shown]
	v_cndmask_b32_e32 v13, v13, v17, vcc
	v_cndmask_b32_e32 v12, v12, v16, vcc
	s_nop 0
	v_mov_b32_dpp v17, v13 row_bcast:15 row_mask:0xa bank_mask:0xf
	v_mov_b32_dpp v16, v12 row_bcast:15 row_mask:0xa bank_mask:0xf
	v_cmp_lt_i64_e32 vcc, v[16:17], v[12:13]
	s_nop 1
	v_cndmask_b32_e32 v13, v13, v17, vcc
	v_cndmask_b32_e32 v12, v12, v16, vcc
	s_nop 0
	v_mov_b32_dpp v17, v13 row_bcast:31 row_mask:0xc bank_mask:0xf
	v_mov_b32_dpp v16, v12 row_bcast:31 row_mask:0xc bank_mask:0xf
	v_cmp_lt_i64_e32 vcc, v[16:17], v[12:13]
	s_nop 1
	v_cndmask_b32_e32 v5, v12, v16, vcc
	ds_bpermute_b32 v14, v2, v5
	s_waitcnt lgkmcnt(0)
	v_ashrrev_i32_e32 v15, 31, v14
	v_cmp_le_i64_e32 vcc, s[10:11], v[14:15]
	s_or_b64 s[14:15], vcc, s[14:15]
	v_mov_b32_e32 v5, v14
	s_andn2_b64 exec, exec, s[14:15]
	s_cbranch_execz .LBB92_25
.LBB92_10:                              ; =>This Loop Header: Depth=1
                                        ;     Child Loop BB92_13 Depth 2
	v_add_u32_e32 v16, v1, v6
	v_cmp_lt_i32_e32 vcc, v16, v3
	v_mov_b64_e32 v[12:13], s[10:11]
	v_mov_b32_e32 v1, v3
	ds_write_b8 v24, v0 offset:2048
	ds_write_b64 v26, v[10:11]
	s_waitcnt lgkmcnt(0)
	s_and_saveexec_b64 s[18:19], vcc
	s_cbranch_execz .LBB92_22
; %bb.11:                               ;   in Loop: Header=BB92_10 Depth=1
	v_mad_u64_u32 v[18:19], s[0:1], v14, s6, 0
	s_mov_b64 s[20:21], 0
	v_mov_b64_e32 v[12:13], s[10:11]
	v_mov_b32_e32 v19, v3
	s_branch .LBB92_13
.LBB92_12:                              ;   in Loop: Header=BB92_13 Depth=2
	s_or_b64 exec, exec, s[0:1]
	v_add_u32_e32 v16, 8, v16
	v_cmp_ge_i32_e64 s[0:1], v16, v3
	s_xor_b64 s[22:23], vcc, -1
	s_or_b64 s[0:1], s[22:23], s[0:1]
	s_and_b64 s[0:1], exec, s[0:1]
	s_or_b64 s[20:21], s[0:1], s[20:21]
	v_mov_b32_e32 v19, v1
	s_andn2_b64 exec, exec, s[20:21]
	s_cbranch_execz .LBB92_21
.LBB92_13:                              ;   Parent Loop BB92_10 Depth=1
                                        ; =>  This Inner Loop Header: Depth=2
	v_ashrrev_i32_e32 v17, 31, v16
	v_lshl_add_u64 v[20:21], v[16:17], 3, s[8:9]
	global_load_dwordx2 v[20:21], v[20:21], off
	v_mov_b32_e32 v1, s28
                                        ; implicit-def: $vgpr22_vgpr23
	s_waitcnt vmcnt(0)
	v_subrev_co_u32_e32 v20, vcc, s26, v20
	s_nop 1
	v_subb_co_u32_e32 v21, vcc, v21, v1, vcc
	v_or_b32_e32 v1, s7, v21
	v_cmp_ne_u64_e32 vcc, 0, v[0:1]
	s_and_saveexec_b64 s[0:1], vcc
	s_xor_b64 s[22:23], exec, s[0:1]
	s_cbranch_execz .LBB92_15
; %bb.14:                               ;   in Loop: Header=BB92_13 Depth=2
	s_add_u32 s0, s6, s16
	s_mov_b32 s17, s16
	s_addc_u32 s1, s7, s16
	s_xor_b64 s[24:25], s[0:1], s[16:17]
	v_cvt_f32_u32_e32 v1, s24
	v_cvt_f32_u32_e32 v22, s25
	s_sub_u32 s0, 0, s24
	s_subb_u32 s1, 0, s25
	v_mov_b32_e32 v29, v0
	v_fmac_f32_e32 v1, 0x4f800000, v22
	v_rcp_f32_e32 v1, v1
	s_nop 0
	v_mul_f32_e32 v1, 0x5f7ffffc, v1
	v_mul_f32_e32 v22, 0x2f800000, v1
	v_trunc_f32_e32 v22, v22
	v_fmac_f32_e32 v1, 0xcf800000, v22
	v_cvt_u32_f32_e32 v30, v22
	v_cvt_u32_f32_e32 v1, v1
	v_mul_lo_u32 v22, s0, v30
	v_mul_hi_u32 v28, s0, v1
	v_mul_lo_u32 v23, s1, v1
	v_add_u32_e32 v22, v28, v22
	v_mul_lo_u32 v31, s0, v1
	v_add_u32_e32 v32, v22, v23
	v_mul_hi_u32 v23, v1, v32
	v_mul_lo_u32 v22, v1, v32
	v_mul_hi_u32 v28, v1, v31
	v_lshl_add_u64 v[22:23], v[28:29], 0, v[22:23]
	v_mul_hi_u32 v29, v30, v31
	v_mul_lo_u32 v31, v30, v31
	v_add_co_u32_e32 v22, vcc, v22, v31
	v_mul_hi_u32 v28, v30, v32
	s_nop 0
	v_addc_co_u32_e32 v22, vcc, v23, v29, vcc
	v_mov_b32_e32 v23, v0
	s_nop 0
	v_addc_co_u32_e32 v29, vcc, 0, v28, vcc
	v_mul_lo_u32 v28, v30, v32
	v_lshl_add_u64 v[22:23], v[22:23], 0, v[28:29]
	v_add_co_u32_e32 v1, vcc, v1, v22
	v_mul_lo_u32 v28, s0, v1
	s_nop 0
	v_addc_co_u32_e32 v30, vcc, v30, v23, vcc
	v_mul_lo_u32 v22, s0, v30
	v_mul_hi_u32 v23, s0, v1
	v_add_u32_e32 v22, v23, v22
	v_mul_lo_u32 v23, s1, v1
	v_add_u32_e32 v31, v22, v23
	v_mul_hi_u32 v33, v30, v28
	v_mul_lo_u32 v34, v30, v28
	v_mul_hi_u32 v23, v1, v31
	v_mul_lo_u32 v22, v1, v31
	v_mul_hi_u32 v28, v1, v28
	v_mov_b32_e32 v29, v0
	v_lshl_add_u64 v[22:23], v[28:29], 0, v[22:23]
	v_add_co_u32_e32 v22, vcc, v22, v34
	v_mul_hi_u32 v32, v30, v31
	s_nop 0
	v_addc_co_u32_e32 v22, vcc, v23, v33, vcc
	v_mul_lo_u32 v28, v30, v31
	s_nop 0
	v_addc_co_u32_e32 v29, vcc, 0, v32, vcc
	v_mov_b32_e32 v23, v0
	v_lshl_add_u64 v[22:23], v[22:23], 0, v[28:29]
	v_add_co_u32_e32 v1, vcc, v1, v22
	v_ashrrev_i32_e32 v22, 31, v21
	s_nop 0
	v_addc_co_u32_e32 v32, vcc, v30, v23, vcc
	v_mov_b32_e32 v23, v22
	v_lshl_add_u64 v[28:29], v[20:21], 0, v[22:23]
	v_xor_b32_e32 v23, v28, v22
	v_xor_b32_e32 v21, v29, v22
	v_mad_u64_u32 v[28:29], s[0:1], v23, v32, 0
	v_mul_hi_u32 v30, v23, v1
	v_mov_b32_e32 v31, v0
	v_lshl_add_u64 v[28:29], v[30:31], 0, v[28:29]
	v_mad_u64_u32 v[30:31], s[0:1], v21, v32, 0
	v_mad_u64_u32 v[32:33], s[0:1], v21, v1, 0
	v_add_co_u32_e32 v1, vcc, v28, v32
	s_nop 1
	v_addc_co_u32_e32 v28, vcc, v29, v33, vcc
	v_mov_b32_e32 v29, v0
	s_nop 0
	v_addc_co_u32_e32 v31, vcc, 0, v31, vcc
	v_lshl_add_u64 v[28:29], v[28:29], 0, v[30:31]
	v_mul_lo_u32 v1, s25, v28
	v_mul_lo_u32 v32, s24, v29
	v_mad_u64_u32 v[30:31], s[0:1], s24, v28, 0
	v_add3_u32 v1, v31, v32, v1
	v_sub_u32_e32 v31, v21, v1
	v_mov_b32_e32 v32, s25
	v_sub_co_u32_e32 v23, vcc, v23, v30
	s_nop 1
	v_subb_co_u32_e64 v30, s[0:1], v31, v32, vcc
	v_subrev_co_u32_e64 v31, s[0:1], s24, v23
	v_subb_co_u32_e32 v1, vcc, v21, v1, vcc
	s_nop 0
	v_subbrev_co_u32_e64 v30, s[0:1], 0, v30, s[0:1]
	v_cmp_le_u32_e64 s[0:1], s25, v30
	v_cmp_le_u32_e32 vcc, s25, v1
	s_nop 0
	v_cndmask_b32_e64 v32, 0, -1, s[0:1]
	v_cmp_le_u32_e64 s[0:1], s24, v31
	v_cndmask_b32_e64 v21, 0, -1, vcc
	v_cmp_le_u32_e32 vcc, s24, v23
	v_cndmask_b32_e64 v31, 0, -1, s[0:1]
	v_cmp_eq_u32_e64 s[0:1], s25, v30
	v_cndmask_b32_e64 v23, 0, -1, vcc
	v_cmp_eq_u32_e32 vcc, s25, v1
	v_cndmask_b32_e64 v34, v32, v31, s[0:1]
	v_lshl_add_u64 v[30:31], v[28:29], 0, 2
	v_lshl_add_u64 v[32:33], v[28:29], 0, 1
	v_cmp_ne_u32_e64 s[0:1], 0, v34
	v_cndmask_b32_e32 v1, v21, v23, vcc
	v_cmp_ne_u32_e32 vcc, 0, v1
	v_cndmask_b32_e64 v21, v32, v30, s[0:1]
	v_cndmask_b32_e64 v31, v33, v31, s[0:1]
	v_cndmask_b32_e32 v21, v28, v21, vcc
	v_xor_b32_e32 v23, s16, v22
	v_cndmask_b32_e32 v1, v29, v31, vcc
	v_xor_b32_e32 v21, v21, v23
	v_xor_b32_e32 v1, v1, v23
	v_sub_co_u32_e32 v22, vcc, v21, v23
	s_nop 1
	v_subb_co_u32_e32 v23, vcc, v1, v23, vcc
.LBB92_15:                              ;   in Loop: Header=BB92_13 Depth=2
	s_andn2_saveexec_b64 s[0:1], s[22:23]
	s_cbranch_execz .LBB92_17
; %bb.16:                               ;   in Loop: Header=BB92_13 Depth=2
	v_cvt_f32_u32_e32 v1, s6
	s_sub_i32 s17, 0, s6
	v_rcp_iflag_f32_e32 v1, v1
	s_nop 0
	v_mul_f32_e32 v1, 0x4f7ffffe, v1
	v_cvt_u32_f32_e32 v1, v1
	v_mul_lo_u32 v21, s17, v1
	v_mul_hi_u32 v21, v1, v21
	v_add_u32_e32 v1, v1, v21
	v_mul_hi_u32 v1, v20, v1
	v_mul_lo_u32 v21, v1, s6
	v_sub_u32_e32 v21, v20, v21
	v_add_u32_e32 v22, 1, v1
	v_subrev_u32_e32 v23, s6, v21
	v_cmp_le_u32_e32 vcc, s6, v21
	s_nop 1
	v_cndmask_b32_e32 v21, v21, v23, vcc
	v_cndmask_b32_e32 v1, v1, v22, vcc
	v_add_u32_e32 v22, 1, v1
	v_cmp_le_u32_e32 vcc, s6, v21
	v_mov_b32_e32 v23, v0
	s_nop 0
	v_cndmask_b32_e32 v22, v1, v22, vcc
.LBB92_17:                              ;   in Loop: Header=BB92_13 Depth=2
	s_or_b64 exec, exec, s[0:1]
	v_cmp_eq_u64_e32 vcc, v[22:23], v[14:15]
	v_cmp_ne_u64_e64 s[0:1], v[22:23], v[14:15]
	s_and_saveexec_b64 s[22:23], s[0:1]
	s_xor_b64 s[22:23], exec, s[22:23]
; %bb.18:                               ;   in Loop: Header=BB92_13 Depth=2
	v_cmp_lt_i64_e64 s[0:1], v[22:23], v[12:13]
                                        ; implicit-def: $vgpr20_vgpr21
                                        ; implicit-def: $vgpr19
	s_nop 1
	v_cndmask_b32_e64 v13, v13, v23, s[0:1]
	v_cndmask_b32_e64 v12, v12, v22, s[0:1]
; %bb.19:                               ;   in Loop: Header=BB92_13 Depth=2
	s_or_saveexec_b64 s[0:1], s[22:23]
	v_mov_b32_e32 v1, v16
	s_xor_b64 exec, exec, s[0:1]
	s_cbranch_execz .LBB92_12
; %bb.20:                               ;   in Loop: Header=BB92_13 Depth=2
	v_lshl_add_u64 v[22:23], v[16:17], 3, s[12:13]
	global_load_dwordx2 v[22:23], v[22:23], off
	v_sub_u32_e32 v1, v20, v18
	v_add_lshl_u32 v1, v25, v1, 3
	ds_write_b8 v24, v7 offset:2048
	s_waitcnt vmcnt(0)
	ds_write_b64 v1, v[22:23]
	v_mov_b32_e32 v1, v19
	s_branch .LBB92_12
.LBB92_21:                              ;   in Loop: Header=BB92_10 Depth=1
	s_or_b64 exec, exec, s[20:21]
.LBB92_22:                              ;   in Loop: Header=BB92_10 Depth=1
	s_or_b64 exec, exec, s[18:19]
	v_mov_b32_dpp v14, v1 row_shr:1 row_mask:0xf bank_mask:0xf
	v_min_i32_e32 v1, v14, v1
	s_waitcnt lgkmcnt(0)
	s_nop 0
	v_mov_b32_dpp v14, v1 row_shr:2 row_mask:0xf bank_mask:0xf
	v_min_i32_e32 v1, v14, v1
	ds_read_u8 v14, v24 offset:2048
	s_waitcnt lgkmcnt(0)
	v_and_b32_e32 v14, 1, v14
	v_mov_b32_dpp v15, v1 row_shr:4 row_mask:0xf bank_mask:0xe
	v_min_i32_e32 v1, v15, v1
	ds_bpermute_b32 v1, v27, v1
	v_cmp_eq_u32_e32 vcc, 1, v14
	v_mov_b32_e32 v15, 0
	s_and_saveexec_b64 s[0:1], vcc
	s_cbranch_execz .LBB92_9
; %bb.23:                               ;   in Loop: Header=BB92_10 Depth=1
	v_add_u32_e32 v14, s27, v5
	v_ashrrev_i32_e32 v5, 31, v4
	v_ashrrev_i32_e32 v15, 31, v14
	v_lshl_add_u64 v[16:17], v[4:5], 3, s[2:3]
	global_store_dwordx2 v[16:17], v[14:15], off
	s_and_saveexec_b64 s[18:19], s[4:5]
	s_cbranch_execz .LBB92_8
; %bb.24:                               ;   in Loop: Header=BB92_10 Depth=1
	ds_read_b64 v[14:15], v26
	v_mul_lo_u32 v18, s29, v4
	v_mul_lo_u32 v5, s30, v5
	v_mad_u64_u32 v[16:17], s[20:21], s30, v4, 0
	v_add3_u32 v17, v17, v5, v18
	v_lshl_add_u64 v[16:17], v[16:17], 3, v[8:9]
	s_waitcnt lgkmcnt(0)
	global_store_dwordx2 v[16:17], v[14:15], off
	s_branch .LBB92_8
.LBB92_25:
	s_endpgm
	.section	.rodata,"a",@progbits
	.p2align	6, 0x0
	.amdhsa_kernel _ZN9rocsparseL42csr2bsr_wavefront_per_row_multipass_kernelILj256ELj64ELj8E21rocsparse_complex_numIfEilEEv20rocsparse_direction_T4_S4_S4_S4_S4_21rocsparse_index_base_PKT2_PKT3_PKS4_S5_PS6_PS9_PS4_
		.amdhsa_group_segment_fixed_size 2052
		.amdhsa_private_segment_fixed_size 0
		.amdhsa_kernarg_size 112
		.amdhsa_user_sgpr_count 2
		.amdhsa_user_sgpr_dispatch_ptr 0
		.amdhsa_user_sgpr_queue_ptr 0
		.amdhsa_user_sgpr_kernarg_segment_ptr 1
		.amdhsa_user_sgpr_dispatch_id 0
		.amdhsa_user_sgpr_kernarg_preload_length 0
		.amdhsa_user_sgpr_kernarg_preload_offset 0
		.amdhsa_user_sgpr_private_segment_size 0
		.amdhsa_uses_dynamic_stack 0
		.amdhsa_enable_private_segment 0
		.amdhsa_system_sgpr_workgroup_id_x 1
		.amdhsa_system_sgpr_workgroup_id_y 0
		.amdhsa_system_sgpr_workgroup_id_z 0
		.amdhsa_system_sgpr_workgroup_info 0
		.amdhsa_system_vgpr_workitem_id 0
		.amdhsa_next_free_vgpr 35
		.amdhsa_next_free_sgpr 31
		.amdhsa_accum_offset 36
		.amdhsa_reserve_vcc 1
		.amdhsa_float_round_mode_32 0
		.amdhsa_float_round_mode_16_64 0
		.amdhsa_float_denorm_mode_32 3
		.amdhsa_float_denorm_mode_16_64 3
		.amdhsa_dx10_clamp 1
		.amdhsa_ieee_mode 1
		.amdhsa_fp16_overflow 0
		.amdhsa_tg_split 0
		.amdhsa_exception_fp_ieee_invalid_op 0
		.amdhsa_exception_fp_denorm_src 0
		.amdhsa_exception_fp_ieee_div_zero 0
		.amdhsa_exception_fp_ieee_overflow 0
		.amdhsa_exception_fp_ieee_underflow 0
		.amdhsa_exception_fp_ieee_inexact 0
		.amdhsa_exception_int_div_zero 0
	.end_amdhsa_kernel
	.section	.text._ZN9rocsparseL42csr2bsr_wavefront_per_row_multipass_kernelILj256ELj64ELj8E21rocsparse_complex_numIfEilEEv20rocsparse_direction_T4_S4_S4_S4_S4_21rocsparse_index_base_PKT2_PKT3_PKS4_S5_PS6_PS9_PS4_,"axG",@progbits,_ZN9rocsparseL42csr2bsr_wavefront_per_row_multipass_kernelILj256ELj64ELj8E21rocsparse_complex_numIfEilEEv20rocsparse_direction_T4_S4_S4_S4_S4_21rocsparse_index_base_PKT2_PKT3_PKS4_S5_PS6_PS9_PS4_,comdat
.Lfunc_end92:
	.size	_ZN9rocsparseL42csr2bsr_wavefront_per_row_multipass_kernelILj256ELj64ELj8E21rocsparse_complex_numIfEilEEv20rocsparse_direction_T4_S4_S4_S4_S4_21rocsparse_index_base_PKT2_PKT3_PKS4_S5_PS6_PS9_PS4_, .Lfunc_end92-_ZN9rocsparseL42csr2bsr_wavefront_per_row_multipass_kernelILj256ELj64ELj8E21rocsparse_complex_numIfEilEEv20rocsparse_direction_T4_S4_S4_S4_S4_21rocsparse_index_base_PKT2_PKT3_PKS4_S5_PS6_PS9_PS4_
                                        ; -- End function
	.section	.AMDGPU.csdata,"",@progbits
; Kernel info:
; codeLenInByte = 2176
; NumSgprs: 37
; NumVgprs: 35
; NumAgprs: 0
; TotalNumVgprs: 35
; ScratchSize: 0
; MemoryBound: 0
; FloatMode: 240
; IeeeMode: 1
; LDSByteSize: 2052 bytes/workgroup (compile time only)
; SGPRBlocks: 4
; VGPRBlocks: 4
; NumSGPRsForWavesPerEU: 37
; NumVGPRsForWavesPerEU: 35
; AccumOffset: 36
; Occupancy: 8
; WaveLimiterHint : 0
; COMPUTE_PGM_RSRC2:SCRATCH_EN: 0
; COMPUTE_PGM_RSRC2:USER_SGPR: 2
; COMPUTE_PGM_RSRC2:TRAP_HANDLER: 0
; COMPUTE_PGM_RSRC2:TGID_X_EN: 1
; COMPUTE_PGM_RSRC2:TGID_Y_EN: 0
; COMPUTE_PGM_RSRC2:TGID_Z_EN: 0
; COMPUTE_PGM_RSRC2:TIDIG_COMP_CNT: 0
; COMPUTE_PGM_RSRC3_GFX90A:ACCUM_OFFSET: 8
; COMPUTE_PGM_RSRC3_GFX90A:TG_SPLIT: 0
	.section	.text._ZN9rocsparseL42csr2bsr_wavefront_per_row_multipass_kernelILj256ELj32ELj8E21rocsparse_complex_numIfEilEEv20rocsparse_direction_T4_S4_S4_S4_S4_21rocsparse_index_base_PKT2_PKT3_PKS4_S5_PS6_PS9_PS4_,"axG",@progbits,_ZN9rocsparseL42csr2bsr_wavefront_per_row_multipass_kernelILj256ELj32ELj8E21rocsparse_complex_numIfEilEEv20rocsparse_direction_T4_S4_S4_S4_S4_21rocsparse_index_base_PKT2_PKT3_PKS4_S5_PS6_PS9_PS4_,comdat
	.globl	_ZN9rocsparseL42csr2bsr_wavefront_per_row_multipass_kernelILj256ELj32ELj8E21rocsparse_complex_numIfEilEEv20rocsparse_direction_T4_S4_S4_S4_S4_21rocsparse_index_base_PKT2_PKT3_PKS4_S5_PS6_PS9_PS4_ ; -- Begin function _ZN9rocsparseL42csr2bsr_wavefront_per_row_multipass_kernelILj256ELj32ELj8E21rocsparse_complex_numIfEilEEv20rocsparse_direction_T4_S4_S4_S4_S4_21rocsparse_index_base_PKT2_PKT3_PKS4_S5_PS6_PS9_PS4_
	.p2align	8
	.type	_ZN9rocsparseL42csr2bsr_wavefront_per_row_multipass_kernelILj256ELj32ELj8E21rocsparse_complex_numIfEilEEv20rocsparse_direction_T4_S4_S4_S4_S4_21rocsparse_index_base_PKT2_PKT3_PKS4_S5_PS6_PS9_PS4_,@function
_ZN9rocsparseL42csr2bsr_wavefront_per_row_multipass_kernelILj256ELj32ELj8E21rocsparse_complex_numIfEilEEv20rocsparse_direction_T4_S4_S4_S4_S4_21rocsparse_index_base_PKT2_PKT3_PKS4_S5_PS6_PS9_PS4_: ; @_ZN9rocsparseL42csr2bsr_wavefront_per_row_multipass_kernelILj256ELj32ELj8E21rocsparse_complex_numIfEilEEv20rocsparse_direction_T4_S4_S4_S4_S4_21rocsparse_index_base_PKT2_PKT3_PKS4_S5_PS6_PS9_PS4_
; %bb.0:
	s_load_dwordx2 s[4:5], s[0:1], 0x8
	s_load_dwordx4 s[8:11], s[0:1], 0x18
	s_load_dwordx2 s[6:7], s[0:1], 0x28
	s_load_dword s30, s[0:1], 0x30
	s_load_dwordx2 s[12:13], s[0:1], 0x40
	s_ashr_i32 s3, s2, 31
	v_lshrrev_b32_e32 v30, 5, v0
	s_lshl_b64 s[14:15], s[2:3], 3
	v_bfe_u32 v2, v0, 2, 3
	v_mov_b32_e32 v3, 0
	v_or_b32_e32 v1, s14, v30
	s_waitcnt lgkmcnt(0)
	v_mul_lo_u32 v6, v1, s7
	v_mad_u64_u32 v[4:5], s[16:17], v1, s6, v[2:3]
	s_mul_i32 s3, s15, s6
	v_add3_u32 v5, s3, v5, v6
	v_cmp_gt_i64_e32 vcc, s[4:5], v[4:5]
	v_cmp_gt_i64_e64 s[4:5], s[6:7], v[2:3]
	s_and_b64 s[14:15], s[4:5], vcc
	v_mov_b32_e32 v26, v3
	s_and_saveexec_b64 s[16:17], s[14:15]
	s_cbranch_execz .LBB93_2
; %bb.1:
	v_lshl_add_u64 v[6:7], v[4:5], 2, s[12:13]
	global_load_dword v1, v[6:7], off
	s_waitcnt vmcnt(0)
	v_subrev_u32_e32 v26, s30, v1
.LBB93_2:
	s_or_b64 exec, exec, s[16:17]
	s_and_saveexec_b64 s[16:17], s[14:15]
	s_cbranch_execz .LBB93_4
; %bb.3:
	v_lshl_add_u64 v[4:5], v[4:5], 2, s[12:13]
	global_load_dword v1, v[4:5], off offset:4
	s_waitcnt vmcnt(0)
	v_subrev_u32_e32 v3, s30, v1
.LBB93_4:
	s_or_b64 exec, exec, s[16:17]
	s_load_dword s31, s[0:1], 0x50
	v_lshl_or_b32 v6, s2, 3, v30
	v_mov_b32_e32 v7, 0
	v_cmp_gt_i64_e32 vcc, s[8:9], v[6:7]
	v_mov_b32_e32 v4, v7
	s_and_saveexec_b64 s[2:3], vcc
	s_cbranch_execz .LBB93_6
; %bb.5:
	s_load_dwordx2 s[8:9], s[0:1], 0x60
	s_waitcnt lgkmcnt(0)
	v_lshl_add_u64 v[4:5], v[6:7], 2, s[8:9]
	global_load_dword v1, v[4:5], off
	s_waitcnt vmcnt(0)
	v_subrev_u32_e32 v4, s31, v1
.LBB93_6:
	s_or_b64 exec, exec, s[2:3]
	v_cmp_lt_i64_e64 s[2:3], s[10:11], 1
	s_and_b64 vcc, exec, s[2:3]
	s_cbranch_vccnz .LBB93_27
; %bb.7:
	s_mul_i32 s2, s6, s7
	s_mul_hi_u32 s3, s6, s6
	s_add_i32 s3, s3, s2
	s_load_dwordx2 s[8:9], s[0:1], 0x68
	s_add_i32 s33, s3, s2
	s_load_dwordx2 s[2:3], s[0:1], 0x58
	s_load_dwordx2 s[12:13], s[0:1], 0x48
	;; [unrolled: 1-line block ×3, first 2 shown]
	s_load_dword s16, s[0:1], 0x0
	v_mov_b32_e32 v6, 0
	v_lshlrev_b32_e32 v10, 3, v2
	v_mov_b32_e32 v11, v6
	s_waitcnt lgkmcnt(0)
	v_lshl_add_u64 v[8:9], s[2:3], 0, v[10:11]
	v_lshl_or_b32 v31, v30, 6, v10
	s_cmp_eq_u32 s16, 0
	v_mad_u64_u32 v[10:11], s[16:17], v2, s6, 0
	v_mov_b32_e32 v12, v11
	v_mad_u64_u32 v[12:13], s[16:17], v2, s7, v[12:13]
	v_and_b32_e32 v0, 3, v0
	v_mov_b32_e32 v11, v12
	v_mbcnt_lo_u32_b32 v1, -1, 0
	v_lshl_add_u64 v[10:11], v[10:11], 3, s[2:3]
	v_mad_u64_u32 v[12:13], s[2:3], v0, s6, 0
	v_mbcnt_hi_u32_b32 v1, -1, v1
	v_mov_b32_e32 v14, v13
	v_lshlrev_b32_e32 v1, 2, v1
	v_mad_u64_u32 v[14:15], s[2:3], v0, s7, v[14:15]
	v_or_b32_e32 v16, 4, v0
	v_or_b32_e32 v32, 12, v1
	;; [unrolled: 1-line block ×4, first 2 shown]
	v_mov_b32_e32 v13, v14
	v_mad_u64_u32 v[14:15], s[16:17], v16, s6, 0
	v_lshlrev_b32_e32 v33, 3, v1
	v_mov_b32_e32 v1, v6
	v_mov_b32_e32 v17, v6
	;; [unrolled: 1-line block ×3, first 2 shown]
	s_mov_b32 s35, 0
	v_cmp_gt_u64_e32 vcc, s[6:7], v[0:1]
	v_cmp_gt_u64_e64 s[2:3], s[6:7], v[16:17]
	v_mad_u64_u32 v[16:17], s[16:17], v16, s7, v[18:19]
	s_cselect_b64 s[0:1], -1, 0
	s_and_b64 s[16:17], s[4:5], vcc
	s_and_b64 s[4:5], s[4:5], s[2:3]
	s_mov_b32 s2, s35
	s_mov_b32 s3, s35
	s_mul_i32 s34, s6, s6
	v_mov_b32_e32 v15, v16
	s_mov_b64 s[18:19], 0
	v_mov_b64_e32 v[20:21], 0
	v_mov_b64_e32 v[16:17], s[2:3]
	s_ashr_i32 s20, s7, 31
	v_mov_b32_e32 v1, 1
	v_mov_b32_e32 v5, 0
	s_branch .LBB93_10
.LBB93_8:                               ;   in Loop: Header=BB93_10 Depth=1
	s_or_b64 exec, exec, s[22:23]
	v_mov_b32_e32 v7, 1
.LBB93_9:                               ;   in Loop: Header=BB93_10 Depth=1
	s_or_b64 exec, exec, s[2:3]
	v_mov_b32_dpp v20, v18 row_shr:1 row_mask:0xf bank_mask:0xf
	v_mov_b32_dpp v21, v19 row_shr:1 row_mask:0xf bank_mask:0xf
	v_cmp_lt_i64_e32 vcc, v[20:21], v[18:19]
	v_add_u32_e32 v4, v7, v4
	s_waitcnt lgkmcnt(0)
	v_cndmask_b32_e32 v19, v19, v21, vcc
	v_cndmask_b32_e32 v18, v18, v20, vcc
	s_nop 0
	v_mov_b32_dpp v21, v19 row_shr:2 row_mask:0xf bank_mask:0xf
	v_mov_b32_dpp v20, v18 row_shr:2 row_mask:0xf bank_mask:0xf
	v_cmp_lt_i64_e32 vcc, v[20:21], v[18:19]
	s_nop 1
	v_cndmask_b32_e32 v19, v19, v21, vcc
	v_cndmask_b32_e32 v18, v18, v20, vcc
	s_nop 0
	v_mov_b32_dpp v21, v19 row_shr:4 row_mask:0xf bank_mask:0xe
	v_mov_b32_dpp v20, v18 row_shr:4 row_mask:0xf bank_mask:0xe
	v_cmp_lt_i64_e32 vcc, v[20:21], v[18:19]
	s_nop 1
	;; [unrolled: 7-line block ×3, first 2 shown]
	v_cndmask_b32_e32 v19, v19, v21, vcc
	v_cndmask_b32_e32 v18, v18, v20, vcc
	s_nop 0
	v_mov_b32_dpp v21, v19 row_bcast:15 row_mask:0xa bank_mask:0xf
	v_mov_b32_dpp v20, v18 row_bcast:15 row_mask:0xa bank_mask:0xf
	v_cmp_lt_i64_e32 vcc, v[20:21], v[18:19]
	s_nop 1
	v_cndmask_b32_e32 v5, v18, v20, vcc
	ds_bpermute_b32 v20, v2, v5
	s_waitcnt lgkmcnt(0)
	v_ashrrev_i32_e32 v21, 31, v20
	v_cmp_le_i64_e32 vcc, s[10:11], v[20:21]
	s_or_b64 s[18:19], vcc, s[18:19]
	v_mov_b32_e32 v5, v20
	s_andn2_b64 exec, exec, s[18:19]
	s_cbranch_execz .LBB93_27
.LBB93_10:                              ; =>This Loop Header: Depth=1
                                        ;     Child Loop BB93_13 Depth 2
	v_add_u32_e32 v22, v26, v0
	v_cmp_lt_i32_e32 vcc, v22, v3
	v_mov_b64_e32 v[18:19], s[10:11]
	v_mov_b32_e32 v7, v3
	ds_write_b8 v30, v6 offset:4096
	ds_write2_b64 v33, v[16:17], v[16:17] offset1:4
	s_waitcnt lgkmcnt(0)
	s_and_saveexec_b64 s[22:23], vcc
	s_cbranch_execz .LBB93_22
; %bb.11:                               ;   in Loop: Header=BB93_10 Depth=1
	v_mad_u64_u32 v[24:25], s[2:3], v20, s6, 0
	s_mov_b64 s[24:25], 0
	v_mov_b64_e32 v[18:19], s[10:11]
	v_mov_b32_e32 v25, v3
	s_branch .LBB93_13
.LBB93_12:                              ;   in Loop: Header=BB93_13 Depth=2
	s_or_b64 exec, exec, s[2:3]
	v_add_u32_e32 v22, 4, v22
	v_cmp_ge_i32_e64 s[2:3], v22, v3
	s_xor_b64 s[26:27], vcc, -1
	s_or_b64 s[2:3], s[26:27], s[2:3]
	s_and_b64 s[2:3], exec, s[2:3]
	s_or_b64 s[24:25], s[2:3], s[24:25]
	v_mov_b32_e32 v25, v7
	s_andn2_b64 exec, exec, s[24:25]
	s_cbranch_execz .LBB93_21
.LBB93_13:                              ;   Parent Loop BB93_10 Depth=1
                                        ; =>  This Inner Loop Header: Depth=2
	v_ashrrev_i32_e32 v23, 31, v22
	v_lshl_add_u64 v[26:27], v[22:23], 3, s[12:13]
	global_load_dwordx2 v[26:27], v[26:27], off
	v_mov_b32_e32 v7, s35
                                        ; implicit-def: $vgpr28_vgpr29
	s_waitcnt vmcnt(0)
	v_subrev_co_u32_e32 v26, vcc, s30, v26
	s_nop 1
	v_subb_co_u32_e32 v27, vcc, v27, v7, vcc
	v_or_b32_e32 v7, s7, v27
	v_cmp_ne_u64_e32 vcc, 0, v[6:7]
	s_and_saveexec_b64 s[2:3], vcc
	s_xor_b64 s[26:27], exec, s[2:3]
	s_cbranch_execz .LBB93_15
; %bb.14:                               ;   in Loop: Header=BB93_13 Depth=2
	s_add_u32 s2, s6, s20
	s_mov_b32 s21, s20
	s_addc_u32 s3, s7, s20
	s_xor_b64 s[28:29], s[2:3], s[20:21]
	v_cvt_f32_u32_e32 v7, s28
	v_cvt_f32_u32_e32 v28, s29
	s_sub_u32 s2, 0, s28
	s_subb_u32 s3, 0, s29
	v_mov_b32_e32 v35, v6
	v_fmac_f32_e32 v7, 0x4f800000, v28
	v_rcp_f32_e32 v7, v7
	s_nop 0
	v_mul_f32_e32 v7, 0x5f7ffffc, v7
	v_mul_f32_e32 v28, 0x2f800000, v7
	v_trunc_f32_e32 v28, v28
	v_fmac_f32_e32 v7, 0xcf800000, v28
	v_cvt_u32_f32_e32 v36, v28
	v_cvt_u32_f32_e32 v7, v7
	v_mul_lo_u32 v28, s2, v36
	v_mul_hi_u32 v34, s2, v7
	v_mul_lo_u32 v29, s3, v7
	v_add_u32_e32 v28, v34, v28
	v_mul_lo_u32 v37, s2, v7
	v_add_u32_e32 v38, v28, v29
	v_mul_hi_u32 v29, v7, v38
	v_mul_lo_u32 v28, v7, v38
	v_mul_hi_u32 v34, v7, v37
	v_lshl_add_u64 v[28:29], v[34:35], 0, v[28:29]
	v_mul_hi_u32 v35, v36, v37
	v_mul_lo_u32 v37, v36, v37
	v_add_co_u32_e32 v28, vcc, v28, v37
	v_mul_hi_u32 v34, v36, v38
	s_nop 0
	v_addc_co_u32_e32 v28, vcc, v29, v35, vcc
	v_mov_b32_e32 v29, v6
	s_nop 0
	v_addc_co_u32_e32 v35, vcc, 0, v34, vcc
	v_mul_lo_u32 v34, v36, v38
	v_lshl_add_u64 v[28:29], v[28:29], 0, v[34:35]
	v_add_co_u32_e32 v7, vcc, v7, v28
	v_mul_lo_u32 v34, s2, v7
	s_nop 0
	v_addc_co_u32_e32 v36, vcc, v36, v29, vcc
	v_mul_lo_u32 v28, s2, v36
	v_mul_hi_u32 v29, s2, v7
	v_add_u32_e32 v28, v29, v28
	v_mul_lo_u32 v29, s3, v7
	v_add_u32_e32 v37, v28, v29
	v_mul_hi_u32 v39, v36, v34
	v_mul_lo_u32 v40, v36, v34
	v_mul_hi_u32 v29, v7, v37
	v_mul_lo_u32 v28, v7, v37
	v_mul_hi_u32 v34, v7, v34
	v_mov_b32_e32 v35, v6
	v_lshl_add_u64 v[28:29], v[34:35], 0, v[28:29]
	v_add_co_u32_e32 v28, vcc, v28, v40
	v_mul_hi_u32 v38, v36, v37
	s_nop 0
	v_addc_co_u32_e32 v28, vcc, v29, v39, vcc
	v_mul_lo_u32 v34, v36, v37
	s_nop 0
	v_addc_co_u32_e32 v35, vcc, 0, v38, vcc
	v_mov_b32_e32 v29, v6
	v_lshl_add_u64 v[28:29], v[28:29], 0, v[34:35]
	v_add_co_u32_e32 v7, vcc, v7, v28
	v_ashrrev_i32_e32 v28, 31, v27
	s_nop 0
	v_addc_co_u32_e32 v38, vcc, v36, v29, vcc
	v_mov_b32_e32 v29, v28
	v_lshl_add_u64 v[34:35], v[26:27], 0, v[28:29]
	v_xor_b32_e32 v29, v34, v28
	v_xor_b32_e32 v27, v35, v28
	v_mad_u64_u32 v[34:35], s[2:3], v29, v38, 0
	v_mul_hi_u32 v36, v29, v7
	v_mov_b32_e32 v37, v6
	v_lshl_add_u64 v[34:35], v[36:37], 0, v[34:35]
	v_mad_u64_u32 v[36:37], s[2:3], v27, v38, 0
	v_mad_u64_u32 v[38:39], s[2:3], v27, v7, 0
	v_add_co_u32_e32 v7, vcc, v34, v38
	s_nop 1
	v_addc_co_u32_e32 v34, vcc, v35, v39, vcc
	v_mov_b32_e32 v35, v6
	s_nop 0
	v_addc_co_u32_e32 v37, vcc, 0, v37, vcc
	v_lshl_add_u64 v[34:35], v[34:35], 0, v[36:37]
	v_mul_lo_u32 v7, s29, v34
	v_mul_lo_u32 v38, s28, v35
	v_mad_u64_u32 v[36:37], s[2:3], s28, v34, 0
	v_add3_u32 v7, v37, v38, v7
	v_sub_u32_e32 v37, v27, v7
	v_mov_b32_e32 v38, s29
	v_sub_co_u32_e32 v29, vcc, v29, v36
	s_nop 1
	v_subb_co_u32_e64 v36, s[2:3], v37, v38, vcc
	v_subrev_co_u32_e64 v37, s[2:3], s28, v29
	v_subb_co_u32_e32 v7, vcc, v27, v7, vcc
	s_nop 0
	v_subbrev_co_u32_e64 v36, s[2:3], 0, v36, s[2:3]
	v_cmp_le_u32_e64 s[2:3], s29, v36
	v_cmp_le_u32_e32 vcc, s29, v7
	s_nop 0
	v_cndmask_b32_e64 v38, 0, -1, s[2:3]
	v_cmp_le_u32_e64 s[2:3], s28, v37
	v_cndmask_b32_e64 v27, 0, -1, vcc
	v_cmp_le_u32_e32 vcc, s28, v29
	v_cndmask_b32_e64 v37, 0, -1, s[2:3]
	v_cmp_eq_u32_e64 s[2:3], s29, v36
	v_cndmask_b32_e64 v29, 0, -1, vcc
	v_cmp_eq_u32_e32 vcc, s29, v7
	v_cndmask_b32_e64 v40, v38, v37, s[2:3]
	v_lshl_add_u64 v[36:37], v[34:35], 0, 2
	v_lshl_add_u64 v[38:39], v[34:35], 0, 1
	v_cmp_ne_u32_e64 s[2:3], 0, v40
	v_cndmask_b32_e32 v7, v27, v29, vcc
	v_cmp_ne_u32_e32 vcc, 0, v7
	v_cndmask_b32_e64 v27, v38, v36, s[2:3]
	v_cndmask_b32_e64 v37, v39, v37, s[2:3]
	v_cndmask_b32_e32 v27, v34, v27, vcc
	v_xor_b32_e32 v29, s20, v28
	v_cndmask_b32_e32 v7, v35, v37, vcc
	v_xor_b32_e32 v27, v27, v29
	v_xor_b32_e32 v7, v7, v29
	v_sub_co_u32_e32 v28, vcc, v27, v29
	s_nop 1
	v_subb_co_u32_e32 v29, vcc, v7, v29, vcc
.LBB93_15:                              ;   in Loop: Header=BB93_13 Depth=2
	s_andn2_saveexec_b64 s[2:3], s[26:27]
	s_cbranch_execz .LBB93_17
; %bb.16:                               ;   in Loop: Header=BB93_13 Depth=2
	v_cvt_f32_u32_e32 v7, s6
	s_sub_i32 s21, 0, s6
	v_rcp_iflag_f32_e32 v7, v7
	s_nop 0
	v_mul_f32_e32 v7, 0x4f7ffffe, v7
	v_cvt_u32_f32_e32 v7, v7
	v_mul_lo_u32 v27, s21, v7
	v_mul_hi_u32 v27, v7, v27
	v_add_u32_e32 v7, v7, v27
	v_mul_hi_u32 v7, v26, v7
	v_mul_lo_u32 v27, v7, s6
	v_sub_u32_e32 v27, v26, v27
	v_add_u32_e32 v28, 1, v7
	v_subrev_u32_e32 v29, s6, v27
	v_cmp_le_u32_e32 vcc, s6, v27
	s_nop 1
	v_cndmask_b32_e32 v27, v27, v29, vcc
	v_cndmask_b32_e32 v7, v7, v28, vcc
	v_add_u32_e32 v28, 1, v7
	v_cmp_le_u32_e32 vcc, s6, v27
	v_mov_b32_e32 v29, v6
	s_nop 0
	v_cndmask_b32_e32 v28, v7, v28, vcc
.LBB93_17:                              ;   in Loop: Header=BB93_13 Depth=2
	s_or_b64 exec, exec, s[2:3]
	v_cmp_eq_u64_e32 vcc, v[28:29], v[20:21]
	v_cmp_ne_u64_e64 s[2:3], v[28:29], v[20:21]
	s_and_saveexec_b64 s[26:27], s[2:3]
	s_xor_b64 s[26:27], exec, s[26:27]
; %bb.18:                               ;   in Loop: Header=BB93_13 Depth=2
	v_cmp_lt_i64_e64 s[2:3], v[28:29], v[18:19]
                                        ; implicit-def: $vgpr26_vgpr27
                                        ; implicit-def: $vgpr25
	s_nop 1
	v_cndmask_b32_e64 v19, v19, v29, s[2:3]
	v_cndmask_b32_e64 v18, v18, v28, s[2:3]
; %bb.19:                               ;   in Loop: Header=BB93_13 Depth=2
	s_or_saveexec_b64 s[2:3], s[26:27]
	v_mov_b32_e32 v7, v22
	s_xor_b64 exec, exec, s[2:3]
	s_cbranch_execz .LBB93_12
; %bb.20:                               ;   in Loop: Header=BB93_13 Depth=2
	v_lshl_add_u64 v[28:29], v[22:23], 3, s[14:15]
	global_load_dwordx2 v[28:29], v[28:29], off
	v_sub_u32_e32 v7, v26, v24
	v_add_lshl_u32 v7, v31, v7, 3
	ds_write_b8 v30, v1 offset:4096
	s_waitcnt vmcnt(0)
	ds_write_b64 v7, v[28:29]
	v_mov_b32_e32 v7, v25
	s_branch .LBB93_12
.LBB93_21:                              ;   in Loop: Header=BB93_10 Depth=1
	s_or_b64 exec, exec, s[24:25]
.LBB93_22:                              ;   in Loop: Header=BB93_10 Depth=1
	s_or_b64 exec, exec, s[22:23]
	v_mov_b32_dpp v20, v7 row_shr:1 row_mask:0xf bank_mask:0xf
	v_min_i32_e32 v7, v20, v7
	s_waitcnt lgkmcnt(0)
	ds_read_u8 v20, v30 offset:4096
	v_mov_b32_dpp v21, v7 row_shr:2 row_mask:0xf bank_mask:0xf
	v_min_i32_e32 v7, v21, v7
	ds_bpermute_b32 v26, v32, v7
	s_waitcnt lgkmcnt(1)
	v_and_b32_e32 v7, 1, v20
	v_cmp_eq_u32_e32 vcc, 1, v7
	v_mov_b32_e32 v7, 0
	s_and_saveexec_b64 s[2:3], vcc
	s_cbranch_execz .LBB93_9
; %bb.23:                               ;   in Loop: Header=BB93_10 Depth=1
	v_add_u32_e32 v20, s31, v5
	v_ashrrev_i32_e32 v5, 31, v4
	v_ashrrev_i32_e32 v21, 31, v20
	v_lshl_add_u64 v[22:23], v[4:5], 3, s[8:9]
	global_store_dwordx2 v[22:23], v[20:21], off
	v_mul_lo_u32 v7, s33, v4
	v_mul_lo_u32 v5, s34, v5
	v_mad_u64_u32 v[20:21], s[22:23], s34, v4, 0
	v_add3_u32 v21, v21, v5, v7
	v_lshlrev_b64 v[22:23], 3, v[20:21]
	v_lshl_add_u64 v[20:21], v[8:9], 0, v[22:23]
	v_lshl_add_u64 v[22:23], v[10:11], 0, v[22:23]
	v_lshlrev_b32_e32 v24, 3, v0
	s_and_saveexec_b64 s[22:23], s[16:17]
	s_cbranch_execz .LBB93_25
; %bb.24:                               ;   in Loop: Header=BB93_10 Depth=1
	ds_read_b64 v[34:35], v33
	v_mov_b32_e32 v25, v6
	v_lshl_add_u64 v[28:29], v[12:13], 3, v[20:21]
	v_lshl_add_u64 v[36:37], v[22:23], 0, v[24:25]
	v_cndmask_b32_e64 v29, v29, v37, s[0:1]
	v_cndmask_b32_e64 v28, v28, v36, s[0:1]
	s_waitcnt lgkmcnt(0)
	global_store_dwordx2 v[28:29], v[34:35], off
.LBB93_25:                              ;   in Loop: Header=BB93_10 Depth=1
	s_or_b64 exec, exec, s[22:23]
	s_and_saveexec_b64 s[22:23], s[4:5]
	s_cbranch_execz .LBB93_8
; %bb.26:                               ;   in Loop: Header=BB93_10 Depth=1
	v_mov_b32_e32 v25, v6
	v_lshl_add_u64 v[22:23], v[22:23], 0, v[24:25]
	ds_read_b64 v[24:25], v33 offset:32
	v_lshl_add_u64 v[22:23], v[22:23], 0, 32
	v_lshl_add_u64 v[20:21], v[14:15], 3, v[20:21]
	v_cndmask_b32_e64 v21, v21, v23, s[0:1]
	v_cndmask_b32_e64 v20, v20, v22, s[0:1]
	s_waitcnt lgkmcnt(0)
	global_store_dwordx2 v[20:21], v[24:25], off
	s_branch .LBB93_8
.LBB93_27:
	s_endpgm
	.section	.rodata,"a",@progbits
	.p2align	6, 0x0
	.amdhsa_kernel _ZN9rocsparseL42csr2bsr_wavefront_per_row_multipass_kernelILj256ELj32ELj8E21rocsparse_complex_numIfEilEEv20rocsparse_direction_T4_S4_S4_S4_S4_21rocsparse_index_base_PKT2_PKT3_PKS4_S5_PS6_PS9_PS4_
		.amdhsa_group_segment_fixed_size 4104
		.amdhsa_private_segment_fixed_size 0
		.amdhsa_kernarg_size 112
		.amdhsa_user_sgpr_count 2
		.amdhsa_user_sgpr_dispatch_ptr 0
		.amdhsa_user_sgpr_queue_ptr 0
		.amdhsa_user_sgpr_kernarg_segment_ptr 1
		.amdhsa_user_sgpr_dispatch_id 0
		.amdhsa_user_sgpr_kernarg_preload_length 0
		.amdhsa_user_sgpr_kernarg_preload_offset 0
		.amdhsa_user_sgpr_private_segment_size 0
		.amdhsa_uses_dynamic_stack 0
		.amdhsa_enable_private_segment 0
		.amdhsa_system_sgpr_workgroup_id_x 1
		.amdhsa_system_sgpr_workgroup_id_y 0
		.amdhsa_system_sgpr_workgroup_id_z 0
		.amdhsa_system_sgpr_workgroup_info 0
		.amdhsa_system_vgpr_workitem_id 0
		.amdhsa_next_free_vgpr 41
		.amdhsa_next_free_sgpr 36
		.amdhsa_accum_offset 44
		.amdhsa_reserve_vcc 1
		.amdhsa_float_round_mode_32 0
		.amdhsa_float_round_mode_16_64 0
		.amdhsa_float_denorm_mode_32 3
		.amdhsa_float_denorm_mode_16_64 3
		.amdhsa_dx10_clamp 1
		.amdhsa_ieee_mode 1
		.amdhsa_fp16_overflow 0
		.amdhsa_tg_split 0
		.amdhsa_exception_fp_ieee_invalid_op 0
		.amdhsa_exception_fp_denorm_src 0
		.amdhsa_exception_fp_ieee_div_zero 0
		.amdhsa_exception_fp_ieee_overflow 0
		.amdhsa_exception_fp_ieee_underflow 0
		.amdhsa_exception_fp_ieee_inexact 0
		.amdhsa_exception_int_div_zero 0
	.end_amdhsa_kernel
	.section	.text._ZN9rocsparseL42csr2bsr_wavefront_per_row_multipass_kernelILj256ELj32ELj8E21rocsparse_complex_numIfEilEEv20rocsparse_direction_T4_S4_S4_S4_S4_21rocsparse_index_base_PKT2_PKT3_PKS4_S5_PS6_PS9_PS4_,"axG",@progbits,_ZN9rocsparseL42csr2bsr_wavefront_per_row_multipass_kernelILj256ELj32ELj8E21rocsparse_complex_numIfEilEEv20rocsparse_direction_T4_S4_S4_S4_S4_21rocsparse_index_base_PKT2_PKT3_PKS4_S5_PS6_PS9_PS4_,comdat
.Lfunc_end93:
	.size	_ZN9rocsparseL42csr2bsr_wavefront_per_row_multipass_kernelILj256ELj32ELj8E21rocsparse_complex_numIfEilEEv20rocsparse_direction_T4_S4_S4_S4_S4_21rocsparse_index_base_PKT2_PKT3_PKS4_S5_PS6_PS9_PS4_, .Lfunc_end93-_ZN9rocsparseL42csr2bsr_wavefront_per_row_multipass_kernelILj256ELj32ELj8E21rocsparse_complex_numIfEilEEv20rocsparse_direction_T4_S4_S4_S4_S4_21rocsparse_index_base_PKT2_PKT3_PKS4_S5_PS6_PS9_PS4_
                                        ; -- End function
	.section	.AMDGPU.csdata,"",@progbits
; Kernel info:
; codeLenInByte = 2260
; NumSgprs: 42
; NumVgprs: 41
; NumAgprs: 0
; TotalNumVgprs: 41
; ScratchSize: 0
; MemoryBound: 0
; FloatMode: 240
; IeeeMode: 1
; LDSByteSize: 4104 bytes/workgroup (compile time only)
; SGPRBlocks: 5
; VGPRBlocks: 5
; NumSGPRsForWavesPerEU: 42
; NumVGPRsForWavesPerEU: 41
; AccumOffset: 44
; Occupancy: 8
; WaveLimiterHint : 0
; COMPUTE_PGM_RSRC2:SCRATCH_EN: 0
; COMPUTE_PGM_RSRC2:USER_SGPR: 2
; COMPUTE_PGM_RSRC2:TRAP_HANDLER: 0
; COMPUTE_PGM_RSRC2:TGID_X_EN: 1
; COMPUTE_PGM_RSRC2:TGID_Y_EN: 0
; COMPUTE_PGM_RSRC2:TGID_Z_EN: 0
; COMPUTE_PGM_RSRC2:TIDIG_COMP_CNT: 0
; COMPUTE_PGM_RSRC3_GFX90A:ACCUM_OFFSET: 10
; COMPUTE_PGM_RSRC3_GFX90A:TG_SPLIT: 0
	.section	.text._ZN9rocsparseL42csr2bsr_wavefront_per_row_multipass_kernelILj256ELj64ELj16E21rocsparse_complex_numIfEilEEv20rocsparse_direction_T4_S4_S4_S4_S4_21rocsparse_index_base_PKT2_PKT3_PKS4_S5_PS6_PS9_PS4_,"axG",@progbits,_ZN9rocsparseL42csr2bsr_wavefront_per_row_multipass_kernelILj256ELj64ELj16E21rocsparse_complex_numIfEilEEv20rocsparse_direction_T4_S4_S4_S4_S4_21rocsparse_index_base_PKT2_PKT3_PKS4_S5_PS6_PS9_PS4_,comdat
	.globl	_ZN9rocsparseL42csr2bsr_wavefront_per_row_multipass_kernelILj256ELj64ELj16E21rocsparse_complex_numIfEilEEv20rocsparse_direction_T4_S4_S4_S4_S4_21rocsparse_index_base_PKT2_PKT3_PKS4_S5_PS6_PS9_PS4_ ; -- Begin function _ZN9rocsparseL42csr2bsr_wavefront_per_row_multipass_kernelILj256ELj64ELj16E21rocsparse_complex_numIfEilEEv20rocsparse_direction_T4_S4_S4_S4_S4_21rocsparse_index_base_PKT2_PKT3_PKS4_S5_PS6_PS9_PS4_
	.p2align	8
	.type	_ZN9rocsparseL42csr2bsr_wavefront_per_row_multipass_kernelILj256ELj64ELj16E21rocsparse_complex_numIfEilEEv20rocsparse_direction_T4_S4_S4_S4_S4_21rocsparse_index_base_PKT2_PKT3_PKS4_S5_PS6_PS9_PS4_,@function
_ZN9rocsparseL42csr2bsr_wavefront_per_row_multipass_kernelILj256ELj64ELj16E21rocsparse_complex_numIfEilEEv20rocsparse_direction_T4_S4_S4_S4_S4_21rocsparse_index_base_PKT2_PKT3_PKS4_S5_PS6_PS9_PS4_: ; @_ZN9rocsparseL42csr2bsr_wavefront_per_row_multipass_kernelILj256ELj64ELj16E21rocsparse_complex_numIfEilEEv20rocsparse_direction_T4_S4_S4_S4_S4_21rocsparse_index_base_PKT2_PKT3_PKS4_S5_PS6_PS9_PS4_
; %bb.0:
	s_load_dwordx2 s[4:5], s[0:1], 0x8
	s_load_dwordx4 s[8:11], s[0:1], 0x18
	s_load_dwordx2 s[12:13], s[0:1], 0x28
	s_load_dword s33, s[0:1], 0x30
	s_load_dwordx2 s[6:7], s[0:1], 0x40
	s_ashr_i32 s3, s2, 31
	v_lshrrev_b32_e32 v34, 6, v0
	s_lshl_b64 s[14:15], s[2:3], 2
	v_bfe_u32 v2, v0, 2, 4
	v_mov_b32_e32 v3, 0
	v_or_b32_e32 v1, s14, v34
	s_waitcnt lgkmcnt(0)
	v_mul_lo_u32 v6, v1, s13
	v_mad_u64_u32 v[4:5], s[16:17], v1, s12, v[2:3]
	s_mul_i32 s3, s15, s12
	v_add3_u32 v5, s3, v5, v6
	v_cmp_gt_i64_e32 vcc, s[4:5], v[4:5]
	v_cmp_gt_i64_e64 s[4:5], s[12:13], v[2:3]
	s_and_b64 s[14:15], s[4:5], vcc
	v_mov_b32_e32 v30, v3
	s_and_saveexec_b64 s[16:17], s[14:15]
	s_cbranch_execz .LBB94_2
; %bb.1:
	v_lshl_add_u64 v[6:7], v[4:5], 2, s[6:7]
	global_load_dword v1, v[6:7], off
	s_waitcnt vmcnt(0)
	v_subrev_u32_e32 v30, s33, v1
.LBB94_2:
	s_or_b64 exec, exec, s[16:17]
	s_and_saveexec_b64 s[16:17], s[14:15]
	s_cbranch_execz .LBB94_4
; %bb.3:
	v_lshl_add_u64 v[4:5], v[4:5], 2, s[6:7]
	global_load_dword v1, v[4:5], off offset:4
	s_waitcnt vmcnt(0)
	v_subrev_u32_e32 v3, s33, v1
.LBB94_4:
	s_or_b64 exec, exec, s[16:17]
	s_load_dword s38, s[0:1], 0x50
	v_lshl_or_b32 v6, s2, 2, v34
	v_mov_b32_e32 v7, 0
	v_cmp_gt_i64_e32 vcc, s[8:9], v[6:7]
	v_mov_b32_e32 v4, v7
	s_and_saveexec_b64 s[2:3], vcc
	s_cbranch_execz .LBB94_6
; %bb.5:
	s_load_dwordx2 s[6:7], s[0:1], 0x60
	s_waitcnt lgkmcnt(0)
	v_lshl_add_u64 v[4:5], v[6:7], 2, s[6:7]
	global_load_dword v1, v[4:5], off
	s_waitcnt vmcnt(0)
	v_subrev_u32_e32 v4, s38, v1
.LBB94_6:
	s_or_b64 exec, exec, s[2:3]
	v_cmp_lt_i64_e64 s[2:3], s[10:11], 1
	s_and_b64 vcc, exec, s[2:3]
	s_cbranch_vccnz .LBB94_31
; %bb.7:
	s_load_dwordx2 s[18:19], s[0:1], 0x38
	s_load_dword s6, s[0:1], 0x0
	s_mul_i32 s2, s12, s13
	s_mul_hi_u32 s3, s12, s12
	s_add_i32 s3, s3, s2
	s_load_dwordx2 s[14:15], s[0:1], 0x68
	s_add_i32 s39, s3, s2
	s_load_dwordx2 s[2:3], s[0:1], 0x58
	s_load_dwordx2 s[16:17], s[0:1], 0x48
	s_waitcnt lgkmcnt(0)
	s_cmp_eq_u32 s6, 0
	v_mad_u64_u32 v[10:11], s[6:7], v2, s12, 0
	v_mov_b32_e32 v12, v11
	v_mov_b32_e32 v6, 0
	v_mad_u64_u32 v[12:13], s[6:7], v2, s13, v[12:13]
	v_lshlrev_b32_e32 v8, 3, v2
	v_mov_b32_e32 v9, v6
	v_and_b32_e32 v0, 3, v0
	v_mov_b32_e32 v11, v12
	v_lshl_add_u64 v[8:9], s[2:3], 0, v[8:9]
	v_lshl_add_u64 v[10:11], v[10:11], 3, s[2:3]
	v_mad_u64_u32 v[12:13], s[2:3], v0, s12, 0
	v_mov_b32_e32 v14, v13
	v_mad_u64_u32 v[14:15], s[2:3], v0, s13, v[14:15]
	v_or_b32_e32 v16, 4, v0
	v_mov_b32_e32 v13, v14
	v_mad_u64_u32 v[14:15], s[6:7], v16, s12, 0
	v_mov_b32_e32 v17, v6
	v_mov_b32_e32 v18, v15
	v_lshlrev_b32_e32 v1, 8, v34
	v_cmp_gt_u64_e64 s[2:3], s[12:13], v[16:17]
	v_mad_u64_u32 v[16:17], s[6:7], v16, s13, v[18:19]
	v_or_b32_e32 v18, 8, v0
	v_lshl_or_b32 v35, v2, 4, v1
	v_mbcnt_lo_u32_b32 v1, -1, 0
	v_mov_b32_e32 v15, v16
	v_mad_u64_u32 v[16:17], s[8:9], v18, s12, 0
	v_mbcnt_hi_u32_b32 v1, -1, v1
	v_mov_b32_e32 v19, v6
	v_mov_b32_e32 v20, v17
	v_lshlrev_b32_e32 v1, 2, v1
	v_cmp_gt_u64_e64 s[6:7], s[12:13], v[18:19]
	v_mad_u64_u32 v[18:19], s[8:9], v18, s13, v[20:21]
	v_or_b32_e32 v20, 12, v0
	v_or_b32_e32 v36, 12, v1
	;; [unrolled: 1-line block ×4, first 2 shown]
	v_mov_b32_e32 v17, v18
	v_mad_u64_u32 v[18:19], s[20:21], v20, s12, 0
	s_mov_b32 s41, 0
	v_lshlrev_b32_e32 v37, 3, v1
	v_mov_b32_e32 v1, v6
	v_mov_b32_e32 v21, v6
	;; [unrolled: 1-line block ×3, first 2 shown]
	s_cselect_b64 s[0:1], -1, 0
	v_cmp_gt_u64_e32 vcc, s[12:13], v[0:1]
	v_cmp_gt_u64_e64 s[8:9], s[12:13], v[20:21]
	v_mad_u64_u32 v[20:21], s[20:21], v20, s13, v[22:23]
	s_and_b64 s[22:23], s[4:5], s[2:3]
	s_mov_b32 s2, s41
	s_mov_b32 s3, s41
	s_mul_i32 s40, s12, s12
	v_mov_b32_e32 v19, v20
	s_and_b64 s[20:21], s[4:5], vcc
	s_and_b64 s[6:7], s[4:5], s[6:7]
	s_and_b64 s[4:5], s[4:5], s[8:9]
	s_mov_b64 s[8:9], 0
	v_mov_b64_e32 v[24:25], 0
	v_mov_b64_e32 v[20:21], s[2:3]
	s_ashr_i32 s24, s13, 31
	s_mov_b64 s[26:27], 0x60
	v_mov_b32_e32 v1, 1
	v_mov_b32_e32 v5, 0
	s_branch .LBB94_10
.LBB94_8:                               ;   in Loop: Header=BB94_10 Depth=1
	s_or_b64 exec, exec, s[28:29]
	v_mov_b32_e32 v7, 1
.LBB94_9:                               ;   in Loop: Header=BB94_10 Depth=1
	s_or_b64 exec, exec, s[2:3]
	v_mov_b32_dpp v24, v22 row_shr:1 row_mask:0xf bank_mask:0xf
	v_mov_b32_dpp v25, v23 row_shr:1 row_mask:0xf bank_mask:0xf
	v_cmp_lt_i64_e32 vcc, v[24:25], v[22:23]
	v_add_u32_e32 v4, v7, v4
	s_waitcnt lgkmcnt(0)
	v_cndmask_b32_e32 v23, v23, v25, vcc
	v_cndmask_b32_e32 v22, v22, v24, vcc
	s_nop 0
	v_mov_b32_dpp v25, v23 row_shr:2 row_mask:0xf bank_mask:0xf
	v_mov_b32_dpp v24, v22 row_shr:2 row_mask:0xf bank_mask:0xf
	v_cmp_lt_i64_e32 vcc, v[24:25], v[22:23]
	s_nop 1
	v_cndmask_b32_e32 v23, v23, v25, vcc
	v_cndmask_b32_e32 v22, v22, v24, vcc
	s_nop 0
	v_mov_b32_dpp v25, v23 row_shr:4 row_mask:0xf bank_mask:0xe
	v_mov_b32_dpp v24, v22 row_shr:4 row_mask:0xf bank_mask:0xe
	v_cmp_lt_i64_e32 vcc, v[24:25], v[22:23]
	s_nop 1
	;; [unrolled: 7-line block ×3, first 2 shown]
	v_cndmask_b32_e32 v23, v23, v25, vcc
	v_cndmask_b32_e32 v22, v22, v24, vcc
	s_nop 0
	v_mov_b32_dpp v25, v23 row_bcast:15 row_mask:0xa bank_mask:0xf
	v_mov_b32_dpp v24, v22 row_bcast:15 row_mask:0xa bank_mask:0xf
	v_cmp_lt_i64_e32 vcc, v[24:25], v[22:23]
	s_nop 1
	v_cndmask_b32_e32 v23, v23, v25, vcc
	v_cndmask_b32_e32 v22, v22, v24, vcc
	s_nop 0
	v_mov_b32_dpp v25, v23 row_bcast:31 row_mask:0xc bank_mask:0xf
	v_mov_b32_dpp v24, v22 row_bcast:31 row_mask:0xc bank_mask:0xf
	v_cmp_lt_i64_e32 vcc, v[24:25], v[22:23]
	s_nop 1
	v_cndmask_b32_e32 v5, v22, v24, vcc
	ds_bpermute_b32 v24, v2, v5
	s_waitcnt lgkmcnt(0)
	v_ashrrev_i32_e32 v25, 31, v24
	v_cmp_le_i64_e32 vcc, s[10:11], v[24:25]
	s_or_b64 s[8:9], vcc, s[8:9]
	v_mov_b32_e32 v5, v24
	s_andn2_b64 exec, exec, s[8:9]
	s_cbranch_execz .LBB94_31
.LBB94_10:                              ; =>This Loop Header: Depth=1
                                        ;     Child Loop BB94_13 Depth 2
	v_add_u32_e32 v26, v30, v0
	v_cmp_lt_i32_e32 vcc, v26, v3
	v_mov_b64_e32 v[22:23], s[10:11]
	v_mov_b32_e32 v7, v3
	ds_write_b8 v34, v6 offset:8192
	ds_write2_b64 v37, v[20:21], v[20:21] offset1:4
	ds_write2_b64 v37, v[20:21], v[20:21] offset0:8 offset1:12
	s_waitcnt lgkmcnt(0)
	s_and_saveexec_b64 s[28:29], vcc
	s_cbranch_execz .LBB94_22
; %bb.11:                               ;   in Loop: Header=BB94_10 Depth=1
	v_mad_u64_u32 v[28:29], s[2:3], v24, s12, 0
	s_mov_b64 s[30:31], 0
	v_mov_b64_e32 v[22:23], s[10:11]
	v_mov_b32_e32 v29, v3
	s_branch .LBB94_13
.LBB94_12:                              ;   in Loop: Header=BB94_13 Depth=2
	s_or_b64 exec, exec, s[2:3]
	v_add_u32_e32 v26, 4, v26
	v_cmp_ge_i32_e64 s[2:3], v26, v3
	s_xor_b64 s[34:35], vcc, -1
	s_or_b64 s[2:3], s[34:35], s[2:3]
	s_and_b64 s[2:3], exec, s[2:3]
	s_or_b64 s[30:31], s[2:3], s[30:31]
	v_mov_b32_e32 v29, v7
	s_andn2_b64 exec, exec, s[30:31]
	s_cbranch_execz .LBB94_21
.LBB94_13:                              ;   Parent Loop BB94_10 Depth=1
                                        ; =>  This Inner Loop Header: Depth=2
	v_ashrrev_i32_e32 v27, 31, v26
	v_lshl_add_u64 v[30:31], v[26:27], 3, s[16:17]
	global_load_dwordx2 v[30:31], v[30:31], off
	v_mov_b32_e32 v7, s41
                                        ; implicit-def: $vgpr32_vgpr33
	s_waitcnt vmcnt(0)
	v_subrev_co_u32_e32 v30, vcc, s33, v30
	s_nop 1
	v_subb_co_u32_e32 v31, vcc, v31, v7, vcc
	v_or_b32_e32 v7, s13, v31
	v_cmp_ne_u64_e32 vcc, 0, v[6:7]
	s_and_saveexec_b64 s[2:3], vcc
	s_xor_b64 s[34:35], exec, s[2:3]
	s_cbranch_execz .LBB94_15
; %bb.14:                               ;   in Loop: Header=BB94_13 Depth=2
	s_add_u32 s2, s12, s24
	s_mov_b32 s25, s24
	s_addc_u32 s3, s13, s24
	s_xor_b64 s[36:37], s[2:3], s[24:25]
	v_cvt_f32_u32_e32 v7, s36
	v_cvt_f32_u32_e32 v32, s37
	s_sub_u32 s2, 0, s36
	s_subb_u32 s3, 0, s37
	v_mov_b32_e32 v39, v6
	v_fmac_f32_e32 v7, 0x4f800000, v32
	v_rcp_f32_e32 v7, v7
	s_nop 0
	v_mul_f32_e32 v7, 0x5f7ffffc, v7
	v_mul_f32_e32 v32, 0x2f800000, v7
	v_trunc_f32_e32 v32, v32
	v_fmac_f32_e32 v7, 0xcf800000, v32
	v_cvt_u32_f32_e32 v40, v32
	v_cvt_u32_f32_e32 v7, v7
	v_mul_lo_u32 v32, s2, v40
	v_mul_hi_u32 v38, s2, v7
	v_mul_lo_u32 v33, s3, v7
	v_add_u32_e32 v32, v38, v32
	v_mul_lo_u32 v41, s2, v7
	v_add_u32_e32 v42, v32, v33
	v_mul_hi_u32 v33, v7, v42
	v_mul_lo_u32 v32, v7, v42
	v_mul_hi_u32 v38, v7, v41
	v_lshl_add_u64 v[32:33], v[38:39], 0, v[32:33]
	v_mul_hi_u32 v39, v40, v41
	v_mul_lo_u32 v41, v40, v41
	v_add_co_u32_e32 v32, vcc, v32, v41
	v_mul_hi_u32 v38, v40, v42
	s_nop 0
	v_addc_co_u32_e32 v32, vcc, v33, v39, vcc
	v_mov_b32_e32 v33, v6
	s_nop 0
	v_addc_co_u32_e32 v39, vcc, 0, v38, vcc
	v_mul_lo_u32 v38, v40, v42
	v_lshl_add_u64 v[32:33], v[32:33], 0, v[38:39]
	v_add_co_u32_e32 v7, vcc, v7, v32
	v_mul_lo_u32 v38, s2, v7
	s_nop 0
	v_addc_co_u32_e32 v40, vcc, v40, v33, vcc
	v_mul_lo_u32 v32, s2, v40
	v_mul_hi_u32 v33, s2, v7
	v_add_u32_e32 v32, v33, v32
	v_mul_lo_u32 v33, s3, v7
	v_add_u32_e32 v41, v32, v33
	v_mul_hi_u32 v43, v40, v38
	v_mul_lo_u32 v44, v40, v38
	v_mul_hi_u32 v33, v7, v41
	v_mul_lo_u32 v32, v7, v41
	v_mul_hi_u32 v38, v7, v38
	v_mov_b32_e32 v39, v6
	v_lshl_add_u64 v[32:33], v[38:39], 0, v[32:33]
	v_add_co_u32_e32 v32, vcc, v32, v44
	v_mul_hi_u32 v42, v40, v41
	s_nop 0
	v_addc_co_u32_e32 v32, vcc, v33, v43, vcc
	v_mul_lo_u32 v38, v40, v41
	s_nop 0
	v_addc_co_u32_e32 v39, vcc, 0, v42, vcc
	v_mov_b32_e32 v33, v6
	v_lshl_add_u64 v[32:33], v[32:33], 0, v[38:39]
	v_add_co_u32_e32 v7, vcc, v7, v32
	v_ashrrev_i32_e32 v32, 31, v31
	s_nop 0
	v_addc_co_u32_e32 v42, vcc, v40, v33, vcc
	v_mov_b32_e32 v33, v32
	v_lshl_add_u64 v[38:39], v[30:31], 0, v[32:33]
	v_xor_b32_e32 v33, v38, v32
	v_xor_b32_e32 v31, v39, v32
	v_mad_u64_u32 v[38:39], s[2:3], v33, v42, 0
	v_mul_hi_u32 v40, v33, v7
	v_mov_b32_e32 v41, v6
	v_lshl_add_u64 v[38:39], v[40:41], 0, v[38:39]
	v_mad_u64_u32 v[40:41], s[2:3], v31, v42, 0
	v_mad_u64_u32 v[42:43], s[2:3], v31, v7, 0
	v_add_co_u32_e32 v7, vcc, v38, v42
	s_nop 1
	v_addc_co_u32_e32 v38, vcc, v39, v43, vcc
	v_mov_b32_e32 v39, v6
	s_nop 0
	v_addc_co_u32_e32 v41, vcc, 0, v41, vcc
	v_lshl_add_u64 v[38:39], v[38:39], 0, v[40:41]
	v_mul_lo_u32 v7, s37, v38
	v_mul_lo_u32 v42, s36, v39
	v_mad_u64_u32 v[40:41], s[2:3], s36, v38, 0
	v_add3_u32 v7, v41, v42, v7
	v_sub_u32_e32 v41, v31, v7
	v_mov_b32_e32 v42, s37
	v_sub_co_u32_e32 v33, vcc, v33, v40
	s_nop 1
	v_subb_co_u32_e64 v40, s[2:3], v41, v42, vcc
	v_subrev_co_u32_e64 v41, s[2:3], s36, v33
	v_subb_co_u32_e32 v7, vcc, v31, v7, vcc
	s_nop 0
	v_subbrev_co_u32_e64 v40, s[2:3], 0, v40, s[2:3]
	v_cmp_le_u32_e64 s[2:3], s37, v40
	v_cmp_le_u32_e32 vcc, s37, v7
	s_nop 0
	v_cndmask_b32_e64 v42, 0, -1, s[2:3]
	v_cmp_le_u32_e64 s[2:3], s36, v41
	v_cndmask_b32_e64 v31, 0, -1, vcc
	v_cmp_le_u32_e32 vcc, s36, v33
	v_cndmask_b32_e64 v41, 0, -1, s[2:3]
	v_cmp_eq_u32_e64 s[2:3], s37, v40
	v_cndmask_b32_e64 v33, 0, -1, vcc
	v_cmp_eq_u32_e32 vcc, s37, v7
	v_cndmask_b32_e64 v44, v42, v41, s[2:3]
	v_lshl_add_u64 v[40:41], v[38:39], 0, 2
	v_lshl_add_u64 v[42:43], v[38:39], 0, 1
	v_cmp_ne_u32_e64 s[2:3], 0, v44
	v_cndmask_b32_e32 v7, v31, v33, vcc
	v_cmp_ne_u32_e32 vcc, 0, v7
	v_cndmask_b32_e64 v31, v42, v40, s[2:3]
	v_cndmask_b32_e64 v41, v43, v41, s[2:3]
	v_cndmask_b32_e32 v31, v38, v31, vcc
	v_xor_b32_e32 v33, s24, v32
	v_cndmask_b32_e32 v7, v39, v41, vcc
	v_xor_b32_e32 v31, v31, v33
	v_xor_b32_e32 v7, v7, v33
	v_sub_co_u32_e32 v32, vcc, v31, v33
	s_nop 1
	v_subb_co_u32_e32 v33, vcc, v7, v33, vcc
.LBB94_15:                              ;   in Loop: Header=BB94_13 Depth=2
	s_andn2_saveexec_b64 s[2:3], s[34:35]
	s_cbranch_execz .LBB94_17
; %bb.16:                               ;   in Loop: Header=BB94_13 Depth=2
	v_cvt_f32_u32_e32 v7, s12
	s_sub_i32 s25, 0, s12
	v_rcp_iflag_f32_e32 v7, v7
	s_nop 0
	v_mul_f32_e32 v7, 0x4f7ffffe, v7
	v_cvt_u32_f32_e32 v7, v7
	v_mul_lo_u32 v31, s25, v7
	v_mul_hi_u32 v31, v7, v31
	v_add_u32_e32 v7, v7, v31
	v_mul_hi_u32 v7, v30, v7
	v_mul_lo_u32 v31, v7, s12
	v_sub_u32_e32 v31, v30, v31
	v_add_u32_e32 v32, 1, v7
	v_subrev_u32_e32 v33, s12, v31
	v_cmp_le_u32_e32 vcc, s12, v31
	s_nop 1
	v_cndmask_b32_e32 v31, v31, v33, vcc
	v_cndmask_b32_e32 v7, v7, v32, vcc
	v_add_u32_e32 v32, 1, v7
	v_cmp_le_u32_e32 vcc, s12, v31
	v_mov_b32_e32 v33, v6
	s_nop 0
	v_cndmask_b32_e32 v32, v7, v32, vcc
.LBB94_17:                              ;   in Loop: Header=BB94_13 Depth=2
	s_or_b64 exec, exec, s[2:3]
	v_cmp_eq_u64_e32 vcc, v[32:33], v[24:25]
	v_cmp_ne_u64_e64 s[2:3], v[32:33], v[24:25]
	s_and_saveexec_b64 s[34:35], s[2:3]
	s_xor_b64 s[34:35], exec, s[34:35]
; %bb.18:                               ;   in Loop: Header=BB94_13 Depth=2
	v_cmp_lt_i64_e64 s[2:3], v[32:33], v[22:23]
                                        ; implicit-def: $vgpr30_vgpr31
                                        ; implicit-def: $vgpr29
	s_nop 1
	v_cndmask_b32_e64 v23, v23, v33, s[2:3]
	v_cndmask_b32_e64 v22, v22, v32, s[2:3]
; %bb.19:                               ;   in Loop: Header=BB94_13 Depth=2
	s_or_saveexec_b64 s[2:3], s[34:35]
	v_mov_b32_e32 v7, v26
	s_xor_b64 exec, exec, s[2:3]
	s_cbranch_execz .LBB94_12
; %bb.20:                               ;   in Loop: Header=BB94_13 Depth=2
	v_lshl_add_u64 v[32:33], v[26:27], 3, s[18:19]
	global_load_dwordx2 v[32:33], v[32:33], off
	v_sub_u32_e32 v7, v30, v28
	v_add_lshl_u32 v7, v35, v7, 3
	ds_write_b8 v34, v1 offset:8192
	s_waitcnt vmcnt(0)
	ds_write_b64 v7, v[32:33]
	v_mov_b32_e32 v7, v29
	s_branch .LBB94_12
.LBB94_21:                              ;   in Loop: Header=BB94_10 Depth=1
	s_or_b64 exec, exec, s[30:31]
.LBB94_22:                              ;   in Loop: Header=BB94_10 Depth=1
	s_or_b64 exec, exec, s[28:29]
	v_mov_b32_dpp v24, v7 row_shr:1 row_mask:0xf bank_mask:0xf
	v_min_i32_e32 v7, v24, v7
	s_waitcnt lgkmcnt(0)
	ds_read_u8 v24, v34 offset:8192
	v_mov_b32_dpp v25, v7 row_shr:2 row_mask:0xf bank_mask:0xf
	v_min_i32_e32 v7, v25, v7
	ds_bpermute_b32 v30, v36, v7
	s_waitcnt lgkmcnt(1)
	v_and_b32_e32 v7, 1, v24
	v_cmp_eq_u32_e32 vcc, 1, v7
	v_mov_b32_e32 v7, 0
	s_and_saveexec_b64 s[2:3], vcc
	s_cbranch_execz .LBB94_9
; %bb.23:                               ;   in Loop: Header=BB94_10 Depth=1
	v_add_u32_e32 v24, s38, v5
	v_ashrrev_i32_e32 v5, 31, v4
	v_ashrrev_i32_e32 v25, 31, v24
	v_lshl_add_u64 v[26:27], v[4:5], 3, s[14:15]
	global_store_dwordx2 v[26:27], v[24:25], off
	v_mul_lo_u32 v7, s39, v4
	v_mul_lo_u32 v5, s40, v5
	v_mad_u64_u32 v[24:25], s[28:29], s40, v4, 0
	v_add3_u32 v25, v25, v5, v7
	v_lshlrev_b64 v[26:27], 3, v[24:25]
	v_lshl_add_u64 v[24:25], v[8:9], 0, v[26:27]
	v_lshl_add_u64 v[26:27], v[10:11], 0, v[26:27]
	v_lshlrev_b32_e32 v28, 3, v0
	s_and_saveexec_b64 s[28:29], s[20:21]
	s_cbranch_execnz .LBB94_27
; %bb.24:                               ;   in Loop: Header=BB94_10 Depth=1
	s_or_b64 exec, exec, s[28:29]
	s_and_saveexec_b64 s[28:29], s[22:23]
	s_cbranch_execnz .LBB94_28
.LBB94_25:                              ;   in Loop: Header=BB94_10 Depth=1
	s_or_b64 exec, exec, s[28:29]
	s_and_saveexec_b64 s[28:29], s[6:7]
	s_cbranch_execnz .LBB94_29
.LBB94_26:                              ;   in Loop: Header=BB94_10 Depth=1
	s_or_b64 exec, exec, s[28:29]
	s_and_saveexec_b64 s[28:29], s[4:5]
	s_cbranch_execz .LBB94_8
	s_branch .LBB94_30
.LBB94_27:                              ;   in Loop: Header=BB94_10 Depth=1
	ds_read_b64 v[38:39], v37
	v_mov_b32_e32 v29, v6
	v_lshl_add_u64 v[32:33], v[12:13], 3, v[24:25]
	v_lshl_add_u64 v[40:41], v[26:27], 0, v[28:29]
	v_cndmask_b32_e64 v33, v33, v41, s[0:1]
	v_cndmask_b32_e64 v32, v32, v40, s[0:1]
	s_waitcnt lgkmcnt(0)
	global_store_dwordx2 v[32:33], v[38:39], off
	s_or_b64 exec, exec, s[28:29]
	s_and_saveexec_b64 s[28:29], s[22:23]
	s_cbranch_execz .LBB94_25
.LBB94_28:                              ;   in Loop: Header=BB94_10 Depth=1
	ds_read_b64 v[38:39], v37 offset:32
	v_mov_b32_e32 v29, v6
	v_lshl_add_u64 v[32:33], v[26:27], 0, v[28:29]
	v_lshl_add_u64 v[32:33], v[32:33], 0, 32
	;; [unrolled: 1-line block ×3, first 2 shown]
	v_cndmask_b32_e64 v33, v41, v33, s[0:1]
	v_cndmask_b32_e64 v32, v40, v32, s[0:1]
	s_waitcnt lgkmcnt(0)
	global_store_dwordx2 v[32:33], v[38:39], off
	s_or_b64 exec, exec, s[28:29]
	s_and_saveexec_b64 s[28:29], s[6:7]
	s_cbranch_execz .LBB94_26
.LBB94_29:                              ;   in Loop: Header=BB94_10 Depth=1
	ds_read_b64 v[38:39], v37 offset:64
	v_mov_b32_e32 v29, v6
	v_lshl_add_u64 v[32:33], v[26:27], 0, v[28:29]
	v_lshl_add_u64 v[32:33], v[32:33], 0, 64
	v_lshl_add_u64 v[40:41], v[16:17], 3, v[24:25]
	v_cndmask_b32_e64 v33, v41, v33, s[0:1]
	v_cndmask_b32_e64 v32, v40, v32, s[0:1]
	s_waitcnt lgkmcnt(0)
	global_store_dwordx2 v[32:33], v[38:39], off
	s_or_b64 exec, exec, s[28:29]
	s_and_saveexec_b64 s[28:29], s[4:5]
	s_cbranch_execz .LBB94_8
.LBB94_30:                              ;   in Loop: Header=BB94_10 Depth=1
	v_mov_b32_e32 v29, v6
	v_lshl_add_u64 v[26:27], v[26:27], 0, v[28:29]
	ds_read_b64 v[28:29], v37 offset:96
	v_lshl_add_u64 v[26:27], v[26:27], 0, s[26:27]
	v_lshl_add_u64 v[24:25], v[18:19], 3, v[24:25]
	v_cndmask_b32_e64 v25, v25, v27, s[0:1]
	v_cndmask_b32_e64 v24, v24, v26, s[0:1]
	s_waitcnt lgkmcnt(0)
	global_store_dwordx2 v[24:25], v[28:29], off
	s_branch .LBB94_8
.LBB94_31:
	s_endpgm
	.section	.rodata,"a",@progbits
	.p2align	6, 0x0
	.amdhsa_kernel _ZN9rocsparseL42csr2bsr_wavefront_per_row_multipass_kernelILj256ELj64ELj16E21rocsparse_complex_numIfEilEEv20rocsparse_direction_T4_S4_S4_S4_S4_21rocsparse_index_base_PKT2_PKT3_PKS4_S5_PS6_PS9_PS4_
		.amdhsa_group_segment_fixed_size 8196
		.amdhsa_private_segment_fixed_size 0
		.amdhsa_kernarg_size 112
		.amdhsa_user_sgpr_count 2
		.amdhsa_user_sgpr_dispatch_ptr 0
		.amdhsa_user_sgpr_queue_ptr 0
		.amdhsa_user_sgpr_kernarg_segment_ptr 1
		.amdhsa_user_sgpr_dispatch_id 0
		.amdhsa_user_sgpr_kernarg_preload_length 0
		.amdhsa_user_sgpr_kernarg_preload_offset 0
		.amdhsa_user_sgpr_private_segment_size 0
		.amdhsa_uses_dynamic_stack 0
		.amdhsa_enable_private_segment 0
		.amdhsa_system_sgpr_workgroup_id_x 1
		.amdhsa_system_sgpr_workgroup_id_y 0
		.amdhsa_system_sgpr_workgroup_id_z 0
		.amdhsa_system_sgpr_workgroup_info 0
		.amdhsa_system_vgpr_workitem_id 0
		.amdhsa_next_free_vgpr 45
		.amdhsa_next_free_sgpr 42
		.amdhsa_accum_offset 48
		.amdhsa_reserve_vcc 1
		.amdhsa_float_round_mode_32 0
		.amdhsa_float_round_mode_16_64 0
		.amdhsa_float_denorm_mode_32 3
		.amdhsa_float_denorm_mode_16_64 3
		.amdhsa_dx10_clamp 1
		.amdhsa_ieee_mode 1
		.amdhsa_fp16_overflow 0
		.amdhsa_tg_split 0
		.amdhsa_exception_fp_ieee_invalid_op 0
		.amdhsa_exception_fp_denorm_src 0
		.amdhsa_exception_fp_ieee_div_zero 0
		.amdhsa_exception_fp_ieee_overflow 0
		.amdhsa_exception_fp_ieee_underflow 0
		.amdhsa_exception_fp_ieee_inexact 0
		.amdhsa_exception_int_div_zero 0
	.end_amdhsa_kernel
	.section	.text._ZN9rocsparseL42csr2bsr_wavefront_per_row_multipass_kernelILj256ELj64ELj16E21rocsparse_complex_numIfEilEEv20rocsparse_direction_T4_S4_S4_S4_S4_21rocsparse_index_base_PKT2_PKT3_PKS4_S5_PS6_PS9_PS4_,"axG",@progbits,_ZN9rocsparseL42csr2bsr_wavefront_per_row_multipass_kernelILj256ELj64ELj16E21rocsparse_complex_numIfEilEEv20rocsparse_direction_T4_S4_S4_S4_S4_21rocsparse_index_base_PKT2_PKT3_PKS4_S5_PS6_PS9_PS4_,comdat
.Lfunc_end94:
	.size	_ZN9rocsparseL42csr2bsr_wavefront_per_row_multipass_kernelILj256ELj64ELj16E21rocsparse_complex_numIfEilEEv20rocsparse_direction_T4_S4_S4_S4_S4_21rocsparse_index_base_PKT2_PKT3_PKS4_S5_PS6_PS9_PS4_, .Lfunc_end94-_ZN9rocsparseL42csr2bsr_wavefront_per_row_multipass_kernelILj256ELj64ELj16E21rocsparse_complex_numIfEilEEv20rocsparse_direction_T4_S4_S4_S4_S4_21rocsparse_index_base_PKT2_PKT3_PKS4_S5_PS6_PS9_PS4_
                                        ; -- End function
	.section	.AMDGPU.csdata,"",@progbits
; Kernel info:
; codeLenInByte = 2596
; NumSgprs: 48
; NumVgprs: 45
; NumAgprs: 0
; TotalNumVgprs: 45
; ScratchSize: 0
; MemoryBound: 0
; FloatMode: 240
; IeeeMode: 1
; LDSByteSize: 8196 bytes/workgroup (compile time only)
; SGPRBlocks: 5
; VGPRBlocks: 5
; NumSGPRsForWavesPerEU: 48
; NumVGPRsForWavesPerEU: 45
; AccumOffset: 48
; Occupancy: 7
; WaveLimiterHint : 0
; COMPUTE_PGM_RSRC2:SCRATCH_EN: 0
; COMPUTE_PGM_RSRC2:USER_SGPR: 2
; COMPUTE_PGM_RSRC2:TRAP_HANDLER: 0
; COMPUTE_PGM_RSRC2:TGID_X_EN: 1
; COMPUTE_PGM_RSRC2:TGID_Y_EN: 0
; COMPUTE_PGM_RSRC2:TGID_Z_EN: 0
; COMPUTE_PGM_RSRC2:TIDIG_COMP_CNT: 0
; COMPUTE_PGM_RSRC3_GFX90A:ACCUM_OFFSET: 11
; COMPUTE_PGM_RSRC3_GFX90A:TG_SPLIT: 0
	.section	.text._ZN9rocsparseL42csr2bsr_wavefront_per_row_multipass_kernelILj256ELj32ELj16E21rocsparse_complex_numIfEilEEv20rocsparse_direction_T4_S4_S4_S4_S4_21rocsparse_index_base_PKT2_PKT3_PKS4_S5_PS6_PS9_PS4_,"axG",@progbits,_ZN9rocsparseL42csr2bsr_wavefront_per_row_multipass_kernelILj256ELj32ELj16E21rocsparse_complex_numIfEilEEv20rocsparse_direction_T4_S4_S4_S4_S4_21rocsparse_index_base_PKT2_PKT3_PKS4_S5_PS6_PS9_PS4_,comdat
	.globl	_ZN9rocsparseL42csr2bsr_wavefront_per_row_multipass_kernelILj256ELj32ELj16E21rocsparse_complex_numIfEilEEv20rocsparse_direction_T4_S4_S4_S4_S4_21rocsparse_index_base_PKT2_PKT3_PKS4_S5_PS6_PS9_PS4_ ; -- Begin function _ZN9rocsparseL42csr2bsr_wavefront_per_row_multipass_kernelILj256ELj32ELj16E21rocsparse_complex_numIfEilEEv20rocsparse_direction_T4_S4_S4_S4_S4_21rocsparse_index_base_PKT2_PKT3_PKS4_S5_PS6_PS9_PS4_
	.p2align	8
	.type	_ZN9rocsparseL42csr2bsr_wavefront_per_row_multipass_kernelILj256ELj32ELj16E21rocsparse_complex_numIfEilEEv20rocsparse_direction_T4_S4_S4_S4_S4_21rocsparse_index_base_PKT2_PKT3_PKS4_S5_PS6_PS9_PS4_,@function
_ZN9rocsparseL42csr2bsr_wavefront_per_row_multipass_kernelILj256ELj32ELj16E21rocsparse_complex_numIfEilEEv20rocsparse_direction_T4_S4_S4_S4_S4_21rocsparse_index_base_PKT2_PKT3_PKS4_S5_PS6_PS9_PS4_: ; @_ZN9rocsparseL42csr2bsr_wavefront_per_row_multipass_kernelILj256ELj32ELj16E21rocsparse_complex_numIfEilEEv20rocsparse_direction_T4_S4_S4_S4_S4_21rocsparse_index_base_PKT2_PKT3_PKS4_S5_PS6_PS9_PS4_
; %bb.0:
	s_load_dwordx2 s[4:5], s[0:1], 0x8
	s_load_dwordx4 s[16:19], s[0:1], 0x18
	s_load_dwordx2 s[20:21], s[0:1], 0x28
	s_load_dword s33, s[0:1], 0x30
	s_load_dwordx2 s[6:7], s[0:1], 0x40
	s_ashr_i32 s3, s2, 31
	v_lshrrev_b32_e32 v42, 5, v0
	s_lshl_b64 s[8:9], s[2:3], 3
	v_bfe_u32 v2, v0, 1, 4
	v_mov_b32_e32 v3, 0
	v_or_b32_e32 v1, s8, v42
	s_waitcnt lgkmcnt(0)
	v_mul_lo_u32 v6, v1, s21
	v_mad_u64_u32 v[4:5], s[10:11], v1, s20, v[2:3]
	s_mul_i32 s3, s9, s20
	v_add3_u32 v5, s3, v5, v6
	v_cmp_gt_i64_e32 vcc, s[4:5], v[4:5]
	v_cmp_gt_i64_e64 s[4:5], s[20:21], v[2:3]
	s_and_b64 s[8:9], s[4:5], vcc
	v_mov_b32_e32 v38, v3
	s_and_saveexec_b64 s[10:11], s[8:9]
	s_cbranch_execz .LBB95_2
; %bb.1:
	v_lshl_add_u64 v[6:7], v[4:5], 2, s[6:7]
	global_load_dword v1, v[6:7], off
	s_waitcnt vmcnt(0)
	v_subrev_u32_e32 v38, s33, v1
.LBB95_2:
	s_or_b64 exec, exec, s[10:11]
	s_and_saveexec_b64 s[10:11], s[8:9]
	s_cbranch_execz .LBB95_4
; %bb.3:
	v_lshl_add_u64 v[4:5], v[4:5], 2, s[6:7]
	global_load_dword v1, v[4:5], off offset:4
	s_waitcnt vmcnt(0)
	v_subrev_u32_e32 v3, s33, v1
.LBB95_4:
	s_or_b64 exec, exec, s[10:11]
	s_load_dword s50, s[0:1], 0x50
	v_lshl_or_b32 v6, s2, 3, v42
	v_mov_b32_e32 v7, 0
	v_cmp_gt_i64_e32 vcc, s[16:17], v[6:7]
	v_mov_b32_e32 v4, v7
	s_and_saveexec_b64 s[2:3], vcc
	s_cbranch_execz .LBB95_6
; %bb.5:
	s_load_dwordx2 s[6:7], s[0:1], 0x60
	s_waitcnt lgkmcnt(0)
	v_lshl_add_u64 v[4:5], v[6:7], 2, s[6:7]
	global_load_dword v1, v[4:5], off
	s_waitcnt vmcnt(0)
	v_subrev_u32_e32 v4, s50, v1
.LBB95_6:
	s_or_b64 exec, exec, s[2:3]
	v_cmp_lt_i64_e64 s[2:3], s[18:19], 1
	s_and_b64 vcc, exec, s[2:3]
	s_cbranch_vccnz .LBB95_39
; %bb.7:
	s_load_dwordx2 s[26:27], s[0:1], 0x38
	s_load_dword s6, s[0:1], 0x0
	s_mul_i32 s2, s20, s21
	s_mul_hi_u32 s3, s20, s20
	s_add_i32 s3, s3, s2
	s_load_dwordx2 s[22:23], s[0:1], 0x68
	s_add_i32 s51, s3, s2
	s_load_dwordx2 s[2:3], s[0:1], 0x58
	s_load_dwordx2 s[24:25], s[0:1], 0x48
	v_and_b32_e32 v0, 1, v0
	s_waitcnt lgkmcnt(0)
	s_cmp_eq_u32 s6, 0
	v_mad_u64_u32 v[10:11], s[6:7], v2, s20, 0
	v_mov_b32_e32 v12, v11
	v_or_b32_e32 v16, 2, v0
	v_mov_b32_e32 v6, 0
	v_mad_u64_u32 v[12:13], s[6:7], v2, s21, v[12:13]
	v_mad_u64_u32 v[14:15], s[6:7], v16, s20, 0
	v_lshlrev_b32_e32 v8, 3, v2
	v_mov_b32_e32 v9, v6
	v_mov_b32_e32 v11, v12
	;; [unrolled: 1-line block ×4, first 2 shown]
	v_lshl_add_u64 v[8:9], s[2:3], 0, v[8:9]
	v_lshl_add_u64 v[10:11], v[10:11], 3, s[2:3]
	v_cmp_gt_u64_e64 s[2:3], s[20:21], v[16:17]
	v_mad_u64_u32 v[16:17], s[6:7], v16, s21, v[18:19]
	v_or_b32_e32 v18, 4, v0
	v_mov_b32_e32 v15, v16
	v_mad_u64_u32 v[16:17], s[8:9], v18, s20, 0
	v_mov_b32_e32 v19, v6
	v_mov_b32_e32 v20, v17
	v_cmp_gt_u64_e64 s[6:7], s[20:21], v[18:19]
	v_mad_u64_u32 v[18:19], s[8:9], v18, s21, v[20:21]
	v_or_b32_e32 v20, 6, v0
	v_mov_b32_e32 v17, v18
	v_mad_u64_u32 v[18:19], s[10:11], v20, s20, 0
	v_mov_b32_e32 v21, v6
	v_mov_b32_e32 v22, v19
	;; [unrolled: 7-line block ×4, first 2 shown]
	v_lshlrev_b32_e32 v1, 8, v42
	v_cmp_gt_u64_e64 s[12:13], s[20:21], v[24:25]
	v_mad_u64_u32 v[24:25], s[14:15], v24, s21, v[26:27]
	v_or_b32_e32 v26, 12, v0
	v_lshl_or_b32 v43, v2, 4, v1
	v_mbcnt_lo_u32_b32 v1, -1, 0
	v_mov_b32_e32 v23, v24
	v_mad_u64_u32 v[24:25], s[16:17], v26, s20, 0
	v_mbcnt_hi_u32_b32 v1, -1, v1
	v_mov_b32_e32 v27, v6
	v_mov_b32_e32 v28, v25
	v_lshlrev_b32_e32 v1, 2, v1
	v_cmp_gt_u64_e64 s[14:15], s[20:21], v[26:27]
	v_mad_u64_u32 v[26:27], s[16:17], v26, s21, v[28:29]
	v_or_b32_e32 v28, 14, v0
	v_or_b32_e32 v44, 4, v1
	v_or_b32_e32 v2, 0x7c, v1
	v_or_b32_e32 v1, v43, v0
	v_mov_b32_e32 v25, v26
	v_mad_u64_u32 v[26:27], s[28:29], v28, s20, 0
	s_mov_b32 s53, 0
	v_lshlrev_b32_e32 v45, 3, v1
	v_mov_b32_e32 v1, v6
	v_mov_b32_e32 v29, v6
	v_mov_b32_e32 v30, v27
	s_cselect_b64 s[0:1], -1, 0
	v_cmp_gt_u64_e32 vcc, s[20:21], v[0:1]
	v_cmp_gt_u64_e64 s[16:17], s[20:21], v[28:29]
	v_mad_u64_u32 v[28:29], s[28:29], v28, s21, v[30:31]
	s_and_b64 s[30:31], s[4:5], s[2:3]
	s_mov_b32 s2, s53
	s_mov_b32 s3, s53
	s_mul_i32 s52, s20, s20
	v_mul_lo_u32 v13, v0, s21
	v_mul_lo_u32 v12, v0, s20
	v_mov_b32_e32 v27, v28
	s_and_b64 s[28:29], s[4:5], vcc
	s_and_b64 s[6:7], s[4:5], s[6:7]
	s_and_b64 s[8:9], s[4:5], s[8:9]
	;; [unrolled: 1-line block ×6, first 2 shown]
	s_mov_b64 s[16:17], 0
	v_mov_b64_e32 v[32:33], 0
	v_mov_b64_e32 v[28:29], s[2:3]
	s_mov_b64 s[34:35], 0x50
	s_mov_b64 s[36:37], 0x60
	s_mov_b64 s[38:39], 0x70
	v_mov_b32_e32 v1, 1
	v_mov_b32_e32 v5, 0
	s_branch .LBB95_10
.LBB95_8:                               ;   in Loop: Header=BB95_10 Depth=1
	s_or_b64 exec, exec, s[40:41]
	v_mov_b32_e32 v7, 1
.LBB95_9:                               ;   in Loop: Header=BB95_10 Depth=1
	s_or_b64 exec, exec, s[2:3]
	v_mov_b32_dpp v32, v30 row_shr:1 row_mask:0xf bank_mask:0xf
	v_mov_b32_dpp v33, v31 row_shr:1 row_mask:0xf bank_mask:0xf
	v_cmp_lt_i64_e32 vcc, v[32:33], v[30:31]
	v_add_u32_e32 v4, v7, v4
	s_waitcnt lgkmcnt(0)
	v_cndmask_b32_e32 v31, v31, v33, vcc
	v_cndmask_b32_e32 v30, v30, v32, vcc
	s_nop 0
	v_mov_b32_dpp v33, v31 row_shr:2 row_mask:0xf bank_mask:0xf
	v_mov_b32_dpp v32, v30 row_shr:2 row_mask:0xf bank_mask:0xf
	v_cmp_lt_i64_e32 vcc, v[32:33], v[30:31]
	s_nop 1
	v_cndmask_b32_e32 v31, v31, v33, vcc
	v_cndmask_b32_e32 v30, v30, v32, vcc
	s_nop 0
	v_mov_b32_dpp v33, v31 row_shr:4 row_mask:0xf bank_mask:0xe
	v_mov_b32_dpp v32, v30 row_shr:4 row_mask:0xf bank_mask:0xe
	v_cmp_lt_i64_e32 vcc, v[32:33], v[30:31]
	s_nop 1
	;; [unrolled: 7-line block ×3, first 2 shown]
	v_cndmask_b32_e32 v31, v31, v33, vcc
	v_cndmask_b32_e32 v30, v30, v32, vcc
	s_nop 0
	v_mov_b32_dpp v33, v31 row_bcast:15 row_mask:0xa bank_mask:0xf
	v_mov_b32_dpp v32, v30 row_bcast:15 row_mask:0xa bank_mask:0xf
	v_cmp_lt_i64_e32 vcc, v[32:33], v[30:31]
	s_nop 1
	v_cndmask_b32_e32 v5, v30, v32, vcc
	ds_bpermute_b32 v32, v2, v5
	s_waitcnt lgkmcnt(0)
	v_ashrrev_i32_e32 v33, 31, v32
	v_cmp_le_i64_e32 vcc, s[18:19], v[32:33]
	s_or_b64 s[16:17], vcc, s[16:17]
	v_mov_b32_e32 v5, v32
	s_andn2_b64 exec, exec, s[16:17]
	s_cbranch_execz .LBB95_39
.LBB95_10:                              ; =>This Loop Header: Depth=1
                                        ;     Child Loop BB95_13 Depth 2
	v_add_u32_e32 v34, v38, v0
	v_cmp_lt_i32_e32 vcc, v34, v3
	v_mov_b64_e32 v[30:31], s[18:19]
	v_mov_b32_e32 v7, v3
	ds_write_b8 v42, v6 offset:16384
	ds_write2_b64 v45, v[28:29], v[28:29] offset1:2
	ds_write2_b64 v45, v[28:29], v[28:29] offset0:4 offset1:6
	ds_write2_b64 v45, v[28:29], v[28:29] offset0:8 offset1:10
	;; [unrolled: 1-line block ×3, first 2 shown]
	s_waitcnt lgkmcnt(0)
	s_and_saveexec_b64 s[40:41], vcc
	s_cbranch_execz .LBB95_22
; %bb.11:                               ;   in Loop: Header=BB95_10 Depth=1
	v_mad_u64_u32 v[36:37], s[2:3], v32, s20, 0
	s_mov_b64 s[42:43], 0
	v_mov_b64_e32 v[30:31], s[18:19]
	v_mov_b32_e32 v37, v3
	s_branch .LBB95_13
.LBB95_12:                              ;   in Loop: Header=BB95_13 Depth=2
	s_or_b64 exec, exec, s[2:3]
	v_add_u32_e32 v34, 2, v34
	v_cmp_ge_i32_e64 s[2:3], v34, v3
	s_xor_b64 s[44:45], vcc, -1
	s_or_b64 s[2:3], s[44:45], s[2:3]
	s_and_b64 s[2:3], exec, s[2:3]
	s_or_b64 s[42:43], s[2:3], s[42:43]
	v_mov_b32_e32 v37, v7
	s_andn2_b64 exec, exec, s[42:43]
	s_cbranch_execz .LBB95_21
.LBB95_13:                              ;   Parent Loop BB95_10 Depth=1
                                        ; =>  This Inner Loop Header: Depth=2
	v_ashrrev_i32_e32 v35, 31, v34
	v_lshl_add_u64 v[38:39], v[34:35], 3, s[24:25]
	global_load_dwordx2 v[38:39], v[38:39], off
	v_mov_b32_e32 v7, s53
                                        ; implicit-def: $vgpr40_vgpr41
	s_waitcnt vmcnt(0)
	v_subrev_co_u32_e32 v38, vcc, s33, v38
	s_nop 1
	v_subb_co_u32_e32 v39, vcc, v39, v7, vcc
	v_or_b32_e32 v7, s21, v39
	v_cmp_ne_u64_e32 vcc, 0, v[6:7]
	s_and_saveexec_b64 s[2:3], vcc
	s_xor_b64 s[44:45], exec, s[2:3]
	s_cbranch_execz .LBB95_15
; %bb.14:                               ;   in Loop: Header=BB95_13 Depth=2
	s_ashr_i32 s46, s21, 31
	s_add_u32 s2, s20, s46
	s_mov_b32 s47, s46
	s_addc_u32 s3, s21, s46
	s_xor_b64 s[48:49], s[2:3], s[46:47]
	v_cvt_f32_u32_e32 v7, s48
	v_cvt_f32_u32_e32 v40, s49
	s_sub_u32 s2, 0, s48
	s_subb_u32 s3, 0, s49
	v_mov_b32_e32 v47, v6
	v_fmac_f32_e32 v7, 0x4f800000, v40
	v_rcp_f32_e32 v7, v7
	s_nop 0
	v_mul_f32_e32 v7, 0x5f7ffffc, v7
	v_mul_f32_e32 v40, 0x2f800000, v7
	v_trunc_f32_e32 v40, v40
	v_fmac_f32_e32 v7, 0xcf800000, v40
	v_cvt_u32_f32_e32 v48, v40
	v_cvt_u32_f32_e32 v7, v7
	v_mul_lo_u32 v40, s2, v48
	v_mul_hi_u32 v46, s2, v7
	v_mul_lo_u32 v41, s3, v7
	v_add_u32_e32 v40, v46, v40
	v_mul_lo_u32 v49, s2, v7
	v_add_u32_e32 v50, v40, v41
	v_mul_hi_u32 v41, v7, v50
	v_mul_lo_u32 v40, v7, v50
	v_mul_hi_u32 v46, v7, v49
	v_lshl_add_u64 v[40:41], v[46:47], 0, v[40:41]
	v_mul_hi_u32 v47, v48, v49
	v_mul_lo_u32 v49, v48, v49
	v_add_co_u32_e32 v40, vcc, v40, v49
	v_mul_hi_u32 v46, v48, v50
	s_nop 0
	v_addc_co_u32_e32 v40, vcc, v41, v47, vcc
	v_mov_b32_e32 v41, v6
	s_nop 0
	v_addc_co_u32_e32 v47, vcc, 0, v46, vcc
	v_mul_lo_u32 v46, v48, v50
	v_lshl_add_u64 v[40:41], v[40:41], 0, v[46:47]
	v_add_co_u32_e32 v7, vcc, v7, v40
	v_mul_lo_u32 v46, s2, v7
	s_nop 0
	v_addc_co_u32_e32 v48, vcc, v48, v41, vcc
	v_mul_lo_u32 v40, s2, v48
	v_mul_hi_u32 v41, s2, v7
	v_add_u32_e32 v40, v41, v40
	v_mul_lo_u32 v41, s3, v7
	v_add_u32_e32 v49, v40, v41
	v_mul_hi_u32 v51, v48, v46
	v_mul_lo_u32 v52, v48, v46
	v_mul_hi_u32 v41, v7, v49
	v_mul_lo_u32 v40, v7, v49
	v_mul_hi_u32 v46, v7, v46
	v_mov_b32_e32 v47, v6
	v_lshl_add_u64 v[40:41], v[46:47], 0, v[40:41]
	v_add_co_u32_e32 v40, vcc, v40, v52
	v_mul_hi_u32 v50, v48, v49
	s_nop 0
	v_addc_co_u32_e32 v40, vcc, v41, v51, vcc
	v_mul_lo_u32 v46, v48, v49
	s_nop 0
	v_addc_co_u32_e32 v47, vcc, 0, v50, vcc
	v_mov_b32_e32 v41, v6
	v_lshl_add_u64 v[40:41], v[40:41], 0, v[46:47]
	v_add_co_u32_e32 v7, vcc, v7, v40
	v_ashrrev_i32_e32 v40, 31, v39
	s_nop 0
	v_addc_co_u32_e32 v50, vcc, v48, v41, vcc
	v_mov_b32_e32 v41, v40
	v_lshl_add_u64 v[46:47], v[38:39], 0, v[40:41]
	v_xor_b32_e32 v41, v46, v40
	v_xor_b32_e32 v39, v47, v40
	v_mad_u64_u32 v[46:47], s[2:3], v41, v50, 0
	v_mul_hi_u32 v48, v41, v7
	v_mov_b32_e32 v49, v6
	v_lshl_add_u64 v[46:47], v[48:49], 0, v[46:47]
	v_mad_u64_u32 v[48:49], s[2:3], v39, v50, 0
	v_mad_u64_u32 v[50:51], s[2:3], v39, v7, 0
	v_add_co_u32_e32 v7, vcc, v46, v50
	s_nop 1
	v_addc_co_u32_e32 v46, vcc, v47, v51, vcc
	v_mov_b32_e32 v47, v6
	s_nop 0
	v_addc_co_u32_e32 v49, vcc, 0, v49, vcc
	v_lshl_add_u64 v[46:47], v[46:47], 0, v[48:49]
	v_mul_lo_u32 v7, s49, v46
	v_mul_lo_u32 v50, s48, v47
	v_mad_u64_u32 v[48:49], s[2:3], s48, v46, 0
	v_add3_u32 v7, v49, v50, v7
	v_sub_u32_e32 v49, v39, v7
	v_mov_b32_e32 v50, s49
	v_sub_co_u32_e32 v41, vcc, v41, v48
	s_nop 1
	v_subb_co_u32_e64 v48, s[2:3], v49, v50, vcc
	v_subrev_co_u32_e64 v49, s[2:3], s48, v41
	v_subb_co_u32_e32 v7, vcc, v39, v7, vcc
	s_nop 0
	v_subbrev_co_u32_e64 v48, s[2:3], 0, v48, s[2:3]
	v_cmp_le_u32_e64 s[2:3], s49, v48
	v_cmp_le_u32_e32 vcc, s49, v7
	s_nop 0
	v_cndmask_b32_e64 v50, 0, -1, s[2:3]
	v_cmp_le_u32_e64 s[2:3], s48, v49
	v_cndmask_b32_e64 v39, 0, -1, vcc
	v_cmp_le_u32_e32 vcc, s48, v41
	v_cndmask_b32_e64 v49, 0, -1, s[2:3]
	v_cmp_eq_u32_e64 s[2:3], s49, v48
	v_cndmask_b32_e64 v41, 0, -1, vcc
	v_cmp_eq_u32_e32 vcc, s49, v7
	v_cndmask_b32_e64 v52, v50, v49, s[2:3]
	v_lshl_add_u64 v[48:49], v[46:47], 0, 2
	v_lshl_add_u64 v[50:51], v[46:47], 0, 1
	v_cmp_ne_u32_e64 s[2:3], 0, v52
	v_cndmask_b32_e32 v7, v39, v41, vcc
	v_cmp_ne_u32_e32 vcc, 0, v7
	v_cndmask_b32_e64 v39, v50, v48, s[2:3]
	v_cndmask_b32_e64 v49, v51, v49, s[2:3]
	v_cndmask_b32_e32 v39, v46, v39, vcc
	v_xor_b32_e32 v41, s46, v40
	v_cndmask_b32_e32 v7, v47, v49, vcc
	v_xor_b32_e32 v39, v39, v41
	v_xor_b32_e32 v7, v7, v41
	v_sub_co_u32_e32 v40, vcc, v39, v41
	s_nop 1
	v_subb_co_u32_e32 v41, vcc, v7, v41, vcc
.LBB95_15:                              ;   in Loop: Header=BB95_13 Depth=2
	s_andn2_saveexec_b64 s[2:3], s[44:45]
	s_cbranch_execz .LBB95_17
; %bb.16:                               ;   in Loop: Header=BB95_13 Depth=2
	v_cvt_f32_u32_e32 v7, s20
	s_sub_i32 s44, 0, s20
	v_rcp_iflag_f32_e32 v7, v7
	s_nop 0
	v_mul_f32_e32 v7, 0x4f7ffffe, v7
	v_cvt_u32_f32_e32 v7, v7
	v_mul_lo_u32 v39, s44, v7
	v_mul_hi_u32 v39, v7, v39
	v_add_u32_e32 v7, v7, v39
	v_mul_hi_u32 v7, v38, v7
	v_mul_lo_u32 v39, v7, s20
	v_sub_u32_e32 v39, v38, v39
	v_add_u32_e32 v40, 1, v7
	v_subrev_u32_e32 v41, s20, v39
	v_cmp_le_u32_e32 vcc, s20, v39
	s_nop 1
	v_cndmask_b32_e32 v39, v39, v41, vcc
	v_cndmask_b32_e32 v7, v7, v40, vcc
	v_add_u32_e32 v40, 1, v7
	v_cmp_le_u32_e32 vcc, s20, v39
	v_mov_b32_e32 v41, v6
	s_nop 0
	v_cndmask_b32_e32 v40, v7, v40, vcc
.LBB95_17:                              ;   in Loop: Header=BB95_13 Depth=2
	s_or_b64 exec, exec, s[2:3]
	v_cmp_eq_u64_e32 vcc, v[40:41], v[32:33]
	v_cmp_ne_u64_e64 s[2:3], v[40:41], v[32:33]
	s_and_saveexec_b64 s[44:45], s[2:3]
	s_xor_b64 s[44:45], exec, s[44:45]
; %bb.18:                               ;   in Loop: Header=BB95_13 Depth=2
	v_cmp_lt_i64_e64 s[2:3], v[40:41], v[30:31]
                                        ; implicit-def: $vgpr38_vgpr39
                                        ; implicit-def: $vgpr37
	s_nop 1
	v_cndmask_b32_e64 v31, v31, v41, s[2:3]
	v_cndmask_b32_e64 v30, v30, v40, s[2:3]
; %bb.19:                               ;   in Loop: Header=BB95_13 Depth=2
	s_or_saveexec_b64 s[2:3], s[44:45]
	v_mov_b32_e32 v7, v34
	s_xor_b64 exec, exec, s[2:3]
	s_cbranch_execz .LBB95_12
; %bb.20:                               ;   in Loop: Header=BB95_13 Depth=2
	v_lshl_add_u64 v[40:41], v[34:35], 3, s[26:27]
	global_load_dwordx2 v[40:41], v[40:41], off
	v_sub_u32_e32 v7, v38, v36
	v_add_lshl_u32 v7, v43, v7, 3
	ds_write_b8 v42, v1 offset:16384
	s_waitcnt vmcnt(0)
	ds_write_b64 v7, v[40:41]
	v_mov_b32_e32 v7, v37
	s_branch .LBB95_12
.LBB95_21:                              ;   in Loop: Header=BB95_10 Depth=1
	s_or_b64 exec, exec, s[42:43]
.LBB95_22:                              ;   in Loop: Header=BB95_10 Depth=1
	s_or_b64 exec, exec, s[40:41]
	s_waitcnt lgkmcnt(0)
	ds_read_u8 v32, v42 offset:16384
	v_mov_b32_dpp v33, v7 row_shr:1 row_mask:0xf bank_mask:0xf
	v_min_i32_e32 v7, v33, v7
	ds_bpermute_b32 v38, v44, v7
	s_waitcnt lgkmcnt(1)
	v_and_b32_e32 v7, 1, v32
	v_cmp_eq_u32_e32 vcc, 1, v7
	v_mov_b32_e32 v7, 0
	s_and_saveexec_b64 s[2:3], vcc
	s_cbranch_execz .LBB95_9
; %bb.23:                               ;   in Loop: Header=BB95_10 Depth=1
	v_add_u32_e32 v32, s50, v5
	v_ashrrev_i32_e32 v5, 31, v4
	v_ashrrev_i32_e32 v33, 31, v32
	v_lshl_add_u64 v[34:35], v[4:5], 3, s[22:23]
	global_store_dwordx2 v[34:35], v[32:33], off
	v_mul_lo_u32 v7, s51, v4
	v_mul_lo_u32 v5, s52, v5
	v_mad_u64_u32 v[32:33], s[40:41], s52, v4, 0
	v_add3_u32 v33, v33, v5, v7
	v_lshlrev_b64 v[34:35], 3, v[32:33]
	v_lshl_add_u64 v[32:33], v[8:9], 0, v[34:35]
	v_lshl_add_u64 v[34:35], v[10:11], 0, v[34:35]
	v_lshlrev_b32_e32 v36, 3, v0
	s_and_saveexec_b64 s[40:41], s[28:29]
	s_cbranch_execnz .LBB95_31
; %bb.24:                               ;   in Loop: Header=BB95_10 Depth=1
	s_or_b64 exec, exec, s[40:41]
	s_and_saveexec_b64 s[40:41], s[30:31]
	s_cbranch_execnz .LBB95_32
.LBB95_25:                              ;   in Loop: Header=BB95_10 Depth=1
	s_or_b64 exec, exec, s[40:41]
	s_and_saveexec_b64 s[40:41], s[6:7]
	s_cbranch_execnz .LBB95_33
.LBB95_26:                              ;   in Loop: Header=BB95_10 Depth=1
	s_or_b64 exec, exec, s[40:41]
	s_and_saveexec_b64 s[40:41], s[8:9]
	s_cbranch_execnz .LBB95_34
.LBB95_27:                              ;   in Loop: Header=BB95_10 Depth=1
	s_or_b64 exec, exec, s[40:41]
	s_and_saveexec_b64 s[40:41], s[10:11]
	s_cbranch_execnz .LBB95_35
.LBB95_28:                              ;   in Loop: Header=BB95_10 Depth=1
	s_or_b64 exec, exec, s[40:41]
	s_and_saveexec_b64 s[40:41], s[12:13]
	s_cbranch_execnz .LBB95_36
.LBB95_29:                              ;   in Loop: Header=BB95_10 Depth=1
	s_or_b64 exec, exec, s[40:41]
	s_and_saveexec_b64 s[40:41], s[14:15]
	s_cbranch_execnz .LBB95_37
.LBB95_30:                              ;   in Loop: Header=BB95_10 Depth=1
	s_or_b64 exec, exec, s[40:41]
	s_and_saveexec_b64 s[40:41], s[4:5]
	s_cbranch_execz .LBB95_8
	s_branch .LBB95_38
.LBB95_31:                              ;   in Loop: Header=BB95_10 Depth=1
	ds_read_b64 v[46:47], v45
	v_mov_b32_e32 v37, v6
	v_lshl_add_u64 v[40:41], v[12:13], 3, v[32:33]
	v_lshl_add_u64 v[48:49], v[34:35], 0, v[36:37]
	v_cndmask_b32_e64 v41, v41, v49, s[0:1]
	v_cndmask_b32_e64 v40, v40, v48, s[0:1]
	s_waitcnt lgkmcnt(0)
	global_store_dwordx2 v[40:41], v[46:47], off
	s_or_b64 exec, exec, s[40:41]
	s_and_saveexec_b64 s[40:41], s[30:31]
	s_cbranch_execz .LBB95_25
.LBB95_32:                              ;   in Loop: Header=BB95_10 Depth=1
	ds_read_b64 v[46:47], v45 offset:16
	v_mov_b32_e32 v37, v6
	v_lshl_add_u64 v[40:41], v[34:35], 0, v[36:37]
	v_lshl_add_u64 v[40:41], v[40:41], 0, 16
	;; [unrolled: 1-line block ×3, first 2 shown]
	v_cndmask_b32_e64 v41, v49, v41, s[0:1]
	v_cndmask_b32_e64 v40, v48, v40, s[0:1]
	s_waitcnt lgkmcnt(0)
	global_store_dwordx2 v[40:41], v[46:47], off
	s_or_b64 exec, exec, s[40:41]
	s_and_saveexec_b64 s[40:41], s[6:7]
	s_cbranch_execz .LBB95_26
.LBB95_33:                              ;   in Loop: Header=BB95_10 Depth=1
	ds_read_b64 v[46:47], v45 offset:32
	v_mov_b32_e32 v37, v6
	v_lshl_add_u64 v[40:41], v[34:35], 0, v[36:37]
	v_lshl_add_u64 v[40:41], v[40:41], 0, 32
	;; [unrolled: 1-line block ×3, first 2 shown]
	v_cndmask_b32_e64 v41, v49, v41, s[0:1]
	v_cndmask_b32_e64 v40, v48, v40, s[0:1]
	s_waitcnt lgkmcnt(0)
	global_store_dwordx2 v[40:41], v[46:47], off
	s_or_b64 exec, exec, s[40:41]
	s_and_saveexec_b64 s[40:41], s[8:9]
	s_cbranch_execz .LBB95_27
.LBB95_34:                              ;   in Loop: Header=BB95_10 Depth=1
	ds_read_b64 v[46:47], v45 offset:48
	v_mov_b32_e32 v37, v6
	v_lshl_add_u64 v[40:41], v[34:35], 0, v[36:37]
	v_lshl_add_u64 v[40:41], v[40:41], 0, 48
	;; [unrolled: 1-line block ×3, first 2 shown]
	v_cndmask_b32_e64 v41, v49, v41, s[0:1]
	v_cndmask_b32_e64 v40, v48, v40, s[0:1]
	s_waitcnt lgkmcnt(0)
	global_store_dwordx2 v[40:41], v[46:47], off
	s_or_b64 exec, exec, s[40:41]
	s_and_saveexec_b64 s[40:41], s[10:11]
	s_cbranch_execz .LBB95_28
.LBB95_35:                              ;   in Loop: Header=BB95_10 Depth=1
	ds_read_b64 v[46:47], v45 offset:64
	v_mov_b32_e32 v37, v6
	v_lshl_add_u64 v[40:41], v[34:35], 0, v[36:37]
	v_lshl_add_u64 v[40:41], v[40:41], 0, 64
	;; [unrolled: 1-line block ×3, first 2 shown]
	v_cndmask_b32_e64 v41, v49, v41, s[0:1]
	v_cndmask_b32_e64 v40, v48, v40, s[0:1]
	s_waitcnt lgkmcnt(0)
	global_store_dwordx2 v[40:41], v[46:47], off
	s_or_b64 exec, exec, s[40:41]
	s_and_saveexec_b64 s[40:41], s[12:13]
	s_cbranch_execz .LBB95_29
.LBB95_36:                              ;   in Loop: Header=BB95_10 Depth=1
	ds_read_b64 v[46:47], v45 offset:80
	v_mov_b32_e32 v37, v6
	v_lshl_add_u64 v[40:41], v[34:35], 0, v[36:37]
	v_lshl_add_u64 v[40:41], v[40:41], 0, s[34:35]
	;; [unrolled: 1-line block ×3, first 2 shown]
	v_cndmask_b32_e64 v41, v49, v41, s[0:1]
	v_cndmask_b32_e64 v40, v48, v40, s[0:1]
	s_waitcnt lgkmcnt(0)
	global_store_dwordx2 v[40:41], v[46:47], off
	s_or_b64 exec, exec, s[40:41]
	s_and_saveexec_b64 s[40:41], s[14:15]
	s_cbranch_execz .LBB95_30
.LBB95_37:                              ;   in Loop: Header=BB95_10 Depth=1
	ds_read_b64 v[46:47], v45 offset:96
	v_mov_b32_e32 v37, v6
	v_lshl_add_u64 v[40:41], v[34:35], 0, v[36:37]
	v_lshl_add_u64 v[40:41], v[40:41], 0, s[36:37]
	v_lshl_add_u64 v[48:49], v[24:25], 3, v[32:33]
	v_cndmask_b32_e64 v41, v49, v41, s[0:1]
	v_cndmask_b32_e64 v40, v48, v40, s[0:1]
	s_waitcnt lgkmcnt(0)
	global_store_dwordx2 v[40:41], v[46:47], off
	s_or_b64 exec, exec, s[40:41]
	s_and_saveexec_b64 s[40:41], s[4:5]
	s_cbranch_execz .LBB95_8
.LBB95_38:                              ;   in Loop: Header=BB95_10 Depth=1
	v_mov_b32_e32 v37, v6
	v_lshl_add_u64 v[34:35], v[34:35], 0, v[36:37]
	ds_read_b64 v[36:37], v45 offset:112
	v_lshl_add_u64 v[34:35], v[34:35], 0, s[38:39]
	v_lshl_add_u64 v[32:33], v[26:27], 3, v[32:33]
	v_cndmask_b32_e64 v33, v33, v35, s[0:1]
	v_cndmask_b32_e64 v32, v32, v34, s[0:1]
	s_waitcnt lgkmcnt(0)
	global_store_dwordx2 v[32:33], v[36:37], off
	s_branch .LBB95_8
.LBB95_39:
	s_endpgm
	.section	.rodata,"a",@progbits
	.p2align	6, 0x0
	.amdhsa_kernel _ZN9rocsparseL42csr2bsr_wavefront_per_row_multipass_kernelILj256ELj32ELj16E21rocsparse_complex_numIfEilEEv20rocsparse_direction_T4_S4_S4_S4_S4_21rocsparse_index_base_PKT2_PKT3_PKS4_S5_PS6_PS9_PS4_
		.amdhsa_group_segment_fixed_size 16392
		.amdhsa_private_segment_fixed_size 0
		.amdhsa_kernarg_size 112
		.amdhsa_user_sgpr_count 2
		.amdhsa_user_sgpr_dispatch_ptr 0
		.amdhsa_user_sgpr_queue_ptr 0
		.amdhsa_user_sgpr_kernarg_segment_ptr 1
		.amdhsa_user_sgpr_dispatch_id 0
		.amdhsa_user_sgpr_kernarg_preload_length 0
		.amdhsa_user_sgpr_kernarg_preload_offset 0
		.amdhsa_user_sgpr_private_segment_size 0
		.amdhsa_uses_dynamic_stack 0
		.amdhsa_enable_private_segment 0
		.amdhsa_system_sgpr_workgroup_id_x 1
		.amdhsa_system_sgpr_workgroup_id_y 0
		.amdhsa_system_sgpr_workgroup_id_z 0
		.amdhsa_system_sgpr_workgroup_info 0
		.amdhsa_system_vgpr_workitem_id 0
		.amdhsa_next_free_vgpr 53
		.amdhsa_next_free_sgpr 54
		.amdhsa_accum_offset 56
		.amdhsa_reserve_vcc 1
		.amdhsa_float_round_mode_32 0
		.amdhsa_float_round_mode_16_64 0
		.amdhsa_float_denorm_mode_32 3
		.amdhsa_float_denorm_mode_16_64 3
		.amdhsa_dx10_clamp 1
		.amdhsa_ieee_mode 1
		.amdhsa_fp16_overflow 0
		.amdhsa_tg_split 0
		.amdhsa_exception_fp_ieee_invalid_op 0
		.amdhsa_exception_fp_denorm_src 0
		.amdhsa_exception_fp_ieee_div_zero 0
		.amdhsa_exception_fp_ieee_overflow 0
		.amdhsa_exception_fp_ieee_underflow 0
		.amdhsa_exception_fp_ieee_inexact 0
		.amdhsa_exception_int_div_zero 0
	.end_amdhsa_kernel
	.section	.text._ZN9rocsparseL42csr2bsr_wavefront_per_row_multipass_kernelILj256ELj32ELj16E21rocsparse_complex_numIfEilEEv20rocsparse_direction_T4_S4_S4_S4_S4_21rocsparse_index_base_PKT2_PKT3_PKS4_S5_PS6_PS9_PS4_,"axG",@progbits,_ZN9rocsparseL42csr2bsr_wavefront_per_row_multipass_kernelILj256ELj32ELj16E21rocsparse_complex_numIfEilEEv20rocsparse_direction_T4_S4_S4_S4_S4_21rocsparse_index_base_PKT2_PKT3_PKS4_S5_PS6_PS9_PS4_,comdat
.Lfunc_end95:
	.size	_ZN9rocsparseL42csr2bsr_wavefront_per_row_multipass_kernelILj256ELj32ELj16E21rocsparse_complex_numIfEilEEv20rocsparse_direction_T4_S4_S4_S4_S4_21rocsparse_index_base_PKT2_PKT3_PKS4_S5_PS6_PS9_PS4_, .Lfunc_end95-_ZN9rocsparseL42csr2bsr_wavefront_per_row_multipass_kernelILj256ELj32ELj16E21rocsparse_complex_numIfEilEEv20rocsparse_direction_T4_S4_S4_S4_S4_21rocsparse_index_base_PKT2_PKT3_PKS4_S5_PS6_PS9_PS4_
                                        ; -- End function
	.section	.AMDGPU.csdata,"",@progbits
; Kernel info:
; codeLenInByte = 3100
; NumSgprs: 60
; NumVgprs: 53
; NumAgprs: 0
; TotalNumVgprs: 53
; ScratchSize: 0
; MemoryBound: 0
; FloatMode: 240
; IeeeMode: 1
; LDSByteSize: 16392 bytes/workgroup (compile time only)
; SGPRBlocks: 7
; VGPRBlocks: 6
; NumSGPRsForWavesPerEU: 60
; NumVGPRsForWavesPerEU: 53
; AccumOffset: 56
; Occupancy: 3
; WaveLimiterHint : 0
; COMPUTE_PGM_RSRC2:SCRATCH_EN: 0
; COMPUTE_PGM_RSRC2:USER_SGPR: 2
; COMPUTE_PGM_RSRC2:TRAP_HANDLER: 0
; COMPUTE_PGM_RSRC2:TGID_X_EN: 1
; COMPUTE_PGM_RSRC2:TGID_Y_EN: 0
; COMPUTE_PGM_RSRC2:TGID_Z_EN: 0
; COMPUTE_PGM_RSRC2:TIDIG_COMP_CNT: 0
; COMPUTE_PGM_RSRC3_GFX90A:ACCUM_OFFSET: 13
; COMPUTE_PGM_RSRC3_GFX90A:TG_SPLIT: 0
	.section	.text._ZN9rocsparseL38csr2bsr_block_per_row_multipass_kernelILj256ELj32E21rocsparse_complex_numIfEilEEv20rocsparse_direction_T3_S4_S4_S4_S4_21rocsparse_index_base_PKT1_PKT2_PKS4_S5_PS6_PS9_PS4_,"axG",@progbits,_ZN9rocsparseL38csr2bsr_block_per_row_multipass_kernelILj256ELj32E21rocsparse_complex_numIfEilEEv20rocsparse_direction_T3_S4_S4_S4_S4_21rocsparse_index_base_PKT1_PKT2_PKS4_S5_PS6_PS9_PS4_,comdat
	.globl	_ZN9rocsparseL38csr2bsr_block_per_row_multipass_kernelILj256ELj32E21rocsparse_complex_numIfEilEEv20rocsparse_direction_T3_S4_S4_S4_S4_21rocsparse_index_base_PKT1_PKT2_PKS4_S5_PS6_PS9_PS4_ ; -- Begin function _ZN9rocsparseL38csr2bsr_block_per_row_multipass_kernelILj256ELj32E21rocsparse_complex_numIfEilEEv20rocsparse_direction_T3_S4_S4_S4_S4_21rocsparse_index_base_PKT1_PKT2_PKS4_S5_PS6_PS9_PS4_
	.p2align	8
	.type	_ZN9rocsparseL38csr2bsr_block_per_row_multipass_kernelILj256ELj32E21rocsparse_complex_numIfEilEEv20rocsparse_direction_T3_S4_S4_S4_S4_21rocsparse_index_base_PKT1_PKT2_PKS4_S5_PS6_PS9_PS4_,@function
_ZN9rocsparseL38csr2bsr_block_per_row_multipass_kernelILj256ELj32E21rocsparse_complex_numIfEilEEv20rocsparse_direction_T3_S4_S4_S4_S4_21rocsparse_index_base_PKT1_PKT2_PKS4_S5_PS6_PS9_PS4_: ; @_ZN9rocsparseL38csr2bsr_block_per_row_multipass_kernelILj256ELj32E21rocsparse_complex_numIfEilEEv20rocsparse_direction_T3_S4_S4_S4_S4_21rocsparse_index_base_PKT1_PKT2_PKS4_S5_PS6_PS9_PS4_
; %bb.0:
	s_load_dwordx2 s[6:7], s[0:1], 0x8
	s_load_dwordx4 s[20:23], s[0:1], 0x20
	s_load_dword s33, s[0:1], 0x30
	s_load_dwordx2 s[4:5], s[0:1], 0x40
	s_ashr_i32 s3, s2, 31
	v_lshrrev_b32_e32 v2, 3, v0
	v_mov_b32_e32 v3, 0
	s_waitcnt lgkmcnt(0)
	s_mul_i32 s8, s2, s23
	s_mul_i32 s9, s3, s22
	v_mov_b32_e32 v1, s22
	s_add_i32 s10, s8, s9
	v_mad_u64_u32 v[4:5], s[8:9], s2, v1, v[2:3]
	v_add_u32_e32 v5, s10, v5
	v_cmp_gt_i64_e32 vcc, s[6:7], v[4:5]
	v_cmp_gt_i64_e64 s[18:19], s[22:23], v[2:3]
	s_and_b64 s[6:7], s[18:19], vcc
	v_mov_b32_e32 v26, v3
	s_and_saveexec_b64 s[8:9], s[6:7]
	s_cbranch_execnz .LBB96_3
; %bb.1:
	s_or_b64 exec, exec, s[8:9]
	s_and_saveexec_b64 s[8:9], s[6:7]
	s_cbranch_execnz .LBB96_4
.LBB96_2:
	s_or_b64 exec, exec, s[8:9]
	v_cmp_lt_i64_e64 s[4:5], s[20:21], 1
	s_and_b64 vcc, exec, s[4:5]
	s_cbranch_vccz .LBB96_5
	s_branch .LBB96_45
.LBB96_3:
	v_lshl_add_u64 v[6:7], v[4:5], 2, s[4:5]
	global_load_dword v1, v[6:7], off
	s_waitcnt vmcnt(0)
	v_subrev_u32_e32 v26, s33, v1
	s_or_b64 exec, exec, s[8:9]
	s_and_saveexec_b64 s[8:9], s[6:7]
	s_cbranch_execz .LBB96_2
.LBB96_4:
	v_lshl_add_u64 v[4:5], v[4:5], 2, s[4:5]
	global_load_dword v1, v[4:5], off offset:4
	s_waitcnt vmcnt(0)
	v_subrev_u32_e32 v3, s33, v1
	s_or_b64 exec, exec, s[8:9]
	v_cmp_lt_i64_e64 s[4:5], s[20:21], 1
	s_and_b64 vcc, exec, s[4:5]
	s_cbranch_vccnz .LBB96_45
.LBB96_5:
	s_load_dwordx2 s[24:25], s[0:1], 0x68
	s_load_dwordx4 s[4:7], s[0:1], 0x58
	s_mul_i32 s8, s22, s23
	s_mul_hi_u32 s9, s22, s22
	s_add_i32 s9, s9, s8
	s_add_i32 s58, s9, s8
	s_lshl_b64 s[2:3], s[2:3], 2
	s_waitcnt lgkmcnt(0)
	s_add_u32 s2, s6, s2
	s_load_dword s61, s[0:1], 0x50
	s_addc_u32 s3, s7, s3
	s_load_dword s6, s[2:3], 0x0
	s_load_dwordx2 s[26:27], s[0:1], 0x48
	s_load_dwordx2 s[28:29], s[0:1], 0x38
	s_load_dword s7, s[0:1], 0x0
	v_mad_u64_u32 v[10:11], s[2:3], v2, s22, 0
	v_mov_b32_e32 v12, v11
	v_mov_b32_e32 v4, 0
	v_mad_u64_u32 v[12:13], s[2:3], v2, s23, v[12:13]
	v_lshlrev_b32_e32 v6, 3, v2
	v_mov_b32_e32 v7, v4
	v_and_b32_e32 v8, 7, v0
	s_waitcnt lgkmcnt(0)
	s_sub_i32 s30, s6, s61
	v_lshlrev_b32_e32 v30, 5, v2
	v_mbcnt_lo_u32_b32 v1, -1, 0
	v_mov_b32_e32 v11, v12
	s_movk_i32 s2, 0x80
	v_lshl_add_u64 v[6:7], s[4:5], 0, v[6:7]
	v_mbcnt_hi_u32_b32 v1, -1, v1
	s_cmp_eq_u32 s7, 0
	v_lshl_add_u64 v[10:11], v[10:11], 3, s[4:5]
	v_lshlrev_b32_e32 v2, 3, v0
	v_cmp_gt_u32_e64 s[2:3], s2, v0
	v_cmp_gt_u32_e64 s[4:5], 64, v0
	;; [unrolled: 1-line block ×7, first 2 shown]
	v_cmp_eq_u32_e64 s[16:17], 0, v0
	v_or_b32_e32 v0, v30, v8
	v_lshl_or_b32 v31, v1, 2, 28
	v_lshlrev_b32_e32 v12, 3, v8
	v_mov_b32_e32 v13, v4
	v_lshlrev_b32_e32 v32, 3, v0
	v_mad_u64_u32 v[0:1], s[36:37], v8, s22, 0
	v_lshl_add_u64 v[10:11], v[10:11], 0, v[12:13]
	v_mov_b32_e32 v12, v1
	v_mad_u64_u32 v[12:13], s[36:37], v8, s23, v[12:13]
	v_or_b32_e32 v14, 8, v8
	v_mov_b32_e32 v9, v4
	v_mov_b32_e32 v1, v12
	v_mad_u64_u32 v[12:13], s[38:39], v14, s22, 0
	v_cmp_gt_i64_e32 vcc, s[22:23], v[8:9]
	v_mov_b32_e32 v15, v4
	v_mov_b32_e32 v16, v13
	s_cselect_b64 s[0:1], -1, 0
	s_and_b64 s[34:35], s[18:19], vcc
	v_cmp_gt_i64_e32 vcc, s[22:23], v[14:15]
	v_mad_u64_u32 v[14:15], s[38:39], v14, s23, v[16:17]
	v_or_b32_e32 v16, 16, v8
	v_mov_b32_e32 v13, v14
	v_mad_u64_u32 v[14:15], s[40:41], v16, s22, 0
	v_mov_b32_e32 v17, v4
	v_mov_b32_e32 v18, v15
	s_and_b64 s[36:37], s[18:19], vcc
	v_cmp_gt_i64_e32 vcc, s[22:23], v[16:17]
	v_mad_u64_u32 v[16:17], s[40:41], v16, s23, v[18:19]
	v_or_b32_e32 v18, 24, v8
	v_mov_b32_e32 v19, v4
	s_and_b64 s[38:39], s[18:19], vcc
	v_cmp_gt_i64_e32 vcc, s[22:23], v[18:19]
	v_mov_b32_e32 v15, v16
	s_and_b64 s[40:41], s[18:19], vcc
	v_mad_u64_u32 v[16:17], s[18:19], v18, s22, 0
	v_mov_b32_e32 v20, v17
	s_mov_b32 s60, 0
	v_mad_u64_u32 v[18:19], s[18:19], v18, s23, v[20:21]
	s_mov_b32 s18, s60
	s_mov_b32 s19, s60
	s_mul_i32 s59, s22, s22
	v_mov_b32_e32 v17, v18
	s_mov_b64 s[46:47], 0
	v_mov_b64_e32 v[18:19], s[18:19]
	s_mov_b64 s[42:43], 0x80
	s_mov_b64 s[44:45], 0xc0
	v_mov_b32_e32 v9, 1
	v_mov_b32_e32 v22, 0
	s_branch .LBB96_7
.LBB96_6:                               ;   in Loop: Header=BB96_7 Depth=1
	s_or_b64 exec, exec, s[18:19]
	s_waitcnt lgkmcnt(0)
	s_barrier
	ds_read_b64 v[22:23], v4
	v_mov_b64_e32 v[20:21], s[20:21]
	s_add_i32 s30, s31, s30
	s_waitcnt lgkmcnt(0)
	s_barrier
	v_readfirstlane_b32 s18, v22
	v_readfirstlane_b32 s19, v23
	s_bfe_i64 s[46:47], s[18:19], 0x200000
	v_cmp_lt_i64_e32 vcc, s[46:47], v[20:21]
	s_cbranch_vccz .LBB96_45
.LBB96_7:                               ; =>This Loop Header: Depth=1
                                        ;     Child Loop BB96_10 Depth 2
	v_add_u32_e32 v24, v26, v8
	v_cmp_lt_i32_e32 vcc, v24, v3
	v_mov_b64_e32 v[20:21], s[20:21]
	v_mov_b32_e32 v5, v3
	ds_write_b8 v4, v4 offset:8192
	ds_write2_b64 v32, v[18:19], v[18:19] offset1:8
	ds_write2_b64 v32, v[18:19], v[18:19] offset0:16 offset1:24
	s_waitcnt lgkmcnt(0)
	s_barrier
	s_and_saveexec_b64 s[48:49], vcc
	s_cbranch_execz .LBB96_19
; %bb.8:                                ;   in Loop: Header=BB96_7 Depth=1
	s_mul_i32 s31, s46, s22
	s_mov_b64 s[50:51], 0
	v_mov_b64_e32 v[20:21], s[20:21]
	v_mov_b32_e32 v23, v3
	s_branch .LBB96_10
.LBB96_9:                               ;   in Loop: Header=BB96_10 Depth=2
	s_or_b64 exec, exec, s[18:19]
	v_add_u32_e32 v24, 8, v24
	v_cmp_ge_i32_e64 s[18:19], v24, v3
	s_xor_b64 s[52:53], vcc, -1
	s_or_b64 s[18:19], s[52:53], s[18:19]
	s_and_b64 s[18:19], exec, s[18:19]
	s_or_b64 s[50:51], s[18:19], s[50:51]
	v_mov_b32_e32 v23, v5
	s_andn2_b64 exec, exec, s[50:51]
	s_cbranch_execz .LBB96_18
.LBB96_10:                              ;   Parent Loop BB96_7 Depth=1
                                        ; =>  This Inner Loop Header: Depth=2
	v_ashrrev_i32_e32 v25, 31, v24
	v_lshl_add_u64 v[26:27], v[24:25], 3, s[26:27]
	global_load_dwordx2 v[26:27], v[26:27], off
	v_mov_b32_e32 v5, s60
                                        ; implicit-def: $vgpr28_vgpr29
	s_waitcnt vmcnt(0)
	v_subrev_co_u32_e32 v26, vcc, s33, v26
	s_nop 1
	v_subb_co_u32_e32 v27, vcc, v27, v5, vcc
	v_or_b32_e32 v5, s23, v27
	v_cmp_ne_u64_e32 vcc, 0, v[4:5]
	s_and_saveexec_b64 s[18:19], vcc
	s_xor_b64 s[52:53], exec, s[18:19]
	s_cbranch_execz .LBB96_12
; %bb.11:                               ;   in Loop: Header=BB96_10 Depth=2
	s_ashr_i32 s54, s23, 31
	s_add_u32 s18, s22, s54
	s_mov_b32 s55, s54
	s_addc_u32 s19, s23, s54
	s_xor_b64 s[56:57], s[18:19], s[54:55]
	v_cvt_f32_u32_e32 v5, s56
	v_cvt_f32_u32_e32 v28, s57
	s_sub_u32 s18, 0, s56
	s_subb_u32 s19, 0, s57
	v_mov_b32_e32 v35, v4
	v_fmac_f32_e32 v5, 0x4f800000, v28
	v_rcp_f32_e32 v5, v5
	s_nop 0
	v_mul_f32_e32 v5, 0x5f7ffffc, v5
	v_mul_f32_e32 v28, 0x2f800000, v5
	v_trunc_f32_e32 v28, v28
	v_fmac_f32_e32 v5, 0xcf800000, v28
	v_cvt_u32_f32_e32 v33, v28
	v_cvt_u32_f32_e32 v5, v5
	v_mul_lo_u32 v28, s18, v33
	v_mul_hi_u32 v34, s18, v5
	v_mul_lo_u32 v29, s19, v5
	v_add_u32_e32 v28, v34, v28
	v_mul_lo_u32 v36, s18, v5
	v_add_u32_e32 v37, v28, v29
	v_mul_hi_u32 v29, v5, v37
	v_mul_lo_u32 v28, v5, v37
	v_mul_hi_u32 v34, v5, v36
	v_lshl_add_u64 v[28:29], v[34:35], 0, v[28:29]
	v_mul_hi_u32 v35, v33, v36
	v_mul_lo_u32 v36, v33, v36
	v_add_co_u32_e32 v28, vcc, v28, v36
	v_mul_hi_u32 v34, v33, v37
	s_nop 0
	v_addc_co_u32_e32 v28, vcc, v29, v35, vcc
	v_mov_b32_e32 v29, v4
	s_nop 0
	v_addc_co_u32_e32 v35, vcc, 0, v34, vcc
	v_mul_lo_u32 v34, v33, v37
	v_lshl_add_u64 v[28:29], v[28:29], 0, v[34:35]
	v_add_co_u32_e32 v5, vcc, v5, v28
	v_mul_lo_u32 v34, s18, v5
	s_nop 0
	v_addc_co_u32_e32 v33, vcc, v33, v29, vcc
	v_mul_lo_u32 v28, s18, v33
	v_mul_hi_u32 v29, s18, v5
	v_add_u32_e32 v28, v29, v28
	v_mul_lo_u32 v29, s19, v5
	v_add_u32_e32 v36, v28, v29
	v_mul_hi_u32 v38, v33, v34
	v_mul_lo_u32 v39, v33, v34
	v_mul_hi_u32 v29, v5, v36
	v_mul_lo_u32 v28, v5, v36
	v_mul_hi_u32 v34, v5, v34
	v_mov_b32_e32 v35, v4
	v_lshl_add_u64 v[28:29], v[34:35], 0, v[28:29]
	v_add_co_u32_e32 v28, vcc, v28, v39
	v_mul_hi_u32 v37, v33, v36
	s_nop 0
	v_addc_co_u32_e32 v28, vcc, v29, v38, vcc
	v_mul_lo_u32 v34, v33, v36
	s_nop 0
	v_addc_co_u32_e32 v35, vcc, 0, v37, vcc
	v_mov_b32_e32 v29, v4
	v_lshl_add_u64 v[28:29], v[28:29], 0, v[34:35]
	v_add_co_u32_e32 v5, vcc, v5, v28
	v_ashrrev_i32_e32 v28, 31, v27
	s_nop 0
	v_addc_co_u32_e32 v33, vcc, v33, v29, vcc
	v_mov_b32_e32 v29, v28
	v_lshl_add_u64 v[34:35], v[26:27], 0, v[28:29]
	v_xor_b32_e32 v29, v34, v28
	v_xor_b32_e32 v27, v35, v28
	v_mad_u64_u32 v[34:35], s[18:19], v29, v33, 0
	v_mul_hi_u32 v36, v29, v5
	v_mov_b32_e32 v37, v4
	v_lshl_add_u64 v[34:35], v[36:37], 0, v[34:35]
	v_mad_u64_u32 v[38:39], s[18:19], v27, v5, 0
	v_add_co_u32_e32 v5, vcc, v34, v38
	v_mad_u64_u32 v[36:37], s[18:19], v27, v33, 0
	s_nop 0
	v_addc_co_u32_e32 v34, vcc, v35, v39, vcc
	v_mov_b32_e32 v35, v4
	s_nop 0
	v_addc_co_u32_e32 v37, vcc, 0, v37, vcc
	v_lshl_add_u64 v[34:35], v[34:35], 0, v[36:37]
	v_mul_lo_u32 v5, s57, v34
	v_mul_lo_u32 v33, s56, v35
	v_mad_u64_u32 v[36:37], s[18:19], s56, v34, 0
	v_add3_u32 v5, v37, v33, v5
	v_sub_u32_e32 v33, v27, v5
	v_mov_b32_e32 v37, s57
	v_sub_co_u32_e32 v29, vcc, v29, v36
	v_lshl_add_u64 v[38:39], v[34:35], 0, 1
	s_nop 0
	v_subb_co_u32_e64 v33, s[18:19], v33, v37, vcc
	v_subrev_co_u32_e64 v36, s[18:19], s56, v29
	v_subb_co_u32_e32 v5, vcc, v27, v5, vcc
	s_nop 0
	v_subbrev_co_u32_e64 v33, s[18:19], 0, v33, s[18:19]
	v_cmp_le_u32_e64 s[18:19], s57, v33
	v_cmp_le_u32_e32 vcc, s57, v5
	s_nop 0
	v_cndmask_b32_e64 v37, 0, -1, s[18:19]
	v_cmp_le_u32_e64 s[18:19], s56, v36
	v_cndmask_b32_e64 v27, 0, -1, vcc
	v_cmp_le_u32_e32 vcc, s56, v29
	v_cndmask_b32_e64 v36, 0, -1, s[18:19]
	v_cmp_eq_u32_e64 s[18:19], s57, v33
	v_cndmask_b32_e64 v29, 0, -1, vcc
	v_cmp_eq_u32_e32 vcc, s57, v5
	v_cndmask_b32_e64 v33, v37, v36, s[18:19]
	v_lshl_add_u64 v[36:37], v[34:35], 0, 2
	v_cmp_ne_u32_e64 s[18:19], 0, v33
	v_cndmask_b32_e32 v5, v27, v29, vcc
	v_cmp_ne_u32_e32 vcc, 0, v5
	v_cndmask_b32_e64 v27, v38, v36, s[18:19]
	v_cndmask_b32_e64 v33, v39, v37, s[18:19]
	v_cndmask_b32_e32 v27, v34, v27, vcc
	v_xor_b32_e32 v29, s54, v28
	v_cndmask_b32_e32 v5, v35, v33, vcc
	v_xor_b32_e32 v27, v27, v29
	v_xor_b32_e32 v5, v5, v29
	v_sub_co_u32_e32 v28, vcc, v27, v29
	s_nop 1
	v_subb_co_u32_e32 v29, vcc, v5, v29, vcc
.LBB96_12:                              ;   in Loop: Header=BB96_10 Depth=2
	s_andn2_saveexec_b64 s[18:19], s[52:53]
	s_cbranch_execz .LBB96_14
; %bb.13:                               ;   in Loop: Header=BB96_10 Depth=2
	v_cvt_f32_u32_e32 v5, s22
	s_sub_i32 s52, 0, s22
	v_rcp_iflag_f32_e32 v5, v5
	s_nop 0
	v_mul_f32_e32 v5, 0x4f7ffffe, v5
	v_cvt_u32_f32_e32 v5, v5
	v_mul_lo_u32 v27, s52, v5
	v_mul_hi_u32 v27, v5, v27
	v_add_u32_e32 v5, v5, v27
	v_mul_hi_u32 v5, v26, v5
	v_mul_lo_u32 v27, v5, s22
	v_sub_u32_e32 v27, v26, v27
	v_add_u32_e32 v28, 1, v5
	v_subrev_u32_e32 v29, s22, v27
	v_cmp_le_u32_e32 vcc, s22, v27
	s_nop 1
	v_cndmask_b32_e32 v27, v27, v29, vcc
	v_cndmask_b32_e32 v5, v5, v28, vcc
	v_add_u32_e32 v28, 1, v5
	v_cmp_le_u32_e32 vcc, s22, v27
	v_mov_b32_e32 v29, v4
	s_nop 0
	v_cndmask_b32_e32 v28, v5, v28, vcc
.LBB96_14:                              ;   in Loop: Header=BB96_10 Depth=2
	s_or_b64 exec, exec, s[18:19]
	v_cmp_eq_u64_e32 vcc, s[46:47], v[28:29]
	v_cmp_ne_u64_e64 s[18:19], s[46:47], v[28:29]
	s_and_saveexec_b64 s[52:53], s[18:19]
	s_xor_b64 s[52:53], exec, s[52:53]
; %bb.15:                               ;   in Loop: Header=BB96_10 Depth=2
	v_cmp_lt_i64_e64 s[18:19], v[28:29], v[20:21]
                                        ; implicit-def: $vgpr26_vgpr27
                                        ; implicit-def: $vgpr23
	s_nop 1
	v_cndmask_b32_e64 v21, v21, v29, s[18:19]
	v_cndmask_b32_e64 v20, v20, v28, s[18:19]
; %bb.16:                               ;   in Loop: Header=BB96_10 Depth=2
	s_or_saveexec_b64 s[18:19], s[52:53]
	v_mov_b32_e32 v5, v24
	s_xor_b64 exec, exec, s[18:19]
	s_cbranch_execz .LBB96_9
; %bb.17:                               ;   in Loop: Header=BB96_10 Depth=2
	v_lshl_add_u64 v[28:29], v[24:25], 3, s[28:29]
	global_load_dwordx2 v[28:29], v[28:29], off
	v_subrev_u32_e32 v5, s31, v26
	v_add_lshl_u32 v5, v30, v5, 3
	ds_write_b8 v4, v9 offset:8192
	s_waitcnt vmcnt(0)
	ds_write_b64 v5, v[28:29]
	v_mov_b32_e32 v5, v23
	s_branch .LBB96_9
.LBB96_18:                              ;   in Loop: Header=BB96_7 Depth=1
	s_or_b64 exec, exec, s[50:51]
.LBB96_19:                              ;   in Loop: Header=BB96_7 Depth=1
	s_or_b64 exec, exec, s[48:49]
	v_mov_b32_dpp v23, v5 row_shr:1 row_mask:0xf bank_mask:0xf
	v_min_i32_e32 v5, v23, v5
	s_waitcnt lgkmcnt(0)
	s_barrier
	v_mov_b32_dpp v23, v5 row_shr:2 row_mask:0xf bank_mask:0xf
	v_min_i32_e32 v5, v23, v5
	ds_read_u8 v23, v4 offset:8192
	s_nop 0
	v_mov_b32_dpp v24, v5 row_shr:4 row_mask:0xf bank_mask:0xe
	v_min_i32_e32 v5, v24, v5
	ds_bpermute_b32 v26, v31, v5
	s_mov_b32 s31, 0
	s_waitcnt lgkmcnt(1)
	v_cmp_eq_u32_e32 vcc, 0, v23
	s_cbranch_vccnz .LBB96_26
; %bb.20:                               ;   in Loop: Header=BB96_7 Depth=1
	s_ashr_i32 s31, s30, 31
	s_lshl_b64 s[18:19], s[30:31], 3
	v_add_u32_e32 v22, s61, v22
	s_add_u32 s18, s24, s18
	v_ashrrev_i32_e32 v23, 31, v22
	s_addc_u32 s19, s25, s19
	global_store_dwordx2 v4, v[22:23], s[18:19]
	s_mul_hi_u32 s18, s59, s30
	s_mul_i32 s19, s59, s31
	s_add_i32 s18, s18, s19
	s_mul_i32 s19, s58, s30
	s_add_i32 s19, s18, s19
	s_mul_i32 s18, s59, s30
	s_lshl_b64 s[18:19], s[18:19], 3
	v_lshl_add_u64 v[22:23], v[6:7], 0, s[18:19]
	v_lshl_add_u64 v[24:25], v[10:11], 0, s[18:19]
	s_and_saveexec_b64 s[18:19], s[34:35]
	s_cbranch_execnz .LBB96_42
; %bb.21:                               ;   in Loop: Header=BB96_7 Depth=1
	s_or_b64 exec, exec, s[18:19]
	s_and_saveexec_b64 s[18:19], s[36:37]
	s_cbranch_execnz .LBB96_43
.LBB96_22:                              ;   in Loop: Header=BB96_7 Depth=1
	s_or_b64 exec, exec, s[18:19]
	s_and_saveexec_b64 s[18:19], s[38:39]
	s_cbranch_execnz .LBB96_44
.LBB96_23:                              ;   in Loop: Header=BB96_7 Depth=1
	s_or_b64 exec, exec, s[18:19]
	s_and_saveexec_b64 s[18:19], s[40:41]
	s_cbranch_execz .LBB96_25
.LBB96_24:                              ;   in Loop: Header=BB96_7 Depth=1
	ds_read_b64 v[28:29], v32 offset:192
	v_lshl_add_u64 v[24:25], v[24:25], 0, s[44:45]
	v_lshl_add_u64 v[22:23], v[16:17], 3, v[22:23]
	v_cndmask_b32_e64 v23, v23, v25, s[0:1]
	v_cndmask_b32_e64 v22, v22, v24, s[0:1]
	s_waitcnt lgkmcnt(0)
	global_store_dwordx2 v[22:23], v[28:29], off
.LBB96_25:                              ;   in Loop: Header=BB96_7 Depth=1
	s_or_b64 exec, exec, s[18:19]
	s_mov_b32 s31, 1
.LBB96_26:                              ;   in Loop: Header=BB96_7 Depth=1
	s_waitcnt lgkmcnt(0)
	s_barrier
	ds_write_b64 v2, v[20:21]
	s_waitcnt lgkmcnt(0)
	s_barrier
	s_and_saveexec_b64 s[18:19], s[2:3]
	s_cbranch_execz .LBB96_28
; %bb.27:                               ;   in Loop: Header=BB96_7 Depth=1
	ds_read2st64_b64 v[20:23], v2 offset1:2
	s_waitcnt lgkmcnt(0)
	v_cmp_lt_i64_e32 vcc, v[22:23], v[20:21]
	s_nop 1
	v_cndmask_b32_e32 v21, v21, v23, vcc
	v_cndmask_b32_e32 v20, v20, v22, vcc
	ds_write_b64 v2, v[20:21]
.LBB96_28:                              ;   in Loop: Header=BB96_7 Depth=1
	s_or_b64 exec, exec, s[18:19]
	s_waitcnt lgkmcnt(0)
	s_barrier
	s_and_saveexec_b64 s[18:19], s[4:5]
	s_cbranch_execz .LBB96_30
; %bb.29:                               ;   in Loop: Header=BB96_7 Depth=1
	ds_read2st64_b64 v[20:23], v2 offset1:1
	s_waitcnt lgkmcnt(0)
	v_cmp_lt_i64_e32 vcc, v[22:23], v[20:21]
	s_nop 1
	v_cndmask_b32_e32 v21, v21, v23, vcc
	v_cndmask_b32_e32 v20, v20, v22, vcc
	ds_write_b64 v2, v[20:21]
.LBB96_30:                              ;   in Loop: Header=BB96_7 Depth=1
	s_or_b64 exec, exec, s[18:19]
	s_waitcnt lgkmcnt(0)
	s_barrier
	s_and_saveexec_b64 s[18:19], s[6:7]
	s_cbranch_execz .LBB96_32
; %bb.31:                               ;   in Loop: Header=BB96_7 Depth=1
	ds_read2_b64 v[20:23], v2 offset1:32
	s_waitcnt lgkmcnt(0)
	v_cmp_lt_i64_e32 vcc, v[22:23], v[20:21]
	s_nop 1
	v_cndmask_b32_e32 v21, v21, v23, vcc
	v_cndmask_b32_e32 v20, v20, v22, vcc
	ds_write_b64 v2, v[20:21]
.LBB96_32:                              ;   in Loop: Header=BB96_7 Depth=1
	s_or_b64 exec, exec, s[18:19]
	s_waitcnt lgkmcnt(0)
	s_barrier
	s_and_saveexec_b64 s[18:19], s[8:9]
	s_cbranch_execz .LBB96_34
; %bb.33:                               ;   in Loop: Header=BB96_7 Depth=1
	ds_read2_b64 v[20:23], v2 offset1:16
	s_waitcnt lgkmcnt(0)
	v_cmp_lt_i64_e32 vcc, v[22:23], v[20:21]
	s_nop 1
	v_cndmask_b32_e32 v21, v21, v23, vcc
	v_cndmask_b32_e32 v20, v20, v22, vcc
	ds_write_b64 v2, v[20:21]
.LBB96_34:                              ;   in Loop: Header=BB96_7 Depth=1
	;; [unrolled: 14-line block ×5, first 2 shown]
	s_or_b64 exec, exec, s[18:19]
	s_waitcnt lgkmcnt(0)
	s_barrier
	s_and_saveexec_b64 s[18:19], s[16:17]
	s_cbranch_execz .LBB96_6
; %bb.41:                               ;   in Loop: Header=BB96_7 Depth=1
	ds_read_b128 v[20:23], v4
	s_waitcnt lgkmcnt(0)
	v_cmp_lt_i64_e32 vcc, v[22:23], v[20:21]
	s_nop 1
	v_cndmask_b32_e32 v21, v21, v23, vcc
	v_cndmask_b32_e32 v20, v20, v22, vcc
	ds_write_b64 v4, v[20:21]
	s_branch .LBB96_6
.LBB96_42:                              ;   in Loop: Header=BB96_7 Depth=1
	ds_read_b64 v[28:29], v32
	v_lshl_add_u64 v[34:35], v[0:1], 3, v[22:23]
	v_cndmask_b32_e64 v35, v35, v25, s[0:1]
	v_cndmask_b32_e64 v34, v34, v24, s[0:1]
	s_waitcnt lgkmcnt(0)
	global_store_dwordx2 v[34:35], v[28:29], off
	s_or_b64 exec, exec, s[18:19]
	s_and_saveexec_b64 s[18:19], s[36:37]
	s_cbranch_execz .LBB96_22
.LBB96_43:                              ;   in Loop: Header=BB96_7 Depth=1
	ds_read_b64 v[28:29], v32 offset:64
	v_lshl_add_u64 v[34:35], v[24:25], 0, 64
	v_lshl_add_u64 v[36:37], v[12:13], 3, v[22:23]
	v_cndmask_b32_e64 v35, v37, v35, s[0:1]
	v_cndmask_b32_e64 v34, v36, v34, s[0:1]
	s_waitcnt lgkmcnt(0)
	global_store_dwordx2 v[34:35], v[28:29], off
	s_or_b64 exec, exec, s[18:19]
	s_and_saveexec_b64 s[18:19], s[38:39]
	s_cbranch_execz .LBB96_23
.LBB96_44:                              ;   in Loop: Header=BB96_7 Depth=1
	ds_read_b64 v[28:29], v32 offset:128
	v_lshl_add_u64 v[34:35], v[24:25], 0, s[42:43]
	v_lshl_add_u64 v[36:37], v[14:15], 3, v[22:23]
	v_cndmask_b32_e64 v35, v37, v35, s[0:1]
	v_cndmask_b32_e64 v34, v36, v34, s[0:1]
	s_waitcnt lgkmcnt(0)
	global_store_dwordx2 v[34:35], v[28:29], off
	s_or_b64 exec, exec, s[18:19]
	s_and_saveexec_b64 s[18:19], s[40:41]
	s_cbranch_execnz .LBB96_24
	s_branch .LBB96_25
.LBB96_45:
	s_endpgm
	.section	.rodata,"a",@progbits
	.p2align	6, 0x0
	.amdhsa_kernel _ZN9rocsparseL38csr2bsr_block_per_row_multipass_kernelILj256ELj32E21rocsparse_complex_numIfEilEEv20rocsparse_direction_T3_S4_S4_S4_S4_21rocsparse_index_base_PKT1_PKT2_PKS4_S5_PS6_PS9_PS4_
		.amdhsa_group_segment_fixed_size 8196
		.amdhsa_private_segment_fixed_size 0
		.amdhsa_kernarg_size 112
		.amdhsa_user_sgpr_count 2
		.amdhsa_user_sgpr_dispatch_ptr 0
		.amdhsa_user_sgpr_queue_ptr 0
		.amdhsa_user_sgpr_kernarg_segment_ptr 1
		.amdhsa_user_sgpr_dispatch_id 0
		.amdhsa_user_sgpr_kernarg_preload_length 0
		.amdhsa_user_sgpr_kernarg_preload_offset 0
		.amdhsa_user_sgpr_private_segment_size 0
		.amdhsa_uses_dynamic_stack 0
		.amdhsa_enable_private_segment 0
		.amdhsa_system_sgpr_workgroup_id_x 1
		.amdhsa_system_sgpr_workgroup_id_y 0
		.amdhsa_system_sgpr_workgroup_id_z 0
		.amdhsa_system_sgpr_workgroup_info 0
		.amdhsa_system_vgpr_workitem_id 0
		.amdhsa_next_free_vgpr 40
		.amdhsa_next_free_sgpr 62
		.amdhsa_accum_offset 40
		.amdhsa_reserve_vcc 1
		.amdhsa_float_round_mode_32 0
		.amdhsa_float_round_mode_16_64 0
		.amdhsa_float_denorm_mode_32 3
		.amdhsa_float_denorm_mode_16_64 3
		.amdhsa_dx10_clamp 1
		.amdhsa_ieee_mode 1
		.amdhsa_fp16_overflow 0
		.amdhsa_tg_split 0
		.amdhsa_exception_fp_ieee_invalid_op 0
		.amdhsa_exception_fp_denorm_src 0
		.amdhsa_exception_fp_ieee_div_zero 0
		.amdhsa_exception_fp_ieee_overflow 0
		.amdhsa_exception_fp_ieee_underflow 0
		.amdhsa_exception_fp_ieee_inexact 0
		.amdhsa_exception_int_div_zero 0
	.end_amdhsa_kernel
	.section	.text._ZN9rocsparseL38csr2bsr_block_per_row_multipass_kernelILj256ELj32E21rocsparse_complex_numIfEilEEv20rocsparse_direction_T3_S4_S4_S4_S4_21rocsparse_index_base_PKT1_PKT2_PKS4_S5_PS6_PS9_PS4_,"axG",@progbits,_ZN9rocsparseL38csr2bsr_block_per_row_multipass_kernelILj256ELj32E21rocsparse_complex_numIfEilEEv20rocsparse_direction_T3_S4_S4_S4_S4_21rocsparse_index_base_PKT1_PKT2_PKS4_S5_PS6_PS9_PS4_,comdat
.Lfunc_end96:
	.size	_ZN9rocsparseL38csr2bsr_block_per_row_multipass_kernelILj256ELj32E21rocsparse_complex_numIfEilEEv20rocsparse_direction_T3_S4_S4_S4_S4_21rocsparse_index_base_PKT1_PKT2_PKS4_S5_PS6_PS9_PS4_, .Lfunc_end96-_ZN9rocsparseL38csr2bsr_block_per_row_multipass_kernelILj256ELj32E21rocsparse_complex_numIfEilEEv20rocsparse_direction_T3_S4_S4_S4_S4_21rocsparse_index_base_PKT1_PKT2_PKS4_S5_PS6_PS9_PS4_
                                        ; -- End function
	.section	.AMDGPU.csdata,"",@progbits
; Kernel info:
; codeLenInByte = 2852
; NumSgprs: 68
; NumVgprs: 40
; NumAgprs: 0
; TotalNumVgprs: 40
; ScratchSize: 0
; MemoryBound: 0
; FloatMode: 240
; IeeeMode: 1
; LDSByteSize: 8196 bytes/workgroup (compile time only)
; SGPRBlocks: 8
; VGPRBlocks: 4
; NumSGPRsForWavesPerEU: 68
; NumVGPRsForWavesPerEU: 40
; AccumOffset: 40
; Occupancy: 7
; WaveLimiterHint : 1
; COMPUTE_PGM_RSRC2:SCRATCH_EN: 0
; COMPUTE_PGM_RSRC2:USER_SGPR: 2
; COMPUTE_PGM_RSRC2:TRAP_HANDLER: 0
; COMPUTE_PGM_RSRC2:TGID_X_EN: 1
; COMPUTE_PGM_RSRC2:TGID_Y_EN: 0
; COMPUTE_PGM_RSRC2:TGID_Z_EN: 0
; COMPUTE_PGM_RSRC2:TIDIG_COMP_CNT: 0
; COMPUTE_PGM_RSRC3_GFX90A:ACCUM_OFFSET: 9
; COMPUTE_PGM_RSRC3_GFX90A:TG_SPLIT: 0
	.section	.text._ZN9rocsparseL38csr2bsr_block_per_row_multipass_kernelILj256ELj64E21rocsparse_complex_numIfEilEEv20rocsparse_direction_T3_S4_S4_S4_S4_21rocsparse_index_base_PKT1_PKT2_PKS4_S5_PS6_PS9_PS4_,"axG",@progbits,_ZN9rocsparseL38csr2bsr_block_per_row_multipass_kernelILj256ELj64E21rocsparse_complex_numIfEilEEv20rocsparse_direction_T3_S4_S4_S4_S4_21rocsparse_index_base_PKT1_PKT2_PKS4_S5_PS6_PS9_PS4_,comdat
	.globl	_ZN9rocsparseL38csr2bsr_block_per_row_multipass_kernelILj256ELj64E21rocsparse_complex_numIfEilEEv20rocsparse_direction_T3_S4_S4_S4_S4_21rocsparse_index_base_PKT1_PKT2_PKS4_S5_PS6_PS9_PS4_ ; -- Begin function _ZN9rocsparseL38csr2bsr_block_per_row_multipass_kernelILj256ELj64E21rocsparse_complex_numIfEilEEv20rocsparse_direction_T3_S4_S4_S4_S4_21rocsparse_index_base_PKT1_PKT2_PKS4_S5_PS6_PS9_PS4_
	.p2align	8
	.type	_ZN9rocsparseL38csr2bsr_block_per_row_multipass_kernelILj256ELj64E21rocsparse_complex_numIfEilEEv20rocsparse_direction_T3_S4_S4_S4_S4_21rocsparse_index_base_PKT1_PKT2_PKS4_S5_PS6_PS9_PS4_,@function
_ZN9rocsparseL38csr2bsr_block_per_row_multipass_kernelILj256ELj64E21rocsparse_complex_numIfEilEEv20rocsparse_direction_T3_S4_S4_S4_S4_21rocsparse_index_base_PKT1_PKT2_PKS4_S5_PS6_PS9_PS4_: ; @_ZN9rocsparseL38csr2bsr_block_per_row_multipass_kernelILj256ELj64E21rocsparse_complex_numIfEilEEv20rocsparse_direction_T3_S4_S4_S4_S4_21rocsparse_index_base_PKT1_PKT2_PKS4_S5_PS6_PS9_PS4_
; %bb.0:
	s_load_dwordx2 s[6:7], s[0:1], 0x8
	s_load_dwordx4 s[20:23], s[0:1], 0x20
	s_load_dword s33, s[0:1], 0x30
	s_load_dwordx2 s[4:5], s[0:1], 0x40
	s_ashr_i32 s3, s2, 31
	v_lshrrev_b32_e32 v2, 2, v0
	v_mov_b32_e32 v3, 0
	s_waitcnt lgkmcnt(0)
	s_mul_i32 s8, s2, s23
	s_mul_i32 s9, s3, s22
	v_mov_b32_e32 v1, s22
	s_add_i32 s10, s8, s9
	v_mad_u64_u32 v[4:5], s[8:9], s2, v1, v[2:3]
	v_add_u32_e32 v5, s10, v5
	v_cmp_gt_i64_e32 vcc, s[6:7], v[4:5]
	v_cmp_gt_i64_e64 s[18:19], s[22:23], v[2:3]
	s_and_b64 s[6:7], s[18:19], vcc
	v_mov_b32_e32 v52, v3
	s_and_saveexec_b64 s[8:9], s[6:7]
	s_cbranch_execnz .LBB97_3
; %bb.1:
	s_or_b64 exec, exec, s[8:9]
	s_and_saveexec_b64 s[8:9], s[6:7]
	s_cbranch_execnz .LBB97_4
.LBB97_2:
	s_or_b64 exec, exec, s[8:9]
	v_cmp_lt_i64_e64 s[4:5], s[20:21], 1
	s_and_b64 vcc, exec, s[4:5]
	s_cbranch_vccz .LBB97_5
	s_branch .LBB97_69
.LBB97_3:
	v_lshl_add_u64 v[6:7], v[4:5], 2, s[4:5]
	global_load_dword v1, v[6:7], off
	s_waitcnt vmcnt(0)
	v_subrev_u32_e32 v52, s33, v1
	s_or_b64 exec, exec, s[8:9]
	s_and_saveexec_b64 s[8:9], s[6:7]
	s_cbranch_execz .LBB97_2
.LBB97_4:
	v_lshl_add_u64 v[4:5], v[4:5], 2, s[4:5]
	global_load_dword v1, v[4:5], off offset:4
	s_waitcnt vmcnt(0)
	v_subrev_u32_e32 v3, s33, v1
	s_or_b64 exec, exec, s[8:9]
	v_cmp_lt_i64_e64 s[4:5], s[20:21], 1
	s_and_b64 vcc, exec, s[4:5]
	s_cbranch_vccnz .LBB97_69
.LBB97_5:
	s_load_dwordx2 s[24:25], s[0:1], 0x68
	s_load_dwordx4 s[4:7], s[0:1], 0x58
	s_mul_i32 s8, s22, s23
	s_mul_hi_u32 s9, s22, s22
	s_add_i32 s9, s9, s8
	s_add_i32 s70, s9, s8
	s_lshl_b64 s[2:3], s[2:3], 2
	s_waitcnt lgkmcnt(0)
	s_add_u32 s2, s6, s2
	s_load_dword s73, s[0:1], 0x50
	s_addc_u32 s3, s7, s3
	s_load_dword s6, s[2:3], 0x0
	s_load_dwordx2 s[26:27], s[0:1], 0x48
	s_load_dwordx2 s[28:29], s[0:1], 0x38
	s_load_dword s7, s[0:1], 0x0
	v_mad_u64_u32 v[10:11], s[2:3], v2, s22, 0
	v_mov_b32_e32 v12, v11
	v_mov_b32_e32 v4, 0
	v_mad_u64_u32 v[12:13], s[2:3], v2, s23, v[12:13]
	v_lshlrev_b32_e32 v6, 3, v2
	v_mov_b32_e32 v7, v4
	v_and_b32_e32 v8, 3, v0
	s_waitcnt lgkmcnt(0)
	s_sub_i32 s30, s6, s73
	v_lshlrev_b32_e32 v56, 6, v2
	v_mbcnt_lo_u32_b32 v1, -1, 0
	v_mov_b32_e32 v11, v12
	s_movk_i32 s2, 0x80
	v_lshl_add_u64 v[6:7], s[4:5], 0, v[6:7]
	v_mbcnt_hi_u32_b32 v1, -1, v1
	s_cmp_eq_u32 s7, 0
	v_lshl_add_u64 v[10:11], v[10:11], 3, s[4:5]
	v_lshlrev_b32_e32 v2, 3, v0
	v_cmp_gt_u32_e64 s[2:3], s2, v0
	v_cmp_gt_u32_e64 s[4:5], 64, v0
	v_cmp_gt_u32_e64 s[6:7], 32, v0
	v_cmp_gt_u32_e64 s[8:9], 16, v0
	v_cmp_gt_u32_e64 s[10:11], 8, v0
	v_cmp_gt_u32_e64 s[12:13], 4, v0
	v_cmp_gt_u32_e64 s[14:15], 2, v0
	v_cmp_eq_u32_e64 s[16:17], 0, v0
	v_or_b32_e32 v0, v56, v8
	v_lshl_or_b32 v57, v1, 2, 12
	v_lshlrev_b32_e32 v12, 3, v8
	v_mov_b32_e32 v13, v4
	v_lshlrev_b32_e32 v58, 3, v0
	v_mad_u64_u32 v[0:1], s[36:37], v8, s22, 0
	v_lshl_add_u64 v[10:11], v[10:11], 0, v[12:13]
	v_mov_b32_e32 v12, v1
	v_mad_u64_u32 v[12:13], s[36:37], v8, s23, v[12:13]
	v_or_b32_e32 v14, 4, v8
	v_mov_b32_e32 v9, v4
	v_mov_b32_e32 v1, v12
	v_mad_u64_u32 v[12:13], s[38:39], v14, s22, 0
	v_cmp_gt_i64_e32 vcc, s[22:23], v[8:9]
	v_mov_b32_e32 v15, v4
	v_mov_b32_e32 v16, v13
	s_cselect_b64 s[0:1], -1, 0
	s_and_b64 s[34:35], s[18:19], vcc
	v_cmp_gt_i64_e32 vcc, s[22:23], v[14:15]
	v_mad_u64_u32 v[14:15], s[38:39], v14, s23, v[16:17]
	v_or_b32_e32 v16, 8, v8
	v_mov_b32_e32 v13, v14
	v_mad_u64_u32 v[14:15], s[40:41], v16, s22, 0
	v_mov_b32_e32 v17, v4
	v_mov_b32_e32 v18, v15
	s_and_b64 s[36:37], s[18:19], vcc
	v_cmp_gt_i64_e32 vcc, s[22:23], v[16:17]
	v_mad_u64_u32 v[16:17], s[40:41], v16, s23, v[18:19]
	v_or_b32_e32 v18, 12, v8
	v_mov_b32_e32 v15, v16
	v_mad_u64_u32 v[16:17], s[42:43], v18, s22, 0
	v_mov_b32_e32 v19, v4
	v_mov_b32_e32 v20, v17
	;; [unrolled: 8-line block ×11, first 2 shown]
	s_and_b64 s[56:57], s[18:19], vcc
	v_cmp_gt_i64_e32 vcc, s[22:23], v[36:37]
	v_mad_u64_u32 v[36:37], s[60:61], v36, s23, v[38:39]
	v_or_b32_e32 v38, 52, v8
	v_cvt_f32_u32_e32 v5, s22
	v_mov_b32_e32 v35, v36
	v_mad_u64_u32 v[36:37], s[62:63], v38, s22, 0
	v_mov_b32_e32 v39, v4
	v_mov_b32_e32 v40, v37
	s_and_b64 s[58:59], s[18:19], vcc
	v_cmp_gt_i64_e32 vcc, s[22:23], v[38:39]
	v_mad_u64_u32 v[38:39], s[62:63], v38, s23, v[40:41]
	v_or_b32_e32 v40, 56, v8
	v_mov_b32_e32 v37, v38
	v_mad_u64_u32 v[38:39], s[64:65], v40, s22, 0
	v_rcp_iflag_f32_e32 v5, v5
	v_mov_b32_e32 v41, v4
	v_mov_b32_e32 v42, v39
	s_and_b64 s[60:61], s[18:19], vcc
	v_cmp_gt_i64_e32 vcc, s[22:23], v[40:41]
	v_mad_u64_u32 v[40:41], s[64:65], v40, s23, v[42:43]
	v_or_b32_e32 v42, 60, v8
	v_mov_b32_e32 v43, v4
	s_and_b64 s[62:63], s[18:19], vcc
	v_cmp_gt_i64_e32 vcc, s[22:23], v[42:43]
	v_mov_b32_e32 v39, v40
	s_and_b64 s[64:65], s[18:19], vcc
	v_mad_u64_u32 v[40:41], s[18:19], v42, s22, 0
	v_mul_f32_e32 v5, 0x4f7ffffe, v5
	v_mov_b32_e32 v44, v41
	v_cvt_u32_f32_e32 v9, v5
	s_mov_b32 s72, 0
	v_mad_u64_u32 v[42:43], s[18:19], v42, s23, v[44:45]
	s_mov_b32 s18, s72
	s_mov_b32 s19, s72
	s_mul_i32 s71, s22, s22
	v_mov_b32_e32 v41, v42
	s_mov_b64 s[92:93], 0
	v_mov_b64_e32 v[42:43], s[18:19]
	s_mov_b64 s[74:75], 0xe0
	s_mov_b64 s[76:77], 0x100
	s_mov_b64 s[78:79], 0x120
	s_mov_b64 s[80:81], 0x140
	s_mov_b64 s[82:83], 0x160
	s_mov_b64 s[84:85], 0x180
	s_mov_b64 s[86:87], 0x1a0
	s_mov_b64 s[88:89], 0x1c0
	s_mov_b64 s[90:91], 0x1e0
	v_mov_b64_e32 v[44:45], s[20:21]
	v_mov_b32_e32 v59, 1
	v_mov_b32_e32 v48, 0
	s_branch .LBB97_7
.LBB97_6:                               ;   in Loop: Header=BB97_7 Depth=1
	s_or_b64 exec, exec, s[18:19]
	s_waitcnt lgkmcnt(0)
	s_barrier
	ds_read_b64 v[48:49], v4
	s_add_i32 s30, s31, s30
	s_waitcnt lgkmcnt(0)
	s_barrier
	v_readfirstlane_b32 s18, v48
	v_readfirstlane_b32 s19, v49
	s_bfe_i64 s[92:93], s[18:19], 0x200000
	v_cmp_lt_i64_e32 vcc, s[92:93], v[44:45]
	s_cbranch_vccz .LBB97_69
.LBB97_7:                               ; =>This Loop Header: Depth=1
                                        ;     Child Loop BB97_10 Depth 2
	v_add_u32_e32 v50, v52, v8
	v_cmp_lt_i32_e32 vcc, v50, v3
	v_mov_b64_e32 v[46:47], s[20:21]
	v_mov_b32_e32 v5, v3
	ds_write_b8 v4, v4 offset:32768
	ds_write2_b64 v58, v[42:43], v[42:43] offset1:4
	ds_write2_b64 v58, v[42:43], v[42:43] offset0:8 offset1:12
	ds_write2_b64 v58, v[42:43], v[42:43] offset0:16 offset1:20
	;; [unrolled: 1-line block ×7, first 2 shown]
	s_waitcnt lgkmcnt(0)
	s_barrier
	s_and_saveexec_b64 s[94:95], vcc
	s_cbranch_execz .LBB97_19
; %bb.8:                                ;   in Loop: Header=BB97_7 Depth=1
	s_mul_i32 s31, s92, s22
	s_mov_b64 s[96:97], 0
	v_mov_b64_e32 v[46:47], s[20:21]
	v_mov_b32_e32 v49, v3
	s_branch .LBB97_10
.LBB97_9:                               ;   in Loop: Header=BB97_10 Depth=2
	s_or_b64 exec, exec, s[18:19]
	v_add_u32_e32 v50, 4, v50
	v_cmp_ge_i32_e64 s[18:19], v50, v3
	s_xor_b64 s[66:67], vcc, -1
	s_or_b64 s[18:19], s[66:67], s[18:19]
	s_and_b64 s[18:19], exec, s[18:19]
	s_or_b64 s[96:97], s[18:19], s[96:97]
	v_mov_b32_e32 v49, v5
	s_andn2_b64 exec, exec, s[96:97]
	s_cbranch_execz .LBB97_18
.LBB97_10:                              ;   Parent Loop BB97_7 Depth=1
                                        ; =>  This Inner Loop Header: Depth=2
	v_ashrrev_i32_e32 v51, 31, v50
	v_lshl_add_u64 v[52:53], v[50:51], 3, s[26:27]
	global_load_dwordx2 v[52:53], v[52:53], off
	v_mov_b32_e32 v5, s72
                                        ; implicit-def: $vgpr54_vgpr55
	s_waitcnt vmcnt(0)
	v_subrev_co_u32_e32 v52, vcc, s33, v52
	s_nop 1
	v_subb_co_u32_e32 v53, vcc, v53, v5, vcc
	v_or_b32_e32 v5, s23, v53
	v_cmp_ne_u64_e32 vcc, 0, v[4:5]
	s_and_saveexec_b64 s[18:19], vcc
	s_xor_b64 s[98:99], exec, s[18:19]
	s_cbranch_execz .LBB97_12
; %bb.11:                               ;   in Loop: Header=BB97_10 Depth=2
	s_ashr_i32 s66, s23, 31
	s_add_u32 s18, s22, s66
	s_mov_b32 s67, s66
	s_addc_u32 s19, s23, s66
	s_xor_b64 s[68:69], s[18:19], s[66:67]
	v_cvt_f32_u32_e32 v5, s68
	v_cvt_f32_u32_e32 v54, s69
	s_sub_u32 s18, 0, s68
	s_subb_u32 s19, 0, s69
	v_mov_b32_e32 v61, v4
	v_fmac_f32_e32 v5, 0x4f800000, v54
	v_rcp_f32_e32 v5, v5
	s_nop 0
	v_mul_f32_e32 v5, 0x5f7ffffc, v5
	v_mul_f32_e32 v54, 0x2f800000, v5
	v_trunc_f32_e32 v54, v54
	v_fmac_f32_e32 v5, 0xcf800000, v54
	v_cvt_u32_f32_e32 v62, v54
	v_cvt_u32_f32_e32 v5, v5
	v_mul_lo_u32 v54, s18, v62
	v_mul_hi_u32 v60, s18, v5
	v_mul_lo_u32 v55, s19, v5
	v_add_u32_e32 v54, v60, v54
	v_mul_lo_u32 v63, s18, v5
	v_add_u32_e32 v64, v54, v55
	v_mul_hi_u32 v55, v5, v64
	v_mul_lo_u32 v54, v5, v64
	v_mul_hi_u32 v60, v5, v63
	v_lshl_add_u64 v[54:55], v[60:61], 0, v[54:55]
	v_mul_hi_u32 v61, v62, v63
	v_mul_lo_u32 v63, v62, v63
	v_add_co_u32_e32 v54, vcc, v54, v63
	v_mul_hi_u32 v60, v62, v64
	s_nop 0
	v_addc_co_u32_e32 v54, vcc, v55, v61, vcc
	v_mov_b32_e32 v55, v4
	s_nop 0
	v_addc_co_u32_e32 v61, vcc, 0, v60, vcc
	v_mul_lo_u32 v60, v62, v64
	v_lshl_add_u64 v[54:55], v[54:55], 0, v[60:61]
	v_add_co_u32_e32 v5, vcc, v5, v54
	v_mul_lo_u32 v60, s18, v5
	s_nop 0
	v_addc_co_u32_e32 v62, vcc, v62, v55, vcc
	v_mul_lo_u32 v54, s18, v62
	v_mul_hi_u32 v55, s18, v5
	v_add_u32_e32 v54, v55, v54
	v_mul_lo_u32 v55, s19, v5
	v_add_u32_e32 v63, v54, v55
	v_mul_hi_u32 v65, v62, v60
	v_mul_lo_u32 v66, v62, v60
	v_mul_hi_u32 v55, v5, v63
	v_mul_lo_u32 v54, v5, v63
	v_mul_hi_u32 v60, v5, v60
	v_mov_b32_e32 v61, v4
	v_lshl_add_u64 v[54:55], v[60:61], 0, v[54:55]
	v_add_co_u32_e32 v54, vcc, v54, v66
	v_mul_hi_u32 v64, v62, v63
	s_nop 0
	v_addc_co_u32_e32 v54, vcc, v55, v65, vcc
	v_mul_lo_u32 v60, v62, v63
	s_nop 0
	v_addc_co_u32_e32 v61, vcc, 0, v64, vcc
	v_mov_b32_e32 v55, v4
	v_lshl_add_u64 v[54:55], v[54:55], 0, v[60:61]
	v_add_co_u32_e32 v5, vcc, v5, v54
	v_ashrrev_i32_e32 v54, 31, v53
	s_nop 0
	v_addc_co_u32_e32 v64, vcc, v62, v55, vcc
	v_mov_b32_e32 v55, v54
	v_lshl_add_u64 v[60:61], v[52:53], 0, v[54:55]
	v_xor_b32_e32 v55, v60, v54
	v_xor_b32_e32 v53, v61, v54
	v_mad_u64_u32 v[60:61], s[18:19], v55, v64, 0
	v_mul_hi_u32 v62, v55, v5
	v_mov_b32_e32 v63, v4
	v_lshl_add_u64 v[60:61], v[62:63], 0, v[60:61]
	v_mad_u64_u32 v[62:63], s[18:19], v53, v64, 0
	v_mad_u64_u32 v[64:65], s[18:19], v53, v5, 0
	v_add_co_u32_e32 v5, vcc, v60, v64
	s_nop 1
	v_addc_co_u32_e32 v60, vcc, v61, v65, vcc
	v_mov_b32_e32 v61, v4
	s_nop 0
	v_addc_co_u32_e32 v63, vcc, 0, v63, vcc
	v_lshl_add_u64 v[60:61], v[60:61], 0, v[62:63]
	v_mul_lo_u32 v5, s69, v60
	v_mul_lo_u32 v64, s68, v61
	v_mad_u64_u32 v[62:63], s[18:19], s68, v60, 0
	v_add3_u32 v5, v63, v64, v5
	v_sub_u32_e32 v63, v53, v5
	v_mov_b32_e32 v64, s69
	v_sub_co_u32_e32 v55, vcc, v55, v62
	s_nop 1
	v_subb_co_u32_e64 v62, s[18:19], v63, v64, vcc
	v_subrev_co_u32_e64 v63, s[18:19], s68, v55
	v_subb_co_u32_e32 v5, vcc, v53, v5, vcc
	s_nop 0
	v_subbrev_co_u32_e64 v62, s[18:19], 0, v62, s[18:19]
	v_cmp_le_u32_e64 s[18:19], s69, v62
	v_cmp_le_u32_e32 vcc, s69, v5
	s_nop 0
	v_cndmask_b32_e64 v64, 0, -1, s[18:19]
	v_cmp_le_u32_e64 s[18:19], s68, v63
	v_cndmask_b32_e64 v53, 0, -1, vcc
	v_cmp_le_u32_e32 vcc, s68, v55
	v_cndmask_b32_e64 v63, 0, -1, s[18:19]
	v_cmp_eq_u32_e64 s[18:19], s69, v62
	v_cndmask_b32_e64 v55, 0, -1, vcc
	v_cmp_eq_u32_e32 vcc, s69, v5
	v_cndmask_b32_e64 v66, v64, v63, s[18:19]
	v_lshl_add_u64 v[62:63], v[60:61], 0, 2
	v_lshl_add_u64 v[64:65], v[60:61], 0, 1
	v_cmp_ne_u32_e64 s[18:19], 0, v66
	v_cndmask_b32_e32 v5, v53, v55, vcc
	v_cmp_ne_u32_e32 vcc, 0, v5
	v_cndmask_b32_e64 v53, v64, v62, s[18:19]
	v_cndmask_b32_e64 v63, v65, v63, s[18:19]
	v_cndmask_b32_e32 v53, v60, v53, vcc
	v_xor_b32_e32 v55, s66, v54
	v_cndmask_b32_e32 v5, v61, v63, vcc
	v_xor_b32_e32 v53, v53, v55
	v_xor_b32_e32 v5, v5, v55
	v_sub_co_u32_e32 v54, vcc, v53, v55
	s_nop 1
	v_subb_co_u32_e32 v55, vcc, v5, v55, vcc
.LBB97_12:                              ;   in Loop: Header=BB97_10 Depth=2
	s_andn2_saveexec_b64 s[18:19], s[98:99]
	s_cbranch_execz .LBB97_14
; %bb.13:                               ;   in Loop: Header=BB97_10 Depth=2
	s_sub_i32 s66, 0, s22
	v_mul_lo_u32 v5, s66, v9
	v_mul_hi_u32 v5, v9, v5
	v_add_u32_e32 v5, v9, v5
	v_mul_hi_u32 v5, v52, v5
	v_mul_lo_u32 v53, v5, s22
	v_sub_u32_e32 v53, v52, v53
	v_subrev_u32_e32 v54, s22, v53
	v_cmp_le_u32_e32 vcc, s22, v53
	v_mov_b32_e32 v55, v4
	s_nop 0
	v_cndmask_b32_e32 v53, v53, v54, vcc
	v_add_u32_e32 v54, 1, v5
	v_cndmask_b32_e32 v5, v5, v54, vcc
	v_add_u32_e32 v54, 1, v5
	v_cmp_le_u32_e32 vcc, s22, v53
	s_nop 1
	v_cndmask_b32_e32 v54, v5, v54, vcc
.LBB97_14:                              ;   in Loop: Header=BB97_10 Depth=2
	s_or_b64 exec, exec, s[18:19]
	v_cmp_eq_u64_e32 vcc, s[92:93], v[54:55]
	v_cmp_ne_u64_e64 s[18:19], s[92:93], v[54:55]
	s_and_saveexec_b64 s[66:67], s[18:19]
	s_xor_b64 s[66:67], exec, s[66:67]
; %bb.15:                               ;   in Loop: Header=BB97_10 Depth=2
	v_cmp_lt_i64_e64 s[18:19], v[54:55], v[46:47]
                                        ; implicit-def: $vgpr52_vgpr53
                                        ; implicit-def: $vgpr49
	s_nop 1
	v_cndmask_b32_e64 v47, v47, v55, s[18:19]
	v_cndmask_b32_e64 v46, v46, v54, s[18:19]
; %bb.16:                               ;   in Loop: Header=BB97_10 Depth=2
	s_or_saveexec_b64 s[18:19], s[66:67]
	v_mov_b32_e32 v5, v50
	s_xor_b64 exec, exec, s[18:19]
	s_cbranch_execz .LBB97_9
; %bb.17:                               ;   in Loop: Header=BB97_10 Depth=2
	v_lshl_add_u64 v[54:55], v[50:51], 3, s[28:29]
	v_subrev_u32_e32 v5, s31, v52
	global_load_dwordx2 v[52:53], v[54:55], off
	v_add_lshl_u32 v5, v56, v5, 3
	ds_write_b8 v4, v59 offset:32768
	s_waitcnt vmcnt(0)
	ds_write_b64 v5, v[52:53]
	v_mov_b32_e32 v5, v49
	s_branch .LBB97_9
.LBB97_18:                              ;   in Loop: Header=BB97_7 Depth=1
	s_or_b64 exec, exec, s[96:97]
.LBB97_19:                              ;   in Loop: Header=BB97_7 Depth=1
	s_or_b64 exec, exec, s[94:95]
	v_mov_b32_dpp v49, v5 row_shr:1 row_mask:0xf bank_mask:0xf
	v_min_i32_e32 v5, v49, v5
	s_waitcnt lgkmcnt(0)
	s_barrier
	ds_read_u8 v49, v4 offset:32768
	v_mov_b32_dpp v50, v5 row_shr:2 row_mask:0xf bank_mask:0xf
	v_min_i32_e32 v5, v50, v5
	ds_bpermute_b32 v52, v57, v5
	s_mov_b32 s31, 0
	s_waitcnt lgkmcnt(1)
	v_cmp_eq_u32_e32 vcc, 0, v49
	s_cbranch_vccnz .LBB97_38
; %bb.20:                               ;   in Loop: Header=BB97_7 Depth=1
	s_ashr_i32 s31, s30, 31
	s_lshl_b64 s[18:19], s[30:31], 3
	v_add_u32_e32 v48, s73, v48
	s_add_u32 s18, s24, s18
	v_ashrrev_i32_e32 v49, 31, v48
	s_addc_u32 s19, s25, s19
	global_store_dwordx2 v4, v[48:49], s[18:19]
	s_mul_hi_u32 s18, s71, s30
	s_mul_i32 s19, s71, s31
	s_add_i32 s18, s18, s19
	s_mul_i32 s19, s70, s30
	s_add_i32 s19, s18, s19
	s_mul_i32 s18, s71, s30
	s_lshl_b64 s[18:19], s[18:19], 3
	v_lshl_add_u64 v[48:49], v[6:7], 0, s[18:19]
	v_lshl_add_u64 v[50:51], v[10:11], 0, s[18:19]
	s_and_saveexec_b64 s[18:19], s[34:35]
	s_cbranch_execnz .LBB97_54
; %bb.21:                               ;   in Loop: Header=BB97_7 Depth=1
	s_or_b64 exec, exec, s[18:19]
	s_and_saveexec_b64 s[18:19], s[36:37]
	s_cbranch_execnz .LBB97_55
.LBB97_22:                              ;   in Loop: Header=BB97_7 Depth=1
	s_or_b64 exec, exec, s[18:19]
	s_and_saveexec_b64 s[18:19], s[38:39]
	s_cbranch_execnz .LBB97_56
.LBB97_23:                              ;   in Loop: Header=BB97_7 Depth=1
	s_or_b64 exec, exec, s[18:19]
	s_and_saveexec_b64 s[18:19], s[40:41]
	s_cbranch_execnz .LBB97_57
.LBB97_24:                              ;   in Loop: Header=BB97_7 Depth=1
	s_or_b64 exec, exec, s[18:19]
	s_and_saveexec_b64 s[18:19], s[42:43]
	s_cbranch_execnz .LBB97_58
.LBB97_25:                              ;   in Loop: Header=BB97_7 Depth=1
	s_or_b64 exec, exec, s[18:19]
	s_and_saveexec_b64 s[18:19], s[44:45]
	s_cbranch_execnz .LBB97_59
.LBB97_26:                              ;   in Loop: Header=BB97_7 Depth=1
	s_or_b64 exec, exec, s[18:19]
	s_and_saveexec_b64 s[18:19], s[46:47]
	s_cbranch_execnz .LBB97_60
.LBB97_27:                              ;   in Loop: Header=BB97_7 Depth=1
	s_or_b64 exec, exec, s[18:19]
	s_and_saveexec_b64 s[18:19], s[48:49]
	s_cbranch_execnz .LBB97_61
.LBB97_28:                              ;   in Loop: Header=BB97_7 Depth=1
	s_or_b64 exec, exec, s[18:19]
	s_and_saveexec_b64 s[18:19], s[50:51]
	s_cbranch_execnz .LBB97_62
.LBB97_29:                              ;   in Loop: Header=BB97_7 Depth=1
	s_or_b64 exec, exec, s[18:19]
	s_and_saveexec_b64 s[18:19], s[52:53]
	s_cbranch_execnz .LBB97_63
.LBB97_30:                              ;   in Loop: Header=BB97_7 Depth=1
	s_or_b64 exec, exec, s[18:19]
	s_and_saveexec_b64 s[18:19], s[54:55]
	s_cbranch_execnz .LBB97_64
.LBB97_31:                              ;   in Loop: Header=BB97_7 Depth=1
	s_or_b64 exec, exec, s[18:19]
	s_and_saveexec_b64 s[18:19], s[56:57]
	s_cbranch_execnz .LBB97_65
.LBB97_32:                              ;   in Loop: Header=BB97_7 Depth=1
	s_or_b64 exec, exec, s[18:19]
	s_and_saveexec_b64 s[18:19], s[58:59]
	s_cbranch_execnz .LBB97_66
.LBB97_33:                              ;   in Loop: Header=BB97_7 Depth=1
	s_or_b64 exec, exec, s[18:19]
	s_and_saveexec_b64 s[18:19], s[60:61]
	s_cbranch_execnz .LBB97_67
.LBB97_34:                              ;   in Loop: Header=BB97_7 Depth=1
	s_or_b64 exec, exec, s[18:19]
	s_and_saveexec_b64 s[18:19], s[62:63]
	s_cbranch_execnz .LBB97_68
.LBB97_35:                              ;   in Loop: Header=BB97_7 Depth=1
	s_or_b64 exec, exec, s[18:19]
	s_and_saveexec_b64 s[18:19], s[64:65]
	s_cbranch_execz .LBB97_37
.LBB97_36:                              ;   in Loop: Header=BB97_7 Depth=1
	ds_read_b64 v[54:55], v58 offset:480
	v_lshl_add_u64 v[50:51], v[50:51], 0, s[90:91]
	v_lshl_add_u64 v[48:49], v[40:41], 3, v[48:49]
	v_cndmask_b32_e64 v49, v49, v51, s[0:1]
	v_cndmask_b32_e64 v48, v48, v50, s[0:1]
	s_waitcnt lgkmcnt(0)
	global_store_dwordx2 v[48:49], v[54:55], off
.LBB97_37:                              ;   in Loop: Header=BB97_7 Depth=1
	s_or_b64 exec, exec, s[18:19]
	s_mov_b32 s31, 1
.LBB97_38:                              ;   in Loop: Header=BB97_7 Depth=1
	s_waitcnt lgkmcnt(0)
	s_barrier
	ds_write_b64 v2, v[46:47]
	s_waitcnt lgkmcnt(0)
	s_barrier
	s_and_saveexec_b64 s[18:19], s[2:3]
	s_cbranch_execz .LBB97_40
; %bb.39:                               ;   in Loop: Header=BB97_7 Depth=1
	ds_read2st64_b64 v[46:49], v2 offset1:2
	s_waitcnt lgkmcnt(0)
	v_cmp_lt_i64_e32 vcc, v[48:49], v[46:47]
	s_nop 1
	v_cndmask_b32_e32 v47, v47, v49, vcc
	v_cndmask_b32_e32 v46, v46, v48, vcc
	ds_write_b64 v2, v[46:47]
.LBB97_40:                              ;   in Loop: Header=BB97_7 Depth=1
	s_or_b64 exec, exec, s[18:19]
	s_waitcnt lgkmcnt(0)
	s_barrier
	s_and_saveexec_b64 s[18:19], s[4:5]
	s_cbranch_execz .LBB97_42
; %bb.41:                               ;   in Loop: Header=BB97_7 Depth=1
	ds_read2st64_b64 v[46:49], v2 offset1:1
	s_waitcnt lgkmcnt(0)
	v_cmp_lt_i64_e32 vcc, v[48:49], v[46:47]
	s_nop 1
	v_cndmask_b32_e32 v47, v47, v49, vcc
	v_cndmask_b32_e32 v46, v46, v48, vcc
	ds_write_b64 v2, v[46:47]
.LBB97_42:                              ;   in Loop: Header=BB97_7 Depth=1
	s_or_b64 exec, exec, s[18:19]
	s_waitcnt lgkmcnt(0)
	s_barrier
	s_and_saveexec_b64 s[18:19], s[6:7]
	s_cbranch_execz .LBB97_44
; %bb.43:                               ;   in Loop: Header=BB97_7 Depth=1
	ds_read2_b64 v[46:49], v2 offset1:32
	s_waitcnt lgkmcnt(0)
	v_cmp_lt_i64_e32 vcc, v[48:49], v[46:47]
	s_nop 1
	v_cndmask_b32_e32 v47, v47, v49, vcc
	v_cndmask_b32_e32 v46, v46, v48, vcc
	ds_write_b64 v2, v[46:47]
.LBB97_44:                              ;   in Loop: Header=BB97_7 Depth=1
	s_or_b64 exec, exec, s[18:19]
	s_waitcnt lgkmcnt(0)
	s_barrier
	s_and_saveexec_b64 s[18:19], s[8:9]
	s_cbranch_execz .LBB97_46
; %bb.45:                               ;   in Loop: Header=BB97_7 Depth=1
	ds_read2_b64 v[46:49], v2 offset1:16
	s_waitcnt lgkmcnt(0)
	v_cmp_lt_i64_e32 vcc, v[48:49], v[46:47]
	s_nop 1
	v_cndmask_b32_e32 v47, v47, v49, vcc
	v_cndmask_b32_e32 v46, v46, v48, vcc
	ds_write_b64 v2, v[46:47]
.LBB97_46:                              ;   in Loop: Header=BB97_7 Depth=1
	;; [unrolled: 14-line block ×5, first 2 shown]
	s_or_b64 exec, exec, s[18:19]
	s_waitcnt lgkmcnt(0)
	s_barrier
	s_and_saveexec_b64 s[18:19], s[16:17]
	s_cbranch_execz .LBB97_6
; %bb.53:                               ;   in Loop: Header=BB97_7 Depth=1
	ds_read_b128 v[46:49], v4
	s_waitcnt lgkmcnt(0)
	v_cmp_lt_i64_e32 vcc, v[48:49], v[46:47]
	s_nop 1
	v_cndmask_b32_e32 v47, v47, v49, vcc
	v_cndmask_b32_e32 v46, v46, v48, vcc
	ds_write_b64 v4, v[46:47]
	s_branch .LBB97_6
.LBB97_54:                              ;   in Loop: Header=BB97_7 Depth=1
	ds_read_b64 v[54:55], v58
	v_lshl_add_u64 v[60:61], v[0:1], 3, v[48:49]
	v_cndmask_b32_e64 v61, v61, v51, s[0:1]
	v_cndmask_b32_e64 v60, v60, v50, s[0:1]
	s_waitcnt lgkmcnt(0)
	global_store_dwordx2 v[60:61], v[54:55], off
	s_or_b64 exec, exec, s[18:19]
	s_and_saveexec_b64 s[18:19], s[36:37]
	s_cbranch_execz .LBB97_22
.LBB97_55:                              ;   in Loop: Header=BB97_7 Depth=1
	ds_read_b64 v[54:55], v58 offset:32
	v_lshl_add_u64 v[60:61], v[50:51], 0, 32
	v_lshl_add_u64 v[62:63], v[12:13], 3, v[48:49]
	v_cndmask_b32_e64 v61, v63, v61, s[0:1]
	v_cndmask_b32_e64 v60, v62, v60, s[0:1]
	s_waitcnt lgkmcnt(0)
	global_store_dwordx2 v[60:61], v[54:55], off
	s_or_b64 exec, exec, s[18:19]
	s_and_saveexec_b64 s[18:19], s[38:39]
	s_cbranch_execz .LBB97_23
.LBB97_56:                              ;   in Loop: Header=BB97_7 Depth=1
	ds_read_b64 v[54:55], v58 offset:64
	v_lshl_add_u64 v[60:61], v[50:51], 0, 64
	v_lshl_add_u64 v[62:63], v[14:15], 3, v[48:49]
	v_cndmask_b32_e64 v61, v63, v61, s[0:1]
	v_cndmask_b32_e64 v60, v62, v60, s[0:1]
	s_waitcnt lgkmcnt(0)
	global_store_dwordx2 v[60:61], v[54:55], off
	s_or_b64 exec, exec, s[18:19]
	s_and_saveexec_b64 s[18:19], s[40:41]
	s_cbranch_execz .LBB97_24
.LBB97_57:                              ;   in Loop: Header=BB97_7 Depth=1
	ds_read_b64 v[54:55], v58 offset:96
	s_mov_b64 s[66:67], 0x60
	v_lshl_add_u64 v[60:61], v[50:51], 0, s[66:67]
	v_lshl_add_u64 v[62:63], v[16:17], 3, v[48:49]
	v_cndmask_b32_e64 v61, v63, v61, s[0:1]
	v_cndmask_b32_e64 v60, v62, v60, s[0:1]
	s_waitcnt lgkmcnt(0)
	global_store_dwordx2 v[60:61], v[54:55], off
	s_or_b64 exec, exec, s[18:19]
	s_and_saveexec_b64 s[18:19], s[42:43]
	s_cbranch_execz .LBB97_25
.LBB97_58:                              ;   in Loop: Header=BB97_7 Depth=1
	ds_read_b64 v[54:55], v58 offset:128
	s_mov_b64 s[66:67], 0x80
	v_lshl_add_u64 v[60:61], v[50:51], 0, s[66:67]
	v_lshl_add_u64 v[62:63], v[18:19], 3, v[48:49]
	v_cndmask_b32_e64 v61, v63, v61, s[0:1]
	v_cndmask_b32_e64 v60, v62, v60, s[0:1]
	s_waitcnt lgkmcnt(0)
	global_store_dwordx2 v[60:61], v[54:55], off
	s_or_b64 exec, exec, s[18:19]
	s_and_saveexec_b64 s[18:19], s[44:45]
	s_cbranch_execz .LBB97_26
.LBB97_59:                              ;   in Loop: Header=BB97_7 Depth=1
	ds_read_b64 v[54:55], v58 offset:160
	s_mov_b64 s[66:67], 0xa0
	v_lshl_add_u64 v[60:61], v[50:51], 0, s[66:67]
	v_lshl_add_u64 v[62:63], v[20:21], 3, v[48:49]
	v_cndmask_b32_e64 v61, v63, v61, s[0:1]
	v_cndmask_b32_e64 v60, v62, v60, s[0:1]
	s_waitcnt lgkmcnt(0)
	global_store_dwordx2 v[60:61], v[54:55], off
	s_or_b64 exec, exec, s[18:19]
	s_and_saveexec_b64 s[18:19], s[46:47]
	s_cbranch_execz .LBB97_27
.LBB97_60:                              ;   in Loop: Header=BB97_7 Depth=1
	ds_read_b64 v[54:55], v58 offset:192
	s_mov_b64 s[66:67], 0xc0
	v_lshl_add_u64 v[60:61], v[50:51], 0, s[66:67]
	v_lshl_add_u64 v[62:63], v[22:23], 3, v[48:49]
	v_cndmask_b32_e64 v61, v63, v61, s[0:1]
	v_cndmask_b32_e64 v60, v62, v60, s[0:1]
	s_waitcnt lgkmcnt(0)
	global_store_dwordx2 v[60:61], v[54:55], off
	s_or_b64 exec, exec, s[18:19]
	s_and_saveexec_b64 s[18:19], s[48:49]
	s_cbranch_execz .LBB97_28
.LBB97_61:                              ;   in Loop: Header=BB97_7 Depth=1
	ds_read_b64 v[54:55], v58 offset:224
	v_lshl_add_u64 v[60:61], v[50:51], 0, s[74:75]
	v_lshl_add_u64 v[62:63], v[24:25], 3, v[48:49]
	v_cndmask_b32_e64 v61, v63, v61, s[0:1]
	v_cndmask_b32_e64 v60, v62, v60, s[0:1]
	s_waitcnt lgkmcnt(0)
	global_store_dwordx2 v[60:61], v[54:55], off
	s_or_b64 exec, exec, s[18:19]
	s_and_saveexec_b64 s[18:19], s[50:51]
	s_cbranch_execz .LBB97_29
.LBB97_62:                              ;   in Loop: Header=BB97_7 Depth=1
	ds_read_b64 v[54:55], v58 offset:256
	v_lshl_add_u64 v[60:61], v[50:51], 0, s[76:77]
	v_lshl_add_u64 v[62:63], v[26:27], 3, v[48:49]
	v_cndmask_b32_e64 v61, v63, v61, s[0:1]
	v_cndmask_b32_e64 v60, v62, v60, s[0:1]
	s_waitcnt lgkmcnt(0)
	global_store_dwordx2 v[60:61], v[54:55], off
	s_or_b64 exec, exec, s[18:19]
	s_and_saveexec_b64 s[18:19], s[52:53]
	s_cbranch_execz .LBB97_30
.LBB97_63:                              ;   in Loop: Header=BB97_7 Depth=1
	ds_read_b64 v[54:55], v58 offset:288
	v_lshl_add_u64 v[60:61], v[50:51], 0, s[78:79]
	v_lshl_add_u64 v[62:63], v[28:29], 3, v[48:49]
	v_cndmask_b32_e64 v61, v63, v61, s[0:1]
	v_cndmask_b32_e64 v60, v62, v60, s[0:1]
	s_waitcnt lgkmcnt(0)
	global_store_dwordx2 v[60:61], v[54:55], off
	s_or_b64 exec, exec, s[18:19]
	s_and_saveexec_b64 s[18:19], s[54:55]
	s_cbranch_execz .LBB97_31
.LBB97_64:                              ;   in Loop: Header=BB97_7 Depth=1
	ds_read_b64 v[54:55], v58 offset:320
	v_lshl_add_u64 v[60:61], v[50:51], 0, s[80:81]
	v_lshl_add_u64 v[62:63], v[30:31], 3, v[48:49]
	v_cndmask_b32_e64 v61, v63, v61, s[0:1]
	v_cndmask_b32_e64 v60, v62, v60, s[0:1]
	s_waitcnt lgkmcnt(0)
	global_store_dwordx2 v[60:61], v[54:55], off
	s_or_b64 exec, exec, s[18:19]
	s_and_saveexec_b64 s[18:19], s[56:57]
	s_cbranch_execz .LBB97_32
.LBB97_65:                              ;   in Loop: Header=BB97_7 Depth=1
	ds_read_b64 v[54:55], v58 offset:352
	v_lshl_add_u64 v[60:61], v[50:51], 0, s[82:83]
	v_lshl_add_u64 v[62:63], v[32:33], 3, v[48:49]
	v_cndmask_b32_e64 v61, v63, v61, s[0:1]
	v_cndmask_b32_e64 v60, v62, v60, s[0:1]
	s_waitcnt lgkmcnt(0)
	global_store_dwordx2 v[60:61], v[54:55], off
	s_or_b64 exec, exec, s[18:19]
	s_and_saveexec_b64 s[18:19], s[58:59]
	s_cbranch_execz .LBB97_33
.LBB97_66:                              ;   in Loop: Header=BB97_7 Depth=1
	ds_read_b64 v[54:55], v58 offset:384
	v_lshl_add_u64 v[60:61], v[50:51], 0, s[84:85]
	v_lshl_add_u64 v[62:63], v[34:35], 3, v[48:49]
	v_cndmask_b32_e64 v61, v63, v61, s[0:1]
	v_cndmask_b32_e64 v60, v62, v60, s[0:1]
	s_waitcnt lgkmcnt(0)
	global_store_dwordx2 v[60:61], v[54:55], off
	s_or_b64 exec, exec, s[18:19]
	s_and_saveexec_b64 s[18:19], s[60:61]
	s_cbranch_execz .LBB97_34
.LBB97_67:                              ;   in Loop: Header=BB97_7 Depth=1
	ds_read_b64 v[54:55], v58 offset:416
	v_lshl_add_u64 v[60:61], v[50:51], 0, s[86:87]
	v_lshl_add_u64 v[62:63], v[36:37], 3, v[48:49]
	v_cndmask_b32_e64 v61, v63, v61, s[0:1]
	v_cndmask_b32_e64 v60, v62, v60, s[0:1]
	s_waitcnt lgkmcnt(0)
	global_store_dwordx2 v[60:61], v[54:55], off
	s_or_b64 exec, exec, s[18:19]
	s_and_saveexec_b64 s[18:19], s[62:63]
	s_cbranch_execz .LBB97_35
.LBB97_68:                              ;   in Loop: Header=BB97_7 Depth=1
	ds_read_b64 v[54:55], v58 offset:448
	v_lshl_add_u64 v[60:61], v[50:51], 0, s[88:89]
	v_lshl_add_u64 v[62:63], v[38:39], 3, v[48:49]
	v_cndmask_b32_e64 v61, v63, v61, s[0:1]
	v_cndmask_b32_e64 v60, v62, v60, s[0:1]
	s_waitcnt lgkmcnt(0)
	global_store_dwordx2 v[60:61], v[54:55], off
	s_or_b64 exec, exec, s[18:19]
	s_and_saveexec_b64 s[18:19], s[64:65]
	s_cbranch_execnz .LBB97_36
	s_branch .LBB97_37
.LBB97_69:
	s_endpgm
	.section	.rodata,"a",@progbits
	.p2align	6, 0x0
	.amdhsa_kernel _ZN9rocsparseL38csr2bsr_block_per_row_multipass_kernelILj256ELj64E21rocsparse_complex_numIfEilEEv20rocsparse_direction_T3_S4_S4_S4_S4_21rocsparse_index_base_PKT1_PKT2_PKS4_S5_PS6_PS9_PS4_
		.amdhsa_group_segment_fixed_size 32772
		.amdhsa_private_segment_fixed_size 0
		.amdhsa_kernarg_size 112
		.amdhsa_user_sgpr_count 2
		.amdhsa_user_sgpr_dispatch_ptr 0
		.amdhsa_user_sgpr_queue_ptr 0
		.amdhsa_user_sgpr_kernarg_segment_ptr 1
		.amdhsa_user_sgpr_dispatch_id 0
		.amdhsa_user_sgpr_kernarg_preload_length 0
		.amdhsa_user_sgpr_kernarg_preload_offset 0
		.amdhsa_user_sgpr_private_segment_size 0
		.amdhsa_uses_dynamic_stack 0
		.amdhsa_enable_private_segment 0
		.amdhsa_system_sgpr_workgroup_id_x 1
		.amdhsa_system_sgpr_workgroup_id_y 0
		.amdhsa_system_sgpr_workgroup_id_z 0
		.amdhsa_system_sgpr_workgroup_info 0
		.amdhsa_system_vgpr_workitem_id 0
		.amdhsa_next_free_vgpr 67
		.amdhsa_next_free_sgpr 100
		.amdhsa_accum_offset 68
		.amdhsa_reserve_vcc 1
		.amdhsa_float_round_mode_32 0
		.amdhsa_float_round_mode_16_64 0
		.amdhsa_float_denorm_mode_32 3
		.amdhsa_float_denorm_mode_16_64 3
		.amdhsa_dx10_clamp 1
		.amdhsa_ieee_mode 1
		.amdhsa_fp16_overflow 0
		.amdhsa_tg_split 0
		.amdhsa_exception_fp_ieee_invalid_op 0
		.amdhsa_exception_fp_denorm_src 0
		.amdhsa_exception_fp_ieee_div_zero 0
		.amdhsa_exception_fp_ieee_overflow 0
		.amdhsa_exception_fp_ieee_underflow 0
		.amdhsa_exception_fp_ieee_inexact 0
		.amdhsa_exception_int_div_zero 0
	.end_amdhsa_kernel
	.section	.text._ZN9rocsparseL38csr2bsr_block_per_row_multipass_kernelILj256ELj64E21rocsparse_complex_numIfEilEEv20rocsparse_direction_T3_S4_S4_S4_S4_21rocsparse_index_base_PKT1_PKT2_PKS4_S5_PS6_PS9_PS4_,"axG",@progbits,_ZN9rocsparseL38csr2bsr_block_per_row_multipass_kernelILj256ELj64E21rocsparse_complex_numIfEilEEv20rocsparse_direction_T3_S4_S4_S4_S4_21rocsparse_index_base_PKT1_PKT2_PKS4_S5_PS6_PS9_PS4_,comdat
.Lfunc_end97:
	.size	_ZN9rocsparseL38csr2bsr_block_per_row_multipass_kernelILj256ELj64E21rocsparse_complex_numIfEilEEv20rocsparse_direction_T3_S4_S4_S4_S4_21rocsparse_index_base_PKT1_PKT2_PKS4_S5_PS6_PS9_PS4_, .Lfunc_end97-_ZN9rocsparseL38csr2bsr_block_per_row_multipass_kernelILj256ELj64E21rocsparse_complex_numIfEilEEv20rocsparse_direction_T3_S4_S4_S4_S4_21rocsparse_index_base_PKT1_PKT2_PKS4_S5_PS6_PS9_PS4_
                                        ; -- End function
	.section	.AMDGPU.csdata,"",@progbits
; Kernel info:
; codeLenInByte = 4360
; NumSgprs: 106
; NumVgprs: 67
; NumAgprs: 0
; TotalNumVgprs: 67
; ScratchSize: 0
; MemoryBound: 0
; FloatMode: 240
; IeeeMode: 1
; LDSByteSize: 32772 bytes/workgroup (compile time only)
; SGPRBlocks: 13
; VGPRBlocks: 8
; NumSGPRsForWavesPerEU: 106
; NumVGPRsForWavesPerEU: 67
; AccumOffset: 68
; Occupancy: 1
; WaveLimiterHint : 1
; COMPUTE_PGM_RSRC2:SCRATCH_EN: 0
; COMPUTE_PGM_RSRC2:USER_SGPR: 2
; COMPUTE_PGM_RSRC2:TRAP_HANDLER: 0
; COMPUTE_PGM_RSRC2:TGID_X_EN: 1
; COMPUTE_PGM_RSRC2:TGID_Y_EN: 0
; COMPUTE_PGM_RSRC2:TGID_Z_EN: 0
; COMPUTE_PGM_RSRC2:TIDIG_COMP_CNT: 0
; COMPUTE_PGM_RSRC3_GFX90A:ACCUM_OFFSET: 16
; COMPUTE_PGM_RSRC3_GFX90A:TG_SPLIT: 0
	.section	.text._ZN9rocsparseL21csr2bsr_65_inf_kernelILj32E21rocsparse_complex_numIfEilEEv20rocsparse_direction_T2_S4_S4_S4_S4_S4_21rocsparse_index_base_PKT0_PKT1_PKS4_S5_PS6_PS9_PS4_SF_SG_SE_,"axG",@progbits,_ZN9rocsparseL21csr2bsr_65_inf_kernelILj32E21rocsparse_complex_numIfEilEEv20rocsparse_direction_T2_S4_S4_S4_S4_S4_21rocsparse_index_base_PKT0_PKT1_PKS4_S5_PS6_PS9_PS4_SF_SG_SE_,comdat
	.globl	_ZN9rocsparseL21csr2bsr_65_inf_kernelILj32E21rocsparse_complex_numIfEilEEv20rocsparse_direction_T2_S4_S4_S4_S4_S4_21rocsparse_index_base_PKT0_PKT1_PKS4_S5_PS6_PS9_PS4_SF_SG_SE_ ; -- Begin function _ZN9rocsparseL21csr2bsr_65_inf_kernelILj32E21rocsparse_complex_numIfEilEEv20rocsparse_direction_T2_S4_S4_S4_S4_S4_21rocsparse_index_base_PKT0_PKT1_PKS4_S5_PS6_PS9_PS4_SF_SG_SE_
	.p2align	8
	.type	_ZN9rocsparseL21csr2bsr_65_inf_kernelILj32E21rocsparse_complex_numIfEilEEv20rocsparse_direction_T2_S4_S4_S4_S4_S4_21rocsparse_index_base_PKT0_PKT1_PKS4_S5_PS6_PS9_PS4_SF_SG_SE_,@function
_ZN9rocsparseL21csr2bsr_65_inf_kernelILj32E21rocsparse_complex_numIfEilEEv20rocsparse_direction_T2_S4_S4_S4_S4_S4_21rocsparse_index_base_PKT0_PKT1_PKS4_S5_PS6_PS9_PS4_SF_SG_SE_: ; @_ZN9rocsparseL21csr2bsr_65_inf_kernelILj32E21rocsparse_complex_numIfEilEEv20rocsparse_direction_T2_S4_S4_S4_S4_S4_21rocsparse_index_base_PKT0_PKT1_PKS4_S5_PS6_PS9_PS4_SF_SG_SE_
; %bb.0:
	s_load_dwordx2 s[4:5], s[0:1], 0x18
	s_load_dwordx4 s[8:11], s[0:1], 0x8
	s_mov_b32 s3, 0
	s_mov_b64 s[6:7], 0
	s_waitcnt lgkmcnt(0)
	v_mov_b32_e32 v2, s4
	v_mov_b32_e32 v3, s5
	s_load_dwordx2 s[4:5], s[0:1], 0x78
	s_load_dword s16, s[0:1], 0x58
	v_cmp_ge_i64_e32 vcc, s[2:3], v[2:3]
	s_cbranch_vccnz .LBB98_2
; %bb.1:
	s_load_dwordx2 s[6:7], s[0:1], 0x68
	s_lshl_b64 s[12:13], s[2:3], 2
	s_waitcnt lgkmcnt(0)
	s_add_u32 s6, s6, s12
	s_addc_u32 s7, s7, s13
	s_load_dword s3, s[6:7], 0x0
	s_waitcnt lgkmcnt(0)
	s_sub_i32 s6, s3, s16
	s_ashr_i32 s7, s6, 31
.LBB98_2:
	s_load_dwordx4 s[12:15], s[0:1], 0x28
	s_load_dword s33, s[0:1], 0x38
	v_mov_b32_e32 v1, 0
	s_waitcnt lgkmcnt(0)
	s_mul_i32 s3, s2, s15
	s_mul_hi_u32 s17, s2, s14
	s_mul_i32 s18, s2, s14
	s_add_i32 s19, s17, s3
	s_lshl_b64 s[18:19], s[18:19], 8
	s_add_u32 s4, s4, s18
	s_addc_u32 s5, s5, s19
	v_mad_u64_u32 v[6:7], s[18:19], v0, s14, 0
	v_mov_b32_e32 v2, v7
	v_mad_u64_u32 v[2:3], s[18:19], v0, s15, v[2:3]
	v_mov_b32_e32 v7, v2
	v_lshlrev_b64 v[4:5], 2, v[6:7]
	s_lshl_b64 s[18:19], s[14:15], 7
	v_lshl_add_u64 v[2:3], s[4:5], 0, v[4:5]
	s_add_u32 s4, s4, s18
	s_addc_u32 s5, s5, s19
	v_lshl_add_u64 v[4:5], s[4:5], 0, v[4:5]
	v_cmp_lt_i64_e64 s[4:5], s[14:15], 1
	v_cmp_gt_i64_e64 s[36:37], s[14:15], 0
	s_and_b64 vcc, exec, s[4:5]
	s_cbranch_vccnz .LBB98_7
; %bb.3:
	s_load_dwordx2 s[4:5], s[0:1], 0x48
	v_mov_b32_e32 v8, s12
	s_mul_i32 s3, s2, s13
	v_mad_u64_u32 v[8:9], s[20:21], s2, v8, v[0:1]
	v_add_u32_e32 v9, s3, v9
	s_mul_hi_u32 s17, s2, s12
	s_waitcnt lgkmcnt(0)
	v_lshl_add_u64 v[8:9], v[8:9], 2, s[4:5]
	s_add_i32 s19, s17, s3
	s_mul_i32 s18, s2, s12
	v_lshl_add_u64 v[8:9], v[8:9], 0, 4
	s_mov_b64 s[20:21], 0x80
	v_mov_b64_e32 v[10:11], v[4:5]
	v_mov_b64_e32 v[12:13], v[2:3]
	;; [unrolled: 1-line block ×3, first 2 shown]
	s_mov_b64 s[22:23], s[14:15]
	s_branch .LBB98_5
.LBB98_4:                               ;   in Loop: Header=BB98_5 Depth=1
	s_or_b64 exec, exec, s[4:5]
	s_add_u32 s22, s22, -1
	s_addc_u32 s23, s23, -1
	v_lshl_add_u64 v[14:15], v[14:15], 0, 32
	v_lshl_add_u64 v[12:13], v[12:13], 0, 4
	;; [unrolled: 1-line block ×3, first 2 shown]
	s_cmp_eq_u64 s[22:23], 0
	v_lshl_add_u64 v[10:11], v[10:11], 0, 4
	s_cbranch_scc1 .LBB98_7
.LBB98_5:                               ; =>This Inner Loop Header: Depth=1
	v_lshl_add_u64 v[16:17], s[18:19], 0, v[14:15]
	v_cmp_gt_i64_e32 vcc, s[8:9], v[16:17]
	v_cmp_gt_i64_e64 s[4:5], s[12:13], v[14:15]
	s_and_b64 s[24:25], vcc, s[4:5]
	global_store_dword v[12:13], v1, off
	global_store_dword v[10:11], v1, off
	s_and_saveexec_b64 s[4:5], s[24:25]
	s_cbranch_execz .LBB98_4
; %bb.6:                                ;   in Loop: Header=BB98_5 Depth=1
	global_load_dwordx2 v[16:17], v[8:9], off offset:-4
	s_waitcnt vmcnt(0)
	v_subrev_u32_e32 v16, s33, v16
	v_subrev_u32_e32 v17, s33, v17
	global_store_dword v[12:13], v16, off
	global_store_dword v[10:11], v17, off
	s_branch .LBB98_4
.LBB98_7:
	v_cmp_lt_i64_e64 s[4:5], s[10:11], 1
	s_and_b64 vcc, exec, s[4:5]
	s_cbranch_vccnz .LBB98_53
; %bb.8:
	s_load_dwordx4 s[20:23], s[0:1], 0x80
	s_load_dwordx2 s[4:5], s[0:1], 0x70
	s_lshl_b64 s[8:9], s[14:15], 5
	s_mul_i32 s3, s9, s2
	s_mul_hi_u32 s9, s8, s2
	s_add_i32 s3, s9, s3
	s_mul_i32 s2, s8, s2
	s_lshl_b64 s[2:3], s[2:3], 3
	s_waitcnt lgkmcnt(0)
	s_add_u32 s8, s20, s2
	s_addc_u32 s9, s21, s3
	v_lshlrev_b64 v[8:9], 3, v[6:7]
	v_lshl_add_u64 v[6:7], s[8:9], 0, v[8:9]
	s_add_u32 s2, s22, s2
	s_load_dwordx2 s[8:9], s[0:1], 0x60
	s_load_dwordx2 s[18:19], s[0:1], 0x50
	;; [unrolled: 1-line block ×3, first 2 shown]
	s_load_dword s24, s[0:1], 0x0
	s_addc_u32 s3, s23, s3
	v_lshl_add_u64 v[8:9], s[2:3], 0, v[8:9]
	s_lshl_b64 s[2:3], s[6:7], 3
	s_add_u32 s22, s4, s2
	s_addc_u32 s23, s5, s3
	v_mbcnt_lo_u32_b32 v10, -1, 0
	v_mbcnt_hi_u32_b32 v10, -1, v10
	v_mov_b32_e32 v11, 0x7c
	s_waitcnt lgkmcnt(0)
	s_cmp_lg_u32 s24, 0
	s_mov_b32 s46, 0
	v_lshl_or_b32 v34, v10, 2, v11
	s_cselect_b64 s[24:25], -1, 0
	s_add_u32 s26, s6, -1
	v_mov_b64_e32 v[16:17], 0
	v_cndmask_b32_e64 v10, 0, 1, s[36:37]
	v_cmp_eq_u32_e64 s[0:1], 31, v0
	s_mov_b32 s17, s46
	s_addc_u32 s27, s7, -1
	s_lshl_b64 s[28:29], s[12:13], 3
	s_lshl_b64 s[30:31], s[12:13], 8
	s_mov_b64 s[34:35], 0
	v_cmp_ne_u32_e64 s[2:3], 1, v10
	v_mov_b32_e32 v10, 0
	v_mov_b64_e32 v[14:15], v[16:17]
	v_mov_b64_e32 v[12:13], v[16:17]
	s_branch .LBB98_10
.LBB98_9:                               ;   in Loop: Header=BB98_10 Depth=1
	s_waitcnt lgkmcnt(2)
	v_lshl_add_u64 v[16:17], v[16:17], 0, 1
	v_cmp_le_i64_e32 vcc, s[10:11], v[16:17]
	s_or_b64 s[34:35], vcc, s[34:35]
	s_andn2_b64 exec, exec, s[34:35]
	s_cbranch_execz .LBB98_53
.LBB98_10:                              ; =>This Loop Header: Depth=1
                                        ;     Child Loop BB98_14 Depth 2
                                        ;       Child Loop BB98_17 Depth 3
                                        ;     Child Loop BB98_34 Depth 2
	s_and_b64 vcc, exec, s[2:3]
	v_mov_b64_e32 v[18:19], s[10:11]
	s_cbranch_vccnz .LBB98_23
; %bb.11:                               ;   in Loop: Header=BB98_10 Depth=1
	s_mov_b64 s[4:5], 0
	v_mov_b64_e32 v[18:19], s[10:11]
	s_branch .LBB98_14
.LBB98_12:                              ;   in Loop: Header=BB98_14 Depth=2
	s_or_b64 exec, exec, s[36:37]
.LBB98_13:                              ;   in Loop: Header=BB98_14 Depth=2
	s_or_b64 exec, exec, s[6:7]
	s_add_u32 s4, s4, 1
	s_addc_u32 s5, s5, 0
	s_cmp_eq_u64 s[4:5], s[14:15]
	s_cbranch_scc1 .LBB98_23
.LBB98_14:                              ;   Parent Loop BB98_10 Depth=1
                                        ; =>  This Loop Header: Depth=2
                                        ;       Child Loop BB98_17 Depth 3
	s_lshl_b64 s[6:7], s[4:5], 2
	v_lshl_add_u64 v[20:21], v[2:3], 0, s[6:7]
	v_lshl_add_u64 v[22:23], v[4:5], 0, s[6:7]
	global_load_dword v30, v[20:21], off
	global_load_dword v35, v[22:23], off
	s_lshl_b64 s[6:7], s[4:5], 3
	v_lshl_add_u64 v[22:23], v[8:9], 0, s[6:7]
	v_mov_b32_e32 v11, v10
	v_lshl_add_u64 v[24:25], v[6:7], 0, s[6:7]
	v_mov_b64_e32 v[26:27], s[10:11]
	global_store_dwordx2 v[22:23], v[10:11], off
	global_store_dwordx2 v[24:25], v[26:27], off
	s_waitcnt vmcnt(2)
	v_cmp_lt_i32_e32 vcc, v30, v35
	s_and_saveexec_b64 s[6:7], vcc
	s_cbranch_execz .LBB98_13
; %bb.15:                               ;   in Loop: Header=BB98_14 Depth=2
	v_ashrrev_i32_e32 v31, 31, v30
	v_lshl_add_u64 v[32:33], v[30:31], 3, s[18:19]
	s_mov_b64 s[36:37], 0
                                        ; implicit-def: $sgpr38_sgpr39
                                        ; implicit-def: $sgpr42_sgpr43
                                        ; implicit-def: $sgpr40_sgpr41
	s_branch .LBB98_17
.LBB98_16:                              ;   in Loop: Header=BB98_17 Depth=3
	s_or_b64 exec, exec, s[44:45]
	s_and_b64 s[44:45], exec, s[42:43]
	s_or_b64 s[36:37], s[44:45], s[36:37]
	s_andn2_b64 s[38:39], s[38:39], exec
	s_and_b64 s[44:45], s[40:41], exec
	s_or_b64 s[38:39], s[38:39], s[44:45]
	s_andn2_b64 exec, exec, s[36:37]
	s_cbranch_execz .LBB98_19
.LBB98_17:                              ;   Parent Loop BB98_10 Depth=1
                                        ;     Parent Loop BB98_14 Depth=2
                                        ; =>    This Inner Loop Header: Depth=3
	global_load_dwordx2 v[28:29], v[32:33], off
	v_mov_b32_e32 v11, s46
	v_mov_b64_e32 v[26:27], v[30:31]
	s_or_b64 s[40:41], s[40:41], exec
	s_or_b64 s[42:43], s[42:43], exec
                                        ; implicit-def: $vgpr30_vgpr31
	s_waitcnt vmcnt(0)
	v_subrev_co_u32_e32 v28, vcc, s33, v28
	s_nop 1
	v_subb_co_u32_e32 v29, vcc, v29, v11, vcc
	v_cmp_lt_i64_e32 vcc, v[28:29], v[16:17]
	s_and_saveexec_b64 s[44:45], vcc
	s_cbranch_execz .LBB98_16
; %bb.18:                               ;   in Loop: Header=BB98_17 Depth=3
	v_lshl_add_u64 v[30:31], v[26:27], 0, 1
	v_cmp_ge_i32_e32 vcc, v30, v35
	s_andn2_b64 s[42:43], s[42:43], exec
	s_and_b64 s[48:49], vcc, exec
	v_lshl_add_u64 v[32:33], v[32:33], 0, 8
	s_andn2_b64 s[40:41], s[40:41], exec
	s_or_b64 s[42:43], s[42:43], s[48:49]
	s_branch .LBB98_16
.LBB98_19:                              ;   in Loop: Header=BB98_14 Depth=2
	s_or_b64 exec, exec, s[36:37]
	s_xor_b64 s[36:37], s[38:39], -1
	v_lshl_add_u64 v[30:31], v[26:27], 3, s[20:21]
	s_and_saveexec_b64 s[38:39], s[36:37]
	s_xor_b64 s[36:37], exec, s[38:39]
	s_cbranch_execz .LBB98_21
; %bb.20:                               ;   in Loop: Header=BB98_14 Depth=2
	global_load_dwordx2 v[20:21], v[30:31], off
                                        ; implicit-def: $vgpr30_vgpr31
	s_waitcnt vmcnt(0)
	global_store_dwordx2 v[22:23], v[20:21], off
	global_store_dwordx2 v[24:25], v[28:29], off
                                        ; implicit-def: $vgpr22_vgpr23
                                        ; implicit-def: $vgpr24_vgpr25
                                        ; implicit-def: $vgpr20_vgpr21
.LBB98_21:                              ;   in Loop: Header=BB98_14 Depth=2
	s_andn2_saveexec_b64 s[36:37], s[36:37]
	s_cbranch_execz .LBB98_12
; %bb.22:                               ;   in Loop: Header=BB98_14 Depth=2
	global_load_dwordx2 v[30:31], v[30:31], off
	v_cmp_lt_i64_e32 vcc, v[28:29], v[18:19]
	global_store_dwordx2 v[24:25], v[28:29], off
	s_waitcnt vmcnt(1)
	global_store_dwordx2 v[22:23], v[30:31], off
	global_store_dword v[20:21], v26, off
	v_cndmask_b32_e32 v19, v19, v29, vcc
	v_cndmask_b32_e32 v18, v18, v28, vcc
	s_branch .LBB98_12
.LBB98_23:                              ;   in Loop: Header=BB98_10 Depth=1
	s_nop 0
	v_mov_b32_dpp v16, v18 row_shr:1 row_mask:0xf bank_mask:0xf
	v_mov_b32_dpp v17, v19 row_shr:1 row_mask:0xf bank_mask:0xf
	v_cmp_lt_i64_e32 vcc, v[16:17], v[18:19]
	s_nop 1
	v_cndmask_b32_e32 v17, v19, v17, vcc
	v_cndmask_b32_e32 v16, v18, v16, vcc
	s_nop 0
	v_mov_b32_dpp v19, v17 row_shr:2 row_mask:0xf bank_mask:0xf
	v_mov_b32_dpp v18, v16 row_shr:2 row_mask:0xf bank_mask:0xf
	v_cmp_lt_i64_e32 vcc, v[18:19], v[16:17]
	s_nop 1
	v_cndmask_b32_e32 v17, v17, v19, vcc
	v_cndmask_b32_e32 v16, v16, v18, vcc
	;; [unrolled: 7-line block ×4, first 2 shown]
	s_nop 0
	v_mov_b32_dpp v19, v17 row_bcast:15 row_mask:0xa bank_mask:0xf
	v_mov_b32_dpp v18, v16 row_bcast:15 row_mask:0xa bank_mask:0xf
	v_cmp_lt_i64_e32 vcc, v[18:19], v[16:17]
	s_nop 1
	v_cndmask_b32_e32 v17, v17, v19, vcc
	v_cndmask_b32_e32 v16, v16, v18, vcc
	v_cmp_gt_i64_e32 vcc, s[10:11], v[16:17]
	s_and_b64 s[4:5], s[0:1], vcc
	s_and_saveexec_b64 s[6:7], s[4:5]
	s_cbranch_execz .LBB98_29
; %bb.24:                               ;   in Loop: Header=BB98_10 Depth=1
	v_or_b32_e32 v11, s13, v17
	v_cmp_ne_u64_e32 vcc, 0, v[10:11]
                                        ; implicit-def: $vgpr18_vgpr19
	s_and_saveexec_b64 s[4:5], vcc
	s_xor_b64 s[36:37], exec, s[4:5]
	s_cbranch_execnz .LBB98_51
; %bb.25:                               ;   in Loop: Header=BB98_10 Depth=1
	s_andn2_saveexec_b64 s[4:5], s[36:37]
	s_cbranch_execnz .LBB98_52
.LBB98_26:                              ;   in Loop: Header=BB98_10 Depth=1
	s_or_b64 exec, exec, s[4:5]
	v_cmp_ge_i64_e32 vcc, v[18:19], v[14:15]
	s_and_saveexec_b64 s[4:5], vcc
	s_cbranch_execz .LBB98_28
.LBB98_27:                              ;   in Loop: Header=BB98_10 Depth=1
	v_lshl_add_u64 v[14:15], v[18:19], 0, s[16:17]
	s_waitcnt lgkmcnt(0)
	v_lshl_add_u64 v[20:21], v[12:13], 3, s[22:23]
	global_store_dwordx2 v[20:21], v[14:15], off
	v_lshl_add_u64 v[12:13], v[12:13], 0, 1
	v_lshl_add_u64 v[14:15], v[18:19], 0, 1
.LBB98_28:                              ;   in Loop: Header=BB98_10 Depth=1
	s_or_b64 exec, exec, s[4:5]
.LBB98_29:                              ;   in Loop: Header=BB98_10 Depth=1
	s_or_b64 exec, exec, s[6:7]
	ds_bpermute_b32 v16, v34, v16
	ds_bpermute_b32 v17, v34, v17
	s_waitcnt lgkmcnt(3)
	ds_bpermute_b32 v12, v34, v12
	s_waitcnt lgkmcnt(3)
	ds_bpermute_b32 v13, v34, v13
	s_and_b64 vcc, exec, s[2:3]
	s_cbranch_vccnz .LBB98_9
; %bb.30:                               ;   in Loop: Header=BB98_10 Depth=1
	s_waitcnt lgkmcnt(0)
	v_lshl_add_u64 v[18:19], s[26:27], 0, v[12:13]
	v_mov_b32_e32 v11, v13
	v_mul_lo_u32 v22, v19, s12
	v_mul_lo_u32 v23, v18, s13
	v_mad_u64_u32 v[18:19], s[4:5], v18, s12, 0
	v_mov_b32_e32 v20, v12
	v_mov_b32_e32 v21, v10
	v_add3_u32 v19, v19, v23, v22
	v_lshl_add_u64 v[22:23], s[26:27], 0, v[10:11]
	v_lshl_add_u64 v[20:21], v[22:23], 0, v[20:21]
	v_mul_lo_u32 v11, s12, v21
	v_mul_lo_u32 v22, s13, v20
	v_mad_u64_u32 v[20:21], s[4:5], s12, v20, v[0:1]
	v_add3_u32 v11, v22, v21, v11
	v_mov_b64_e32 v[22:23], s[8:9]
	v_mul_lo_u32 v11, s28, v11
	v_mul_lo_u32 v24, s29, v20
	v_mad_u64_u32 v[20:21], s[4:5], s28, v20, v[22:23]
	v_add3_u32 v21, v24, v21, v11
	s_mov_b64 s[36:37], 0
	v_mov_b64_e32 v[22:23], v[6:7]
	s_mov_b64 s[38:39], s[14:15]
	v_mov_b64_e32 v[24:25], v[8:9]
	s_branch .LBB98_34
.LBB98_31:                              ;   in Loop: Header=BB98_34 Depth=2
	s_or_b64 exec, exec, s[4:5]
	v_lshl_add_u64 v[28:29], v[28:29], 3, v[20:21]
.LBB98_32:                              ;   in Loop: Header=BB98_34 Depth=2
	global_load_dwordx2 v[26:27], v[24:25], off
	s_waitcnt vmcnt(0)
	global_store_dwordx2 v[28:29], v[26:27], off
.LBB98_33:                              ;   in Loop: Header=BB98_34 Depth=2
	s_or_b64 exec, exec, s[40:41]
	s_add_u32 s36, s36, 1
	s_addc_u32 s37, s37, 0
	s_add_u32 s38, s38, -1
	s_addc_u32 s39, s39, -1
	v_lshl_add_u64 v[24:25], v[24:25], 0, 8
	v_lshl_add_u64 v[20:21], v[20:21], 0, s[30:31]
	s_cmp_eq_u64 s[38:39], 0
	v_lshl_add_u64 v[22:23], v[22:23], 0, 8
	s_cbranch_scc1 .LBB98_9
.LBB98_34:                              ;   Parent Loop BB98_10 Depth=1
                                        ; =>  This Inner Loop Header: Depth=2
	global_load_dwordx2 v[26:27], v[22:23], off
	s_waitcnt vmcnt(0)
	v_cmp_gt_i64_e32 vcc, s[10:11], v[26:27]
	s_and_saveexec_b64 s[40:41], vcc
	s_cbranch_execz .LBB98_33
; %bb.35:                               ;   in Loop: Header=BB98_34 Depth=2
	v_or_b32_e32 v32, s13, v27
	v_mov_b32_e32 v11, v32
	v_cmp_ne_u64_e32 vcc, 0, v[10:11]
                                        ; implicit-def: $vgpr28_vgpr29
	s_and_saveexec_b64 s[4:5], vcc
	s_xor_b64 s[6:7], exec, s[4:5]
	s_cbranch_execz .LBB98_37
; %bb.36:                               ;   in Loop: Header=BB98_34 Depth=2
	s_ashr_i32 s42, s13, 31
	s_add_u32 s4, s12, s42
	s_mov_b32 s43, s42
	s_addc_u32 s5, s13, s42
	s_xor_b64 s[44:45], s[4:5], s[42:43]
	v_cvt_f32_u32_e32 v11, s44
	v_cvt_f32_u32_e32 v28, s45
	s_sub_u32 s4, 0, s44
	s_subb_u32 s5, 0, s45
	v_mov_b32_e32 v31, v10
	v_fmac_f32_e32 v11, 0x4f800000, v28
	v_rcp_f32_e32 v11, v11
	s_nop 0
	v_mul_f32_e32 v11, 0x5f7ffffc, v11
	v_mul_f32_e32 v28, 0x2f800000, v11
	v_trunc_f32_e32 v28, v28
	v_fmac_f32_e32 v11, 0xcf800000, v28
	v_cvt_u32_f32_e32 v33, v28
	v_cvt_u32_f32_e32 v11, v11
	v_mul_lo_u32 v28, s4, v33
	v_mul_hi_u32 v30, s4, v11
	v_mul_lo_u32 v29, s5, v11
	v_add_u32_e32 v28, v30, v28
	v_mul_lo_u32 v35, s4, v11
	v_add_u32_e32 v36, v28, v29
	v_mul_hi_u32 v29, v11, v36
	v_mul_lo_u32 v28, v11, v36
	v_mul_hi_u32 v30, v11, v35
	v_lshl_add_u64 v[28:29], v[30:31], 0, v[28:29]
	v_mul_hi_u32 v31, v33, v35
	v_mul_lo_u32 v35, v33, v35
	v_add_co_u32_e32 v28, vcc, v28, v35
	v_mul_hi_u32 v30, v33, v36
	s_nop 0
	v_addc_co_u32_e32 v28, vcc, v29, v31, vcc
	v_mov_b32_e32 v29, v10
	s_nop 0
	v_addc_co_u32_e32 v31, vcc, 0, v30, vcc
	v_mul_lo_u32 v30, v33, v36
	v_lshl_add_u64 v[28:29], v[28:29], 0, v[30:31]
	v_add_co_u32_e32 v11, vcc, v11, v28
	v_mul_lo_u32 v30, s4, v11
	s_nop 0
	v_addc_co_u32_e32 v33, vcc, v33, v29, vcc
	v_mul_lo_u32 v28, s4, v33
	v_mul_hi_u32 v29, s4, v11
	v_add_u32_e32 v28, v29, v28
	v_mul_lo_u32 v29, s5, v11
	v_add_u32_e32 v35, v28, v29
	v_mul_hi_u32 v37, v33, v30
	v_mul_lo_u32 v38, v33, v30
	v_mul_hi_u32 v29, v11, v35
	v_mul_lo_u32 v28, v11, v35
	v_mul_hi_u32 v30, v11, v30
	v_mov_b32_e32 v31, v10
	v_lshl_add_u64 v[28:29], v[30:31], 0, v[28:29]
	v_add_co_u32_e32 v28, vcc, v28, v38
	v_mul_hi_u32 v36, v33, v35
	s_nop 0
	v_addc_co_u32_e32 v28, vcc, v29, v37, vcc
	v_mul_lo_u32 v30, v33, v35
	s_nop 0
	v_addc_co_u32_e32 v31, vcc, 0, v36, vcc
	v_mov_b32_e32 v29, v10
	v_lshl_add_u64 v[28:29], v[28:29], 0, v[30:31]
	v_add_co_u32_e32 v11, vcc, v11, v28
	v_ashrrev_i32_e32 v28, 31, v27
	s_nop 0
	v_addc_co_u32_e32 v33, vcc, v33, v29, vcc
	v_mov_b32_e32 v29, v28
	v_lshl_add_u64 v[30:31], v[26:27], 0, v[28:29]
	v_xor_b32_e32 v35, v30, v28
	v_xor_b32_e32 v29, v31, v28
	v_mad_u64_u32 v[30:31], s[4:5], v35, v33, 0
	v_mul_hi_u32 v36, v35, v11
	v_mov_b32_e32 v37, v10
	v_lshl_add_u64 v[30:31], v[36:37], 0, v[30:31]
	v_mad_u64_u32 v[38:39], s[4:5], v29, v11, 0
	v_add_co_u32_e32 v11, vcc, v30, v38
	v_mad_u64_u32 v[36:37], s[4:5], v29, v33, 0
	s_nop 0
	v_addc_co_u32_e32 v30, vcc, v31, v39, vcc
	v_mov_b32_e32 v31, v10
	s_nop 0
	v_addc_co_u32_e32 v37, vcc, 0, v37, vcc
	v_lshl_add_u64 v[30:31], v[30:31], 0, v[36:37]
	v_mul_lo_u32 v11, s45, v30
	v_mul_lo_u32 v33, s44, v31
	v_mad_u64_u32 v[36:37], s[4:5], s44, v30, 0
	v_add3_u32 v11, v37, v33, v11
	v_sub_u32_e32 v33, v29, v11
	v_mov_b32_e32 v37, s45
	v_sub_co_u32_e32 v35, vcc, v35, v36
	v_lshl_add_u64 v[38:39], v[30:31], 0, 1
	s_nop 0
	v_subb_co_u32_e64 v33, s[4:5], v33, v37, vcc
	v_subrev_co_u32_e64 v36, s[4:5], s44, v35
	v_subb_co_u32_e32 v11, vcc, v29, v11, vcc
	s_nop 0
	v_subbrev_co_u32_e64 v33, s[4:5], 0, v33, s[4:5]
	v_cmp_le_u32_e64 s[4:5], s45, v33
	v_cmp_le_u32_e32 vcc, s45, v11
	s_nop 0
	v_cndmask_b32_e64 v37, 0, -1, s[4:5]
	v_cmp_le_u32_e64 s[4:5], s44, v36
	v_cndmask_b32_e64 v29, 0, -1, vcc
	v_cmp_le_u32_e32 vcc, s44, v35
	v_cndmask_b32_e64 v36, 0, -1, s[4:5]
	v_cmp_eq_u32_e64 s[4:5], s45, v33
	v_cndmask_b32_e64 v35, 0, -1, vcc
	v_cmp_eq_u32_e32 vcc, s45, v11
	v_cndmask_b32_e64 v33, v37, v36, s[4:5]
	v_lshl_add_u64 v[36:37], v[30:31], 0, 2
	v_cmp_ne_u32_e64 s[4:5], 0, v33
	v_cndmask_b32_e32 v11, v29, v35, vcc
	v_cmp_ne_u32_e32 vcc, 0, v11
	v_cndmask_b32_e64 v29, v38, v36, s[4:5]
	v_cndmask_b32_e64 v33, v39, v37, s[4:5]
	v_cndmask_b32_e32 v29, v30, v29, vcc
	v_xor_b32_e32 v30, s42, v28
	v_cndmask_b32_e32 v11, v31, v33, vcc
	v_xor_b32_e32 v28, v29, v30
	v_xor_b32_e32 v11, v11, v30
	v_sub_co_u32_e32 v28, vcc, v28, v30
	s_nop 1
	v_subb_co_u32_e32 v29, vcc, v11, v30, vcc
.LBB98_37:                              ;   in Loop: Header=BB98_34 Depth=2
	s_andn2_saveexec_b64 s[4:5], s[6:7]
	s_cbranch_execz .LBB98_39
; %bb.38:                               ;   in Loop: Header=BB98_34 Depth=2
	v_cvt_f32_u32_e32 v11, s12
	s_sub_i32 s6, 0, s12
	v_rcp_iflag_f32_e32 v11, v11
	s_nop 0
	v_mul_f32_e32 v11, 0x4f7ffffe, v11
	v_cvt_u32_f32_e32 v11, v11
	v_mul_lo_u32 v28, s6, v11
	v_mul_hi_u32 v28, v11, v28
	v_add_u32_e32 v11, v11, v28
	v_mul_hi_u32 v11, v26, v11
	v_mul_lo_u32 v28, v11, s12
	v_sub_u32_e32 v28, v26, v28
	v_add_u32_e32 v29, 1, v11
	v_subrev_u32_e32 v30, s12, v28
	v_cmp_le_u32_e32 vcc, s12, v28
	s_nop 1
	v_cndmask_b32_e32 v28, v28, v30, vcc
	v_cndmask_b32_e32 v11, v11, v29, vcc
	v_add_u32_e32 v29, 1, v11
	v_cmp_le_u32_e32 vcc, s12, v28
	s_nop 1
	v_cndmask_b32_e32 v28, v11, v29, vcc
	v_mov_b32_e32 v29, v10
.LBB98_39:                              ;   in Loop: Header=BB98_34 Depth=2
	s_or_b64 exec, exec, s[4:5]
	v_or_b32_e32 v11, s13, v17
	v_cmp_ne_u64_e32 vcc, 0, v[10:11]
                                        ; implicit-def: $vgpr30_vgpr31
	s_and_saveexec_b64 s[4:5], vcc
	s_xor_b64 s[6:7], exec, s[4:5]
	s_cbranch_execnz .LBB98_42
; %bb.40:                               ;   in Loop: Header=BB98_34 Depth=2
	s_andn2_saveexec_b64 s[4:5], s[6:7]
	s_cbranch_execnz .LBB98_43
.LBB98_41:                              ;   in Loop: Header=BB98_34 Depth=2
	s_or_b64 exec, exec, s[4:5]
	v_cmp_eq_u64_e32 vcc, v[28:29], v[30:31]
	s_and_b64 exec, exec, vcc
	s_cbranch_execz .LBB98_33
	s_branch .LBB98_44
.LBB98_42:                              ;   in Loop: Header=BB98_34 Depth=2
	s_ashr_i32 s42, s13, 31
	s_add_u32 s4, s12, s42
	s_mov_b32 s43, s42
	s_addc_u32 s5, s13, s42
	s_xor_b64 s[44:45], s[4:5], s[42:43]
	v_cvt_f32_u32_e32 v11, s44
	v_cvt_f32_u32_e32 v30, s45
	s_sub_u32 s4, 0, s44
	s_subb_u32 s5, 0, s45
	v_mov_b32_e32 v37, v10
	v_fmac_f32_e32 v11, 0x4f800000, v30
	v_rcp_f32_e32 v11, v11
	s_nop 0
	v_mul_f32_e32 v11, 0x5f7ffffc, v11
	v_mul_f32_e32 v30, 0x2f800000, v11
	v_trunc_f32_e32 v30, v30
	v_fmac_f32_e32 v11, 0xcf800000, v30
	v_cvt_u32_f32_e32 v33, v30
	v_cvt_u32_f32_e32 v11, v11
	v_mul_lo_u32 v30, s4, v33
	v_mul_hi_u32 v35, s4, v11
	v_mul_lo_u32 v31, s5, v11
	v_add_u32_e32 v30, v35, v30
	v_mul_lo_u32 v38, s4, v11
	v_add_u32_e32 v35, v30, v31
	v_mul_hi_u32 v31, v11, v35
	v_mul_lo_u32 v30, v11, v35
	v_mul_hi_u32 v36, v11, v38
	v_lshl_add_u64 v[30:31], v[36:37], 0, v[30:31]
	v_mul_hi_u32 v37, v33, v38
	v_mul_lo_u32 v38, v33, v38
	v_add_co_u32_e32 v30, vcc, v30, v38
	v_mul_hi_u32 v36, v33, v35
	s_nop 0
	v_addc_co_u32_e32 v30, vcc, v31, v37, vcc
	v_mov_b32_e32 v31, v10
	s_nop 0
	v_addc_co_u32_e32 v37, vcc, 0, v36, vcc
	v_mul_lo_u32 v36, v33, v35
	v_lshl_add_u64 v[30:31], v[30:31], 0, v[36:37]
	v_add_co_u32_e32 v11, vcc, v11, v30
	v_mul_lo_u32 v36, s4, v11
	s_nop 0
	v_addc_co_u32_e32 v33, vcc, v33, v31, vcc
	v_mul_lo_u32 v30, s4, v33
	v_mul_hi_u32 v31, s4, v11
	v_add_u32_e32 v30, v31, v30
	v_mul_lo_u32 v31, s5, v11
	v_add_u32_e32 v35, v30, v31
	v_mul_hi_u32 v39, v33, v36
	v_mul_lo_u32 v40, v33, v36
	v_mul_hi_u32 v31, v11, v35
	v_mul_lo_u32 v30, v11, v35
	v_mul_hi_u32 v36, v11, v36
	v_mov_b32_e32 v37, v10
	v_lshl_add_u64 v[30:31], v[36:37], 0, v[30:31]
	v_add_co_u32_e32 v30, vcc, v30, v40
	v_mul_hi_u32 v38, v33, v35
	s_nop 0
	v_addc_co_u32_e32 v30, vcc, v31, v39, vcc
	v_mul_lo_u32 v36, v33, v35
	s_nop 0
	v_addc_co_u32_e32 v37, vcc, 0, v38, vcc
	v_mov_b32_e32 v31, v10
	v_lshl_add_u64 v[30:31], v[30:31], 0, v[36:37]
	v_add_co_u32_e32 v11, vcc, v11, v30
	v_ashrrev_i32_e32 v30, 31, v17
	s_nop 0
	v_addc_co_u32_e32 v33, vcc, v33, v31, vcc
	v_mov_b32_e32 v31, v30
	v_lshl_add_u64 v[36:37], v[16:17], 0, v[30:31]
	v_xor_b32_e32 v35, v36, v30
	v_xor_b32_e32 v31, v37, v30
	v_mad_u64_u32 v[36:37], s[4:5], v35, v33, 0
	v_mul_hi_u32 v38, v35, v11
	v_mov_b32_e32 v39, v10
	v_lshl_add_u64 v[36:37], v[38:39], 0, v[36:37]
	v_mad_u64_u32 v[40:41], s[4:5], v31, v11, 0
	v_add_co_u32_e32 v11, vcc, v36, v40
	v_mad_u64_u32 v[38:39], s[4:5], v31, v33, 0
	s_nop 0
	v_addc_co_u32_e32 v36, vcc, v37, v41, vcc
	v_mov_b32_e32 v37, v10
	s_nop 0
	v_addc_co_u32_e32 v39, vcc, 0, v39, vcc
	v_lshl_add_u64 v[36:37], v[36:37], 0, v[38:39]
	v_mul_lo_u32 v11, s45, v36
	v_mul_lo_u32 v33, s44, v37
	v_mad_u64_u32 v[38:39], s[4:5], s44, v36, 0
	v_add3_u32 v11, v39, v33, v11
	v_sub_u32_e32 v33, v31, v11
	v_mov_b32_e32 v39, s45
	v_sub_co_u32_e32 v35, vcc, v35, v38
	v_lshl_add_u64 v[40:41], v[36:37], 0, 1
	s_nop 0
	v_subb_co_u32_e64 v33, s[4:5], v33, v39, vcc
	v_subrev_co_u32_e64 v38, s[4:5], s44, v35
	v_subb_co_u32_e32 v11, vcc, v31, v11, vcc
	s_nop 0
	v_subbrev_co_u32_e64 v33, s[4:5], 0, v33, s[4:5]
	v_cmp_le_u32_e64 s[4:5], s45, v33
	v_cmp_le_u32_e32 vcc, s45, v11
	s_nop 0
	v_cndmask_b32_e64 v39, 0, -1, s[4:5]
	v_cmp_le_u32_e64 s[4:5], s44, v38
	v_cndmask_b32_e64 v31, 0, -1, vcc
	v_cmp_le_u32_e32 vcc, s44, v35
	v_cndmask_b32_e64 v38, 0, -1, s[4:5]
	v_cmp_eq_u32_e64 s[4:5], s45, v33
	v_cndmask_b32_e64 v35, 0, -1, vcc
	v_cmp_eq_u32_e32 vcc, s45, v11
	v_cndmask_b32_e64 v33, v39, v38, s[4:5]
	v_lshl_add_u64 v[38:39], v[36:37], 0, 2
	v_cmp_ne_u32_e64 s[4:5], 0, v33
	v_cndmask_b32_e32 v11, v31, v35, vcc
	v_cmp_ne_u32_e32 vcc, 0, v11
	v_cndmask_b32_e64 v33, v41, v39, s[4:5]
	v_cndmask_b32_e64 v31, v40, v38, s[4:5]
	v_cndmask_b32_e32 v11, v37, v33, vcc
	v_cndmask_b32_e32 v31, v36, v31, vcc
	v_xor_b32_e32 v33, s42, v30
	v_xor_b32_e32 v30, v31, v33
	;; [unrolled: 1-line block ×3, first 2 shown]
	v_sub_co_u32_e32 v30, vcc, v30, v33
	s_nop 1
	v_subb_co_u32_e32 v31, vcc, v11, v33, vcc
	s_andn2_saveexec_b64 s[4:5], s[6:7]
	s_cbranch_execz .LBB98_41
.LBB98_43:                              ;   in Loop: Header=BB98_34 Depth=2
	v_cvt_f32_u32_e32 v11, s12
	s_sub_i32 s6, 0, s12
	v_rcp_iflag_f32_e32 v11, v11
	s_nop 0
	v_mul_f32_e32 v11, 0x4f7ffffe, v11
	v_cvt_u32_f32_e32 v11, v11
	v_mul_lo_u32 v30, s6, v11
	v_mul_hi_u32 v30, v11, v30
	v_add_u32_e32 v11, v11, v30
	v_mul_hi_u32 v11, v16, v11
	v_mul_lo_u32 v30, v11, s12
	v_sub_u32_e32 v30, v16, v30
	v_add_u32_e32 v31, 1, v11
	v_subrev_u32_e32 v33, s12, v30
	v_cmp_le_u32_e32 vcc, s12, v30
	s_nop 1
	v_cndmask_b32_e32 v30, v30, v33, vcc
	v_cndmask_b32_e32 v11, v11, v31, vcc
	v_add_u32_e32 v31, 1, v11
	v_cmp_le_u32_e32 vcc, s12, v30
	s_nop 1
	v_cndmask_b32_e32 v30, v11, v31, vcc
	v_mov_b32_e32 v31, v10
	s_or_b64 exec, exec, s[4:5]
	v_cmp_eq_u64_e32 vcc, v[28:29], v[30:31]
	s_and_b64 exec, exec, vcc
	s_cbranch_execz .LBB98_33
.LBB98_44:                              ;   in Loop: Header=BB98_34 Depth=2
	s_and_b64 vcc, exec, s[24:25]
	s_cbranch_vccz .LBB98_46
; %bb.45:                               ;   in Loop: Header=BB98_34 Depth=2
	v_mul_lo_u32 v11, v29, s12
	v_mul_lo_u32 v30, v28, s13
	v_mad_u64_u32 v[28:29], s[4:5], v28, s12, 0
	v_add3_u32 v11, v29, v30, v11
	v_sub_co_u32_e32 v28, vcc, v26, v28
	v_mov_b32_e32 v31, v10
	s_nop 0
	v_subb_co_u32_e32 v29, vcc, v27, v11, vcc
	v_lshl_add_u64 v[28:29], v[28:29], 0, v[18:19]
	v_mul_lo_u32 v11, v29, s12
	v_mul_lo_u32 v30, v28, s13
	v_mad_u64_u32 v[28:29], s[4:5], v28, s12, 0
	s_lshl_b64 s[4:5], s[36:37], 8
	s_add_u32 s4, s4, s8
	v_add3_u32 v29, v29, v30, v11
	s_addc_u32 s5, s5, s9
	v_lshl_add_u64 v[28:29], v[28:29], 3, s[4:5]
	v_lshlrev_b32_e32 v30, 3, v0
	v_lshl_add_u64 v[28:29], v[28:29], 0, v[30:31]
	s_cbranch_execnz .LBB98_32
	s_branch .LBB98_47
.LBB98_46:                              ;   in Loop: Header=BB98_34 Depth=2
                                        ; implicit-def: $vgpr28_vgpr29
.LBB98_47:                              ;   in Loop: Header=BB98_34 Depth=2
	v_mov_b32_e32 v11, v32
	v_cmp_ne_u64_e32 vcc, 0, v[10:11]
                                        ; implicit-def: $vgpr28_vgpr29
	s_and_saveexec_b64 s[4:5], vcc
	s_xor_b64 s[42:43], exec, s[4:5]
	s_cbranch_execz .LBB98_49
; %bb.48:                               ;   in Loop: Header=BB98_34 Depth=2
	s_ashr_i32 s4, s13, 31
	s_add_u32 s6, s12, s4
	s_mov_b32 s5, s4
	s_addc_u32 s7, s13, s4
	s_xor_b64 s[44:45], s[6:7], s[4:5]
	v_cvt_f32_u32_e32 v11, s44
	v_cvt_f32_u32_e32 v28, s45
	s_sub_u32 s4, 0, s44
	s_subb_u32 s5, 0, s45
	v_mov_b32_e32 v31, v10
	v_fmac_f32_e32 v11, 0x4f800000, v28
	v_rcp_f32_e32 v11, v11
	s_nop 0
	v_mul_f32_e32 v11, 0x5f7ffffc, v11
	v_mul_f32_e32 v28, 0x2f800000, v11
	v_trunc_f32_e32 v28, v28
	v_fmac_f32_e32 v11, 0xcf800000, v28
	v_cvt_u32_f32_e32 v32, v28
	v_cvt_u32_f32_e32 v11, v11
	v_mul_lo_u32 v28, s4, v32
	v_mul_hi_u32 v30, s4, v11
	v_mul_lo_u32 v29, s5, v11
	v_add_u32_e32 v28, v30, v28
	v_mul_lo_u32 v33, s4, v11
	v_add_u32_e32 v35, v28, v29
	v_mul_hi_u32 v29, v11, v35
	v_mul_lo_u32 v28, v11, v35
	v_mul_hi_u32 v30, v11, v33
	v_lshl_add_u64 v[28:29], v[30:31], 0, v[28:29]
	v_mul_hi_u32 v31, v32, v33
	v_mul_lo_u32 v33, v32, v33
	v_add_co_u32_e32 v28, vcc, v28, v33
	v_mul_hi_u32 v30, v32, v35
	s_nop 0
	v_addc_co_u32_e32 v28, vcc, v29, v31, vcc
	v_mov_b32_e32 v29, v10
	s_nop 0
	v_addc_co_u32_e32 v31, vcc, 0, v30, vcc
	v_mul_lo_u32 v30, v32, v35
	v_lshl_add_u64 v[28:29], v[28:29], 0, v[30:31]
	v_add_co_u32_e32 v11, vcc, v11, v28
	v_mul_lo_u32 v30, s4, v11
	s_nop 0
	v_addc_co_u32_e32 v32, vcc, v32, v29, vcc
	v_mul_lo_u32 v28, s4, v32
	v_mul_hi_u32 v29, s4, v11
	v_add_u32_e32 v28, v29, v28
	v_mul_lo_u32 v29, s5, v11
	v_add_u32_e32 v33, v28, v29
	v_mul_hi_u32 v36, v32, v30
	v_mul_lo_u32 v37, v32, v30
	v_mul_hi_u32 v29, v11, v33
	v_mul_lo_u32 v28, v11, v33
	v_mul_hi_u32 v30, v11, v30
	v_mov_b32_e32 v31, v10
	v_lshl_add_u64 v[28:29], v[30:31], 0, v[28:29]
	v_add_co_u32_e32 v28, vcc, v28, v37
	v_mul_hi_u32 v35, v32, v33
	s_nop 0
	v_addc_co_u32_e32 v28, vcc, v29, v36, vcc
	v_mul_lo_u32 v30, v32, v33
	s_nop 0
	v_addc_co_u32_e32 v31, vcc, 0, v35, vcc
	v_mov_b32_e32 v29, v10
	v_lshl_add_u64 v[28:29], v[28:29], 0, v[30:31]
	v_ashrrev_i32_e32 v30, 31, v27
	v_mov_b32_e32 v31, v30
	v_add_co_u32_e32 v11, vcc, v11, v28
	v_lshl_add_u64 v[26:27], v[26:27], 0, v[30:31]
	s_nop 0
	v_addc_co_u32_e32 v32, vcc, v32, v29, vcc
	v_xor_b32_e32 v35, v26, v30
	v_xor_b32_e32 v31, v27, v30
	v_mad_u64_u32 v[26:27], s[4:5], v35, v32, 0
	v_mul_hi_u32 v28, v35, v11
	v_mov_b32_e32 v29, v10
	v_lshl_add_u64 v[26:27], v[28:29], 0, v[26:27]
	v_mad_u64_u32 v[28:29], s[4:5], v31, v32, 0
	v_mad_u64_u32 v[32:33], s[4:5], v31, v11, 0
	v_add_co_u32_e32 v11, vcc, v26, v32
	s_nop 1
	v_addc_co_u32_e32 v26, vcc, v27, v33, vcc
	v_mov_b32_e32 v27, v10
	s_nop 0
	v_addc_co_u32_e32 v29, vcc, 0, v29, vcc
	v_lshl_add_u64 v[26:27], v[26:27], 0, v[28:29]
	v_mul_lo_u32 v11, s45, v26
	v_mul_lo_u32 v28, s44, v27
	v_mad_u64_u32 v[26:27], s[4:5], s44, v26, 0
	v_add3_u32 v11, v27, v28, v11
	v_sub_u32_e32 v27, v31, v11
	v_mov_b32_e32 v28, s45
	v_sub_co_u32_e32 v26, vcc, v35, v26
	s_nop 1
	v_subb_co_u32_e64 v27, s[4:5], v27, v28, vcc
	v_subrev_co_u32_e64 v29, s[4:5], s44, v26
	v_subb_co_u32_e32 v11, vcc, v31, v11, vcc
	s_nop 0
	v_subbrev_co_u32_e64 v32, s[6:7], 0, v27, s[4:5]
	v_cmp_le_u32_e64 s[6:7], s45, v32
	v_subb_co_u32_e64 v27, s[4:5], v27, v28, s[4:5]
	s_nop 0
	v_cndmask_b32_e64 v33, 0, -1, s[6:7]
	v_cmp_le_u32_e64 s[6:7], s44, v29
	v_subrev_co_u32_e64 v28, s[4:5], s44, v29
	s_nop 0
	v_cndmask_b32_e64 v35, 0, -1, s[6:7]
	v_cmp_eq_u32_e64 s[6:7], s45, v32
	v_subbrev_co_u32_e64 v27, s[4:5], 0, v27, s[4:5]
	s_nop 0
	v_cndmask_b32_e64 v33, v33, v35, s[6:7]
	v_cmp_le_u32_e32 vcc, s45, v11
	v_cmp_ne_u32_e64 s[4:5], 0, v33
	s_nop 0
	v_cndmask_b32_e64 v31, 0, -1, vcc
	v_cmp_le_u32_e32 vcc, s44, v26
	v_cndmask_b32_e64 v27, v32, v27, s[4:5]
	s_nop 0
	v_cndmask_b32_e64 v32, 0, -1, vcc
	v_cmp_eq_u32_e32 vcc, s45, v11
	s_nop 1
	v_cndmask_b32_e32 v31, v31, v32, vcc
	v_cmp_ne_u32_e32 vcc, 0, v31
	s_nop 1
	v_cndmask_b32_e32 v11, v11, v27, vcc
	v_cndmask_b32_e64 v27, v29, v28, s[4:5]
	v_cndmask_b32_e32 v26, v26, v27, vcc
	v_xor_b32_e32 v26, v26, v30
	v_xor_b32_e32 v11, v11, v30
	v_sub_co_u32_e32 v28, vcc, v26, v30
                                        ; implicit-def: $vgpr26_vgpr27
	s_nop 1
	v_subb_co_u32_e32 v29, vcc, v11, v30, vcc
.LBB98_49:                              ;   in Loop: Header=BB98_34 Depth=2
	s_andn2_saveexec_b64 s[4:5], s[42:43]
	s_cbranch_execz .LBB98_31
; %bb.50:                               ;   in Loop: Header=BB98_34 Depth=2
	v_cvt_f32_u32_e32 v11, s12
	s_sub_i32 s6, 0, s12
	v_mov_b32_e32 v29, v10
	v_rcp_iflag_f32_e32 v11, v11
	s_nop 0
	v_mul_f32_e32 v11, 0x4f7ffffe, v11
	v_cvt_u32_f32_e32 v11, v11
	v_mul_lo_u32 v27, s6, v11
	v_mul_hi_u32 v27, v11, v27
	v_add_u32_e32 v11, v11, v27
	v_mul_hi_u32 v11, v26, v11
	v_mul_lo_u32 v11, v11, s12
	v_sub_u32_e32 v11, v26, v11
	v_subrev_u32_e32 v26, s12, v11
	v_cmp_le_u32_e32 vcc, s12, v11
	s_nop 1
	v_cndmask_b32_e32 v11, v11, v26, vcc
	v_subrev_u32_e32 v26, s12, v11
	v_cmp_le_u32_e32 vcc, s12, v11
	s_nop 1
	v_cndmask_b32_e32 v28, v11, v26, vcc
	s_branch .LBB98_31
.LBB98_51:                              ;   in Loop: Header=BB98_10 Depth=1
	s_ashr_i32 s38, s13, 31
	s_add_u32 s4, s12, s38
	s_mov_b32 s39, s38
	s_addc_u32 s5, s13, s38
	s_xor_b64 s[40:41], s[4:5], s[38:39]
	v_cvt_f32_u32_e32 v11, s40
	v_cvt_f32_u32_e32 v18, s41
	s_sub_u32 s4, 0, s40
	s_subb_u32 s5, 0, s41
	v_mov_b32_e32 v21, v10
	v_fmac_f32_e32 v11, 0x4f800000, v18
	v_rcp_f32_e32 v11, v11
	s_nop 0
	v_mul_f32_e32 v11, 0x5f7ffffc, v11
	v_mul_f32_e32 v18, 0x2f800000, v11
	v_trunc_f32_e32 v18, v18
	v_fmac_f32_e32 v11, 0xcf800000, v18
	v_cvt_u32_f32_e32 v22, v18
	v_cvt_u32_f32_e32 v11, v11
	v_mul_lo_u32 v18, s4, v22
	v_mul_hi_u32 v20, s4, v11
	v_mul_lo_u32 v19, s5, v11
	v_add_u32_e32 v18, v20, v18
	v_mul_lo_u32 v23, s4, v11
	v_add_u32_e32 v24, v18, v19
	v_mul_hi_u32 v19, v11, v24
	v_mul_lo_u32 v18, v11, v24
	v_mul_hi_u32 v20, v11, v23
	v_lshl_add_u64 v[18:19], v[20:21], 0, v[18:19]
	v_mul_hi_u32 v21, v22, v23
	v_mul_lo_u32 v23, v22, v23
	v_add_co_u32_e32 v18, vcc, v18, v23
	v_mul_hi_u32 v20, v22, v24
	s_nop 0
	v_addc_co_u32_e32 v18, vcc, v19, v21, vcc
	v_mov_b32_e32 v19, v10
	s_nop 0
	v_addc_co_u32_e32 v21, vcc, 0, v20, vcc
	v_mul_lo_u32 v20, v22, v24
	v_lshl_add_u64 v[18:19], v[18:19], 0, v[20:21]
	v_add_co_u32_e32 v11, vcc, v11, v18
	v_mul_lo_u32 v20, s4, v11
	s_nop 0
	v_addc_co_u32_e32 v22, vcc, v22, v19, vcc
	v_mul_lo_u32 v18, s4, v22
	v_mul_hi_u32 v19, s4, v11
	v_add_u32_e32 v18, v19, v18
	v_mul_lo_u32 v19, s5, v11
	v_add_u32_e32 v23, v18, v19
	v_mul_hi_u32 v25, v22, v20
	v_mul_lo_u32 v26, v22, v20
	v_mul_hi_u32 v19, v11, v23
	v_mul_lo_u32 v18, v11, v23
	v_mul_hi_u32 v20, v11, v20
	v_mov_b32_e32 v21, v10
	v_lshl_add_u64 v[18:19], v[20:21], 0, v[18:19]
	v_add_co_u32_e32 v18, vcc, v18, v26
	v_mul_hi_u32 v24, v22, v23
	s_nop 0
	v_addc_co_u32_e32 v18, vcc, v19, v25, vcc
	v_mul_lo_u32 v20, v22, v23
	s_nop 0
	v_addc_co_u32_e32 v21, vcc, 0, v24, vcc
	v_mov_b32_e32 v19, v10
	v_lshl_add_u64 v[18:19], v[18:19], 0, v[20:21]
	v_add_co_u32_e32 v11, vcc, v11, v18
	v_ashrrev_i32_e32 v18, 31, v17
	s_nop 0
	v_addc_co_u32_e32 v24, vcc, v22, v19, vcc
	v_mov_b32_e32 v19, v18
	v_lshl_add_u64 v[20:21], v[16:17], 0, v[18:19]
	v_xor_b32_e32 v26, v20, v18
	v_xor_b32_e32 v19, v21, v18
	v_mad_u64_u32 v[20:21], s[4:5], v26, v24, 0
	v_mul_hi_u32 v22, v26, v11
	v_mov_b32_e32 v23, v10
	v_lshl_add_u64 v[20:21], v[22:23], 0, v[20:21]
	v_mad_u64_u32 v[22:23], s[4:5], v19, v24, 0
	v_mad_u64_u32 v[24:25], s[4:5], v19, v11, 0
	v_add_co_u32_e32 v11, vcc, v20, v24
	s_nop 1
	v_addc_co_u32_e32 v20, vcc, v21, v25, vcc
	v_mov_b32_e32 v21, v10
	s_nop 0
	v_addc_co_u32_e32 v23, vcc, 0, v23, vcc
	v_lshl_add_u64 v[20:21], v[20:21], 0, v[22:23]
	v_mul_lo_u32 v11, s41, v20
	v_mul_lo_u32 v24, s40, v21
	v_mad_u64_u32 v[22:23], s[4:5], s40, v20, 0
	v_add3_u32 v11, v23, v24, v11
	v_sub_u32_e32 v23, v19, v11
	v_mov_b32_e32 v24, s41
	v_sub_co_u32_e32 v26, vcc, v26, v22
	s_nop 1
	v_subb_co_u32_e64 v22, s[4:5], v23, v24, vcc
	v_subrev_co_u32_e64 v23, s[4:5], s40, v26
	v_subb_co_u32_e32 v11, vcc, v19, v11, vcc
	s_nop 0
	v_subbrev_co_u32_e64 v22, s[4:5], 0, v22, s[4:5]
	v_cmp_le_u32_e64 s[4:5], s41, v22
	v_cmp_le_u32_e32 vcc, s41, v11
	s_nop 0
	v_cndmask_b32_e64 v24, 0, -1, s[4:5]
	v_cmp_le_u32_e64 s[4:5], s40, v23
	v_cndmask_b32_e64 v19, 0, -1, vcc
	v_cmp_le_u32_e32 vcc, s40, v26
	v_cndmask_b32_e64 v23, 0, -1, s[4:5]
	v_cmp_eq_u32_e64 s[4:5], s41, v22
	s_nop 1
	v_cndmask_b32_e64 v27, v24, v23, s[4:5]
	v_lshl_add_u64 v[22:23], v[20:21], 0, 2
	v_lshl_add_u64 v[24:25], v[20:21], 0, 1
	v_cmp_ne_u32_e64 s[4:5], 0, v27
	s_nop 1
	v_cndmask_b32_e64 v23, v25, v23, s[4:5]
	v_cndmask_b32_e64 v25, 0, -1, vcc
	v_cmp_eq_u32_e32 vcc, s41, v11
	s_nop 1
	v_cndmask_b32_e32 v11, v19, v25, vcc
	v_cmp_ne_u32_e32 vcc, 0, v11
	v_cndmask_b32_e64 v19, v24, v22, s[4:5]
	s_nop 0
	v_cndmask_b32_e32 v19, v20, v19, vcc
	v_xor_b32_e32 v20, s38, v18
	v_cndmask_b32_e32 v11, v21, v23, vcc
	v_xor_b32_e32 v18, v19, v20
	v_xor_b32_e32 v11, v11, v20
	v_sub_co_u32_e32 v18, vcc, v18, v20
	s_nop 1
	v_subb_co_u32_e32 v19, vcc, v11, v20, vcc
	s_andn2_saveexec_b64 s[4:5], s[36:37]
	s_cbranch_execz .LBB98_26
.LBB98_52:                              ;   in Loop: Header=BB98_10 Depth=1
	v_cvt_f32_u32_e32 v11, s12
	s_sub_i32 s36, 0, s12
	v_rcp_iflag_f32_e32 v11, v11
	s_nop 0
	v_mul_f32_e32 v11, 0x4f7ffffe, v11
	v_cvt_u32_f32_e32 v11, v11
	v_mul_lo_u32 v18, s36, v11
	v_mul_hi_u32 v18, v11, v18
	v_add_u32_e32 v11, v11, v18
	v_mul_hi_u32 v11, v16, v11
	v_mul_lo_u32 v18, v11, s12
	v_sub_u32_e32 v18, v16, v18
	v_add_u32_e32 v19, 1, v11
	v_subrev_u32_e32 v20, s12, v18
	v_cmp_le_u32_e32 vcc, s12, v18
	s_nop 1
	v_cndmask_b32_e32 v18, v18, v20, vcc
	v_cndmask_b32_e32 v11, v11, v19, vcc
	v_add_u32_e32 v19, 1, v11
	v_cmp_le_u32_e32 vcc, s12, v18
	s_nop 1
	v_cndmask_b32_e32 v18, v11, v19, vcc
	v_mov_b32_e32 v19, v10
	s_or_b64 exec, exec, s[4:5]
	v_cmp_ge_i64_e32 vcc, v[18:19], v[14:15]
	s_and_saveexec_b64 s[4:5], vcc
	s_cbranch_execnz .LBB98_27
	s_branch .LBB98_28
.LBB98_53:
	s_endpgm
	.section	.rodata,"a",@progbits
	.p2align	6, 0x0
	.amdhsa_kernel _ZN9rocsparseL21csr2bsr_65_inf_kernelILj32E21rocsparse_complex_numIfEilEEv20rocsparse_direction_T2_S4_S4_S4_S4_S4_21rocsparse_index_base_PKT0_PKT1_PKS4_S5_PS6_PS9_PS4_SF_SG_SE_
		.amdhsa_group_segment_fixed_size 0
		.amdhsa_private_segment_fixed_size 0
		.amdhsa_kernarg_size 144
		.amdhsa_user_sgpr_count 2
		.amdhsa_user_sgpr_dispatch_ptr 0
		.amdhsa_user_sgpr_queue_ptr 0
		.amdhsa_user_sgpr_kernarg_segment_ptr 1
		.amdhsa_user_sgpr_dispatch_id 0
		.amdhsa_user_sgpr_kernarg_preload_length 0
		.amdhsa_user_sgpr_kernarg_preload_offset 0
		.amdhsa_user_sgpr_private_segment_size 0
		.amdhsa_uses_dynamic_stack 0
		.amdhsa_enable_private_segment 0
		.amdhsa_system_sgpr_workgroup_id_x 1
		.amdhsa_system_sgpr_workgroup_id_y 0
		.amdhsa_system_sgpr_workgroup_id_z 0
		.amdhsa_system_sgpr_workgroup_info 0
		.amdhsa_system_vgpr_workitem_id 0
		.amdhsa_next_free_vgpr 42
		.amdhsa_next_free_sgpr 50
		.amdhsa_accum_offset 44
		.amdhsa_reserve_vcc 1
		.amdhsa_float_round_mode_32 0
		.amdhsa_float_round_mode_16_64 0
		.amdhsa_float_denorm_mode_32 3
		.amdhsa_float_denorm_mode_16_64 3
		.amdhsa_dx10_clamp 1
		.amdhsa_ieee_mode 1
		.amdhsa_fp16_overflow 0
		.amdhsa_tg_split 0
		.amdhsa_exception_fp_ieee_invalid_op 0
		.amdhsa_exception_fp_denorm_src 0
		.amdhsa_exception_fp_ieee_div_zero 0
		.amdhsa_exception_fp_ieee_overflow 0
		.amdhsa_exception_fp_ieee_underflow 0
		.amdhsa_exception_fp_ieee_inexact 0
		.amdhsa_exception_int_div_zero 0
	.end_amdhsa_kernel
	.section	.text._ZN9rocsparseL21csr2bsr_65_inf_kernelILj32E21rocsparse_complex_numIfEilEEv20rocsparse_direction_T2_S4_S4_S4_S4_S4_21rocsparse_index_base_PKT0_PKT1_PKS4_S5_PS6_PS9_PS4_SF_SG_SE_,"axG",@progbits,_ZN9rocsparseL21csr2bsr_65_inf_kernelILj32E21rocsparse_complex_numIfEilEEv20rocsparse_direction_T2_S4_S4_S4_S4_S4_21rocsparse_index_base_PKT0_PKT1_PKS4_S5_PS6_PS9_PS4_SF_SG_SE_,comdat
.Lfunc_end98:
	.size	_ZN9rocsparseL21csr2bsr_65_inf_kernelILj32E21rocsparse_complex_numIfEilEEv20rocsparse_direction_T2_S4_S4_S4_S4_S4_21rocsparse_index_base_PKT0_PKT1_PKS4_S5_PS6_PS9_PS4_SF_SG_SE_, .Lfunc_end98-_ZN9rocsparseL21csr2bsr_65_inf_kernelILj32E21rocsparse_complex_numIfEilEEv20rocsparse_direction_T2_S4_S4_S4_S4_S4_21rocsparse_index_base_PKT0_PKT1_PKS4_S5_PS6_PS9_PS4_SF_SG_SE_
                                        ; -- End function
	.section	.AMDGPU.csdata,"",@progbits
; Kernel info:
; codeLenInByte = 5488
; NumSgprs: 56
; NumVgprs: 42
; NumAgprs: 0
; TotalNumVgprs: 42
; ScratchSize: 0
; MemoryBound: 1
; FloatMode: 240
; IeeeMode: 1
; LDSByteSize: 0 bytes/workgroup (compile time only)
; SGPRBlocks: 6
; VGPRBlocks: 5
; NumSGPRsForWavesPerEU: 56
; NumVGPRsForWavesPerEU: 42
; AccumOffset: 44
; Occupancy: 8
; WaveLimiterHint : 1
; COMPUTE_PGM_RSRC2:SCRATCH_EN: 0
; COMPUTE_PGM_RSRC2:USER_SGPR: 2
; COMPUTE_PGM_RSRC2:TRAP_HANDLER: 0
; COMPUTE_PGM_RSRC2:TGID_X_EN: 1
; COMPUTE_PGM_RSRC2:TGID_Y_EN: 0
; COMPUTE_PGM_RSRC2:TGID_Z_EN: 0
; COMPUTE_PGM_RSRC2:TIDIG_COMP_CNT: 0
; COMPUTE_PGM_RSRC3_GFX90A:ACCUM_OFFSET: 10
; COMPUTE_PGM_RSRC3_GFX90A:TG_SPLIT: 0
	.section	.text._ZN9rocsparseL35csr2bsr_block_dim_equals_one_kernelILj256E21rocsparse_complex_numIfEllEEvT2_S3_S3_S3_21rocsparse_index_base_PKT0_PKT1_PKS3_S4_PS5_PS8_PS3_,"axG",@progbits,_ZN9rocsparseL35csr2bsr_block_dim_equals_one_kernelILj256E21rocsparse_complex_numIfEllEEvT2_S3_S3_S3_21rocsparse_index_base_PKT0_PKT1_PKS3_S4_PS5_PS8_PS3_,comdat
	.globl	_ZN9rocsparseL35csr2bsr_block_dim_equals_one_kernelILj256E21rocsparse_complex_numIfEllEEvT2_S3_S3_S3_21rocsparse_index_base_PKT0_PKT1_PKS3_S4_PS5_PS8_PS3_ ; -- Begin function _ZN9rocsparseL35csr2bsr_block_dim_equals_one_kernelILj256E21rocsparse_complex_numIfEllEEvT2_S3_S3_S3_21rocsparse_index_base_PKT0_PKT1_PKS3_S4_PS5_PS8_PS3_
	.p2align	8
	.type	_ZN9rocsparseL35csr2bsr_block_dim_equals_one_kernelILj256E21rocsparse_complex_numIfEllEEvT2_S3_S3_S3_21rocsparse_index_base_PKT0_PKT1_PKS3_S4_PS5_PS8_PS3_,@function
_ZN9rocsparseL35csr2bsr_block_dim_equals_one_kernelILj256E21rocsparse_complex_numIfEllEEvT2_S3_S3_S3_21rocsparse_index_base_PKT0_PKT1_PKS3_S4_PS5_PS8_PS3_: ; @_ZN9rocsparseL35csr2bsr_block_dim_equals_one_kernelILj256E21rocsparse_complex_numIfEllEEvT2_S3_S3_S3_21rocsparse_index_base_PKT0_PKT1_PKS3_S4_PS5_PS8_PS3_
; %bb.0:
	s_load_dwordx2 s[8:9], s[0:1], 0x0
	s_load_dwordx4 s[4:7], s[0:1], 0x28
	v_lshl_or_b32 v0, s2, 8, v0
	v_mov_b32_e32 v1, 0
	s_waitcnt lgkmcnt(0)
	s_lshl_b64 s[8:9], s[8:9], 3
	s_add_u32 s8, s6, s8
	s_addc_u32 s9, s7, s9
	s_load_dwordx2 s[10:11], s[8:9], 0x0
	s_load_dwordx2 s[12:13], s[6:7], 0x0
	s_waitcnt lgkmcnt(0)
	s_sub_u32 s2, s10, s12
	s_subb_u32 s3, s11, s13
	v_cmp_gt_i64_e32 vcc, s[2:3], v[0:1]
	s_and_saveexec_b64 s[6:7], vcc
	s_cbranch_execz .LBB99_3
; %bb.1:
	s_load_dword s12, s[0:1], 0x40
	s_load_dwordx2 s[6:7], s[0:1], 0x48
	s_load_dword s13, s[0:1], 0x20
	s_load_dwordx2 s[8:9], s[0:1], 0x38
	;; [unrolled: 2-line block ×3, first 2 shown]
	s_mov_b32 s1, 0
	s_waitcnt lgkmcnt(0)
	s_sub_u32 s12, s12, s13
	s_subb_u32 s13, 0, 0
	s_lshl_b32 s0, s14, 8
	v_lshlrev_b64 v[2:3], 3, v[0:1]
	s_lshl_b64 s[14:15], s[0:1], 3
	s_mov_b64 s[16:17], 0
.LBB99_2:                               ; =>This Inner Loop Header: Depth=1
	v_lshl_add_u64 v[4:5], s[8:9], 0, v[2:3]
	global_load_dwordx2 v[4:5], v[4:5], off
	v_lshl_add_u64 v[6:7], s[10:11], 0, v[2:3]
	v_lshl_add_u64 v[8:9], s[4:5], 0, v[2:3]
	;; [unrolled: 1-line block ×3, first 2 shown]
	v_cmp_le_i64_e32 vcc, s[2:3], v[0:1]
	s_or_b64 s[16:17], vcc, s[16:17]
	s_waitcnt vmcnt(0)
	v_lshl_add_u64 v[4:5], s[12:13], 0, v[4:5]
	global_store_dwordx2 v[6:7], v[4:5], off
	global_load_dwordx2 v[4:5], v[8:9], off
	v_lshl_add_u64 v[6:7], s[6:7], 0, v[2:3]
	v_lshl_add_u64 v[2:3], v[2:3], 0, s[14:15]
	s_waitcnt vmcnt(0)
	global_store_dwordx2 v[6:7], v[4:5], off
	s_andn2_b64 exec, exec, s[16:17]
	s_cbranch_execnz .LBB99_2
.LBB99_3:
	s_endpgm
	.section	.rodata,"a",@progbits
	.p2align	6, 0x0
	.amdhsa_kernel _ZN9rocsparseL35csr2bsr_block_dim_equals_one_kernelILj256E21rocsparse_complex_numIfEllEEvT2_S3_S3_S3_21rocsparse_index_base_PKT0_PKT1_PKS3_S4_PS5_PS8_PS3_
		.amdhsa_group_segment_fixed_size 0
		.amdhsa_private_segment_fixed_size 0
		.amdhsa_kernarg_size 352
		.amdhsa_user_sgpr_count 2
		.amdhsa_user_sgpr_dispatch_ptr 0
		.amdhsa_user_sgpr_queue_ptr 0
		.amdhsa_user_sgpr_kernarg_segment_ptr 1
		.amdhsa_user_sgpr_dispatch_id 0
		.amdhsa_user_sgpr_kernarg_preload_length 0
		.amdhsa_user_sgpr_kernarg_preload_offset 0
		.amdhsa_user_sgpr_private_segment_size 0
		.amdhsa_uses_dynamic_stack 0
		.amdhsa_enable_private_segment 0
		.amdhsa_system_sgpr_workgroup_id_x 1
		.amdhsa_system_sgpr_workgroup_id_y 0
		.amdhsa_system_sgpr_workgroup_id_z 0
		.amdhsa_system_sgpr_workgroup_info 0
		.amdhsa_system_vgpr_workitem_id 0
		.amdhsa_next_free_vgpr 10
		.amdhsa_next_free_sgpr 18
		.amdhsa_accum_offset 12
		.amdhsa_reserve_vcc 1
		.amdhsa_float_round_mode_32 0
		.amdhsa_float_round_mode_16_64 0
		.amdhsa_float_denorm_mode_32 3
		.amdhsa_float_denorm_mode_16_64 3
		.amdhsa_dx10_clamp 1
		.amdhsa_ieee_mode 1
		.amdhsa_fp16_overflow 0
		.amdhsa_tg_split 0
		.amdhsa_exception_fp_ieee_invalid_op 0
		.amdhsa_exception_fp_denorm_src 0
		.amdhsa_exception_fp_ieee_div_zero 0
		.amdhsa_exception_fp_ieee_overflow 0
		.amdhsa_exception_fp_ieee_underflow 0
		.amdhsa_exception_fp_ieee_inexact 0
		.amdhsa_exception_int_div_zero 0
	.end_amdhsa_kernel
	.section	.text._ZN9rocsparseL35csr2bsr_block_dim_equals_one_kernelILj256E21rocsparse_complex_numIfEllEEvT2_S3_S3_S3_21rocsparse_index_base_PKT0_PKT1_PKS3_S4_PS5_PS8_PS3_,"axG",@progbits,_ZN9rocsparseL35csr2bsr_block_dim_equals_one_kernelILj256E21rocsparse_complex_numIfEllEEvT2_S3_S3_S3_21rocsparse_index_base_PKT0_PKT1_PKS3_S4_PS5_PS8_PS3_,comdat
.Lfunc_end99:
	.size	_ZN9rocsparseL35csr2bsr_block_dim_equals_one_kernelILj256E21rocsparse_complex_numIfEllEEvT2_S3_S3_S3_21rocsparse_index_base_PKT0_PKT1_PKS3_S4_PS5_PS8_PS3_, .Lfunc_end99-_ZN9rocsparseL35csr2bsr_block_dim_equals_one_kernelILj256E21rocsparse_complex_numIfEllEEvT2_S3_S3_S3_21rocsparse_index_base_PKT0_PKT1_PKS3_S4_PS5_PS8_PS3_
                                        ; -- End function
	.section	.AMDGPU.csdata,"",@progbits
; Kernel info:
; codeLenInByte = 284
; NumSgprs: 24
; NumVgprs: 10
; NumAgprs: 0
; TotalNumVgprs: 10
; ScratchSize: 0
; MemoryBound: 0
; FloatMode: 240
; IeeeMode: 1
; LDSByteSize: 0 bytes/workgroup (compile time only)
; SGPRBlocks: 2
; VGPRBlocks: 1
; NumSGPRsForWavesPerEU: 24
; NumVGPRsForWavesPerEU: 10
; AccumOffset: 12
; Occupancy: 8
; WaveLimiterHint : 0
; COMPUTE_PGM_RSRC2:SCRATCH_EN: 0
; COMPUTE_PGM_RSRC2:USER_SGPR: 2
; COMPUTE_PGM_RSRC2:TRAP_HANDLER: 0
; COMPUTE_PGM_RSRC2:TGID_X_EN: 1
; COMPUTE_PGM_RSRC2:TGID_Y_EN: 0
; COMPUTE_PGM_RSRC2:TGID_Z_EN: 0
; COMPUTE_PGM_RSRC2:TIDIG_COMP_CNT: 0
; COMPUTE_PGM_RSRC3_GFX90A:ACCUM_OFFSET: 2
; COMPUTE_PGM_RSRC3_GFX90A:TG_SPLIT: 0
	.section	.text._ZN9rocsparseL42csr2bsr_wavefront_per_row_multipass_kernelILj256ELj16ELj4E21rocsparse_complex_numIfEllEEv20rocsparse_direction_T4_S4_S4_S4_S4_21rocsparse_index_base_PKT2_PKT3_PKS4_S5_PS6_PS9_PS4_,"axG",@progbits,_ZN9rocsparseL42csr2bsr_wavefront_per_row_multipass_kernelILj256ELj16ELj4E21rocsparse_complex_numIfEllEEv20rocsparse_direction_T4_S4_S4_S4_S4_21rocsparse_index_base_PKT2_PKT3_PKS4_S5_PS6_PS9_PS4_,comdat
	.globl	_ZN9rocsparseL42csr2bsr_wavefront_per_row_multipass_kernelILj256ELj16ELj4E21rocsparse_complex_numIfEllEEv20rocsparse_direction_T4_S4_S4_S4_S4_21rocsparse_index_base_PKT2_PKT3_PKS4_S5_PS6_PS9_PS4_ ; -- Begin function _ZN9rocsparseL42csr2bsr_wavefront_per_row_multipass_kernelILj256ELj16ELj4E21rocsparse_complex_numIfEllEEv20rocsparse_direction_T4_S4_S4_S4_S4_21rocsparse_index_base_PKT2_PKT3_PKS4_S5_PS6_PS9_PS4_
	.p2align	8
	.type	_ZN9rocsparseL42csr2bsr_wavefront_per_row_multipass_kernelILj256ELj16ELj4E21rocsparse_complex_numIfEllEEv20rocsparse_direction_T4_S4_S4_S4_S4_21rocsparse_index_base_PKT2_PKT3_PKS4_S5_PS6_PS9_PS4_,@function
_ZN9rocsparseL42csr2bsr_wavefront_per_row_multipass_kernelILj256ELj16ELj4E21rocsparse_complex_numIfEllEEv20rocsparse_direction_T4_S4_S4_S4_S4_21rocsparse_index_base_PKT2_PKT3_PKS4_S5_PS6_PS9_PS4_: ; @_ZN9rocsparseL42csr2bsr_wavefront_per_row_multipass_kernelILj256ELj16ELj4E21rocsparse_complex_numIfEllEEv20rocsparse_direction_T4_S4_S4_S4_S4_21rocsparse_index_base_PKT2_PKT3_PKS4_S5_PS6_PS9_PS4_
; %bb.0:
	s_load_dwordx2 s[4:5], s[0:1], 0x8
	s_load_dwordx4 s[8:11], s[0:1], 0x18
	s_load_dwordx2 s[6:7], s[0:1], 0x28
	s_load_dword s28, s[0:1], 0x30
	s_load_dwordx2 s[12:13], s[0:1], 0x40
	s_ashr_i32 s3, s2, 31
	v_lshrrev_b32_e32 v30, 4, v0
	s_lshl_b64 s[14:15], s[2:3], 4
	v_bfe_u32 v8, v0, 2, 2
	v_mov_b32_e32 v9, 0
	v_or_b32_e32 v1, s14, v30
	s_waitcnt lgkmcnt(0)
	v_mul_lo_u32 v2, v1, s7
	v_mad_u64_u32 v[4:5], s[16:17], v1, s6, v[8:9]
	s_mul_i32 s3, s15, s6
	v_add3_u32 v5, s3, v5, v2
	v_cmp_gt_i64_e32 vcc, s[4:5], v[4:5]
	v_cmp_gt_i64_e64 s[4:5], s[6:7], v[8:9]
	v_mov_b64_e32 v[2:3], 0
	s_and_b64 s[14:15], s[4:5], vcc
	v_mov_b64_e32 v[16:17], v[2:3]
	s_and_saveexec_b64 s[16:17], s[14:15]
	s_cbranch_execz .LBB100_2
; %bb.1:
	v_lshl_add_u64 v[6:7], v[4:5], 3, s[12:13]
	global_load_dwordx2 v[6:7], v[6:7], off
	s_waitcnt vmcnt(0)
	v_subrev_co_u32_e32 v16, vcc, s28, v6
	s_nop 1
	v_subbrev_co_u32_e32 v17, vcc, 0, v7, vcc
.LBB100_2:
	s_or_b64 exec, exec, s[16:17]
	s_and_saveexec_b64 s[16:17], s[14:15]
	s_cbranch_execz .LBB100_4
; %bb.3:
	v_lshl_add_u64 v[2:3], v[4:5], 3, s[12:13]
	global_load_dwordx2 v[2:3], v[2:3], off offset:8
	s_waitcnt vmcnt(0)
	v_subrev_co_u32_e32 v2, vcc, s28, v2
	s_nop 1
	v_subbrev_co_u32_e32 v3, vcc, 0, v3, vcc
.LBB100_4:
	s_or_b64 exec, exec, s[16:17]
	s_load_dword s12, s[0:1], 0x50
	v_lshl_or_b32 v6, s2, 4, v30
	v_mov_b32_e32 v7, 0
	v_cmp_gt_i64_e32 vcc, s[8:9], v[6:7]
	v_mov_b64_e32 v[4:5], 0
	s_and_saveexec_b64 s[2:3], vcc
	s_cbranch_execz .LBB100_6
; %bb.5:
	s_load_dwordx2 s[8:9], s[0:1], 0x60
	s_waitcnt lgkmcnt(0)
	v_lshl_add_u64 v[4:5], v[6:7], 3, s[8:9]
	global_load_dwordx2 v[4:5], v[4:5], off
	s_waitcnt vmcnt(0)
	v_subrev_co_u32_e32 v4, vcc, s12, v4
	s_nop 1
	v_subbrev_co_u32_e32 v5, vcc, 0, v5, vcc
.LBB100_6:
	s_or_b64 exec, exec, s[2:3]
	v_cmp_lt_i64_e64 s[2:3], s[10:11], 1
	s_and_b64 vcc, exec, s[2:3]
	s_cbranch_vccnz .LBB100_25
; %bb.7:
	v_and_b32_e32 v6, 3, v0
	s_load_dwordx2 s[2:3], s[0:1], 0x68
	s_load_dwordx2 s[16:17], s[0:1], 0x58
	;; [unrolled: 1-line block ×4, first 2 shown]
	s_load_dword s18, s[0:1], 0x0
	v_and_b32_e32 v0, 0xf0, v0
	v_mad_u64_u32 v[10:11], s[0:1], v6, s6, 0
	v_lshl_or_b32 v31, v8, 2, v0
	v_mov_b32_e32 v12, v11
	v_or_b32_e32 v0, v31, v6
	v_mad_u64_u32 v[12:13], s[0:1], v6, s7, v[12:13]
	v_lshlrev_b32_e32 v32, 3, v0
	v_mov_b32_e32 v0, 0
	v_mov_b32_e32 v11, v12
	s_waitcnt lgkmcnt(0)
	v_lshl_add_u64 v[10:11], v[10:11], 3, s[16:17]
	v_lshlrev_b32_e32 v12, 3, v8
	v_mov_b32_e32 v13, v0
	v_lshl_add_u64 v[10:11], v[10:11], 0, v[12:13]
	v_mad_u64_u32 v[12:13], s[0:1], v8, s6, 0
	v_mov_b32_e32 v7, v0
	v_mov_b32_e32 v14, v13
	v_cmp_gt_i64_e32 vcc, s[6:7], v[6:7]
	v_mad_u64_u32 v[8:9], s[0:1], v8, s7, v[14:15]
	v_mbcnt_lo_u32_b32 v1, -1, 0
	s_and_b64 s[4:5], s[4:5], vcc
	v_mov_b32_e32 v13, v8
	v_mbcnt_hi_u32_b32 v1, -1, v1
	s_cmp_eq_u32 s18, 0
	s_mul_i32 s18, s6, s7
	s_mul_hi_u32 s19, s6, s6
	v_lshl_add_u64 v[8:9], v[12:13], 3, s[16:17]
	v_lshlrev_b32_e32 v12, 3, v6
	v_mov_b32_e32 v13, v0
	s_mov_b32 s29, 0
	v_lshlrev_b32_e32 v1, 2, v1
	v_lshl_add_u64 v[8:9], v[8:9], 0, v[12:13]
	s_cselect_b64 vcc, -1, 0
	s_add_i32 s0, s19, s18
	v_or_b32_e32 v33, 12, v1
	s_mov_b32 s13, s29
	s_add_i32 s30, s0, s18
	s_mul_i32 s31, s6, s6
	v_or_b32_e32 v34, 60, v1
	v_cndmask_b32_e32 v9, v11, v9, vcc
	v_cndmask_b32_e32 v8, v10, v8, vcc
	s_mov_b64 s[16:17], 0
	v_mov_b64_e32 v[12:13], 0
	v_mov_b32_e32 v10, 0
	v_mov_b32_e32 v11, v0
	s_ashr_i32 s18, s7, 31
	v_mov_b32_e32 v35, 1
	s_branch .LBB100_10
.LBB100_8:                              ;   in Loop: Header=BB100_10 Depth=1
	s_or_b64 exec, exec, s[20:21]
	v_mov_b64_e32 v[18:19], 1
.LBB100_9:                              ;   in Loop: Header=BB100_10 Depth=1
	s_or_b64 exec, exec, s[0:1]
	v_mov_b32_dpp v12, v14 row_shr:1 row_mask:0xf bank_mask:0xf
	v_mov_b32_dpp v13, v15 row_shr:1 row_mask:0xf bank_mask:0xf
	v_cmp_lt_i64_e32 vcc, v[12:13], v[14:15]
	v_lshl_add_u64 v[4:5], v[18:19], 0, v[4:5]
	s_waitcnt lgkmcnt(0)
	v_cndmask_b32_e32 v13, v15, v13, vcc
	v_cndmask_b32_e32 v12, v14, v12, vcc
	s_nop 0
	v_mov_b32_dpp v15, v13 row_shr:2 row_mask:0xf bank_mask:0xf
	v_mov_b32_dpp v14, v12 row_shr:2 row_mask:0xf bank_mask:0xf
	v_cmp_lt_i64_e32 vcc, v[14:15], v[12:13]
	s_nop 1
	v_cndmask_b32_e32 v13, v13, v15, vcc
	v_cndmask_b32_e32 v12, v12, v14, vcc
	s_nop 0
	v_mov_b32_dpp v15, v13 row_shr:4 row_mask:0xf bank_mask:0xe
	v_mov_b32_dpp v14, v12 row_shr:4 row_mask:0xf bank_mask:0xe
	v_cmp_lt_i64_e32 vcc, v[14:15], v[12:13]
	s_nop 1
	;; [unrolled: 7-line block ×3, first 2 shown]
	v_cndmask_b32_e32 v1, v13, v15, vcc
	v_cndmask_b32_e32 v12, v12, v14, vcc
	ds_bpermute_b32 v12, v34, v12
	ds_bpermute_b32 v13, v34, v1
	s_waitcnt lgkmcnt(0)
	v_cmp_le_i64_e32 vcc, s[10:11], v[12:13]
	s_or_b64 s[16:17], vcc, s[16:17]
	s_andn2_b64 exec, exec, s[16:17]
	s_cbranch_execz .LBB100_25
.LBB100_10:                             ; =>This Loop Header: Depth=1
                                        ;     Child Loop BB100_13 Depth 2
	v_lshl_add_u64 v[16:17], v[16:17], 0, v[6:7]
	v_cmp_lt_i64_e32 vcc, v[16:17], v[2:3]
	v_mov_b64_e32 v[14:15], s[10:11]
	v_mov_b64_e32 v[28:29], v[2:3]
	ds_write_b8 v30, v0 offset:2048
	ds_write_b64 v32, v[10:11]
	s_waitcnt lgkmcnt(0)
	s_and_saveexec_b64 s[20:21], vcc
	s_cbranch_execz .LBB100_22
; %bb.11:                               ;   in Loop: Header=BB100_10 Depth=1
	v_lshlrev_b64 v[14:15], 3, v[16:17]
	v_mad_u64_u32 v[18:19], s[0:1], v12, s6, 0
	v_lshl_add_u64 v[20:21], s[14:15], 0, v[14:15]
	v_lshl_add_u64 v[22:23], s[8:9], 0, v[14:15]
	s_mov_b64 s[22:23], 0
	v_mov_b64_e32 v[14:15], s[10:11]
	v_mov_b64_e32 v[24:25], v[2:3]
	s_branch .LBB100_13
.LBB100_12:                             ;   in Loop: Header=BB100_13 Depth=2
	s_or_b64 exec, exec, s[0:1]
	v_lshl_add_u64 v[16:17], v[16:17], 0, 4
	v_cmp_ge_i64_e64 s[0:1], v[16:17], v[2:3]
	s_xor_b64 s[24:25], vcc, -1
	s_or_b64 s[0:1], s[24:25], s[0:1]
	s_and_b64 s[0:1], exec, s[0:1]
	v_lshl_add_u64 v[20:21], v[20:21], 0, 32
	v_lshl_add_u64 v[22:23], v[22:23], 0, 32
	s_or_b64 s[22:23], s[0:1], s[22:23]
	v_mov_b64_e32 v[24:25], v[28:29]
	s_andn2_b64 exec, exec, s[22:23]
	s_cbranch_execz .LBB100_21
.LBB100_13:                             ;   Parent Loop BB100_10 Depth=1
                                        ; =>  This Inner Loop Header: Depth=2
	global_load_dwordx2 v[26:27], v[22:23], off
	v_mov_b32_e32 v1, s29
                                        ; implicit-def: $vgpr28_vgpr29
	s_waitcnt vmcnt(0)
	v_subrev_co_u32_e32 v26, vcc, s28, v26
	s_nop 1
	v_subb_co_u32_e32 v27, vcc, v27, v1, vcc
	v_or_b32_e32 v1, s7, v27
	v_cmp_ne_u64_e32 vcc, 0, v[0:1]
	s_and_saveexec_b64 s[0:1], vcc
	s_xor_b64 s[24:25], exec, s[0:1]
	s_cbranch_execz .LBB100_15
; %bb.14:                               ;   in Loop: Header=BB100_13 Depth=2
	s_add_u32 s0, s6, s18
	s_mov_b32 s19, s18
	s_addc_u32 s1, s7, s18
	s_xor_b64 s[26:27], s[0:1], s[18:19]
	v_cvt_f32_u32_e32 v1, s26
	v_cvt_f32_u32_e32 v19, s27
	s_sub_u32 s0, 0, s26
	s_subb_u32 s1, 0, s27
	v_mov_b32_e32 v37, v0
	v_fmac_f32_e32 v1, 0x4f800000, v19
	v_rcp_f32_e32 v1, v1
	s_nop 0
	v_mul_f32_e32 v1, 0x5f7ffffc, v1
	v_mul_f32_e32 v19, 0x2f800000, v1
	v_trunc_f32_e32 v19, v19
	v_fmac_f32_e32 v1, 0xcf800000, v19
	v_cvt_u32_f32_e32 v19, v19
	v_cvt_u32_f32_e32 v1, v1
	v_mul_lo_u32 v28, s0, v19
	v_mul_hi_u32 v36, s0, v1
	v_mul_lo_u32 v29, s1, v1
	v_add_u32_e32 v28, v36, v28
	v_mul_lo_u32 v38, s0, v1
	v_add_u32_e32 v39, v28, v29
	v_mul_hi_u32 v29, v1, v39
	v_mul_lo_u32 v28, v1, v39
	v_mul_hi_u32 v36, v1, v38
	v_lshl_add_u64 v[28:29], v[36:37], 0, v[28:29]
	v_mul_hi_u32 v37, v19, v38
	v_mul_lo_u32 v38, v19, v38
	v_add_co_u32_e32 v28, vcc, v28, v38
	v_mul_hi_u32 v36, v19, v39
	s_nop 0
	v_addc_co_u32_e32 v28, vcc, v29, v37, vcc
	v_mov_b32_e32 v29, v0
	s_nop 0
	v_addc_co_u32_e32 v37, vcc, 0, v36, vcc
	v_mul_lo_u32 v36, v19, v39
	v_lshl_add_u64 v[28:29], v[28:29], 0, v[36:37]
	v_add_co_u32_e32 v1, vcc, v1, v28
	v_mul_lo_u32 v36, s0, v1
	s_nop 0
	v_addc_co_u32_e32 v19, vcc, v19, v29, vcc
	v_mul_lo_u32 v28, s0, v19
	v_mul_hi_u32 v29, s0, v1
	v_add_u32_e32 v28, v29, v28
	v_mul_lo_u32 v29, s1, v1
	v_add_u32_e32 v38, v28, v29
	v_mul_hi_u32 v40, v19, v36
	v_mul_lo_u32 v41, v19, v36
	v_mul_hi_u32 v29, v1, v38
	v_mul_lo_u32 v28, v1, v38
	v_mul_hi_u32 v36, v1, v36
	v_mov_b32_e32 v37, v0
	v_lshl_add_u64 v[28:29], v[36:37], 0, v[28:29]
	v_add_co_u32_e32 v28, vcc, v28, v41
	v_mul_hi_u32 v39, v19, v38
	s_nop 0
	v_addc_co_u32_e32 v28, vcc, v29, v40, vcc
	v_mul_lo_u32 v36, v19, v38
	s_nop 0
	v_addc_co_u32_e32 v37, vcc, 0, v39, vcc
	v_mov_b32_e32 v29, v0
	v_lshl_add_u64 v[28:29], v[28:29], 0, v[36:37]
	v_add_co_u32_e32 v1, vcc, v1, v28
	v_ashrrev_i32_e32 v28, 31, v27
	s_nop 0
	v_addc_co_u32_e32 v19, vcc, v19, v29, vcc
	v_mov_b32_e32 v29, v28
	v_lshl_add_u64 v[36:37], v[26:27], 0, v[28:29]
	v_xor_b32_e32 v29, v36, v28
	v_xor_b32_e32 v27, v37, v28
	v_mad_u64_u32 v[36:37], s[0:1], v29, v19, 0
	v_mul_hi_u32 v38, v29, v1
	v_mov_b32_e32 v39, v0
	v_lshl_add_u64 v[36:37], v[38:39], 0, v[36:37]
	v_mad_u64_u32 v[40:41], s[0:1], v27, v1, 0
	v_add_co_u32_e32 v1, vcc, v36, v40
	v_mad_u64_u32 v[38:39], s[0:1], v27, v19, 0
	s_nop 0
	v_addc_co_u32_e32 v36, vcc, v37, v41, vcc
	v_mov_b32_e32 v37, v0
	s_nop 0
	v_addc_co_u32_e32 v39, vcc, 0, v39, vcc
	v_lshl_add_u64 v[36:37], v[36:37], 0, v[38:39]
	v_mul_lo_u32 v1, s27, v36
	v_mul_lo_u32 v19, s26, v37
	v_mad_u64_u32 v[38:39], s[0:1], s26, v36, 0
	v_add3_u32 v1, v39, v19, v1
	v_sub_u32_e32 v19, v27, v1
	v_mov_b32_e32 v39, s27
	v_sub_co_u32_e32 v29, vcc, v29, v38
	v_lshl_add_u64 v[40:41], v[36:37], 0, 1
	s_nop 0
	v_subb_co_u32_e64 v19, s[0:1], v19, v39, vcc
	v_subrev_co_u32_e64 v38, s[0:1], s26, v29
	v_subb_co_u32_e32 v1, vcc, v27, v1, vcc
	s_nop 0
	v_subbrev_co_u32_e64 v19, s[0:1], 0, v19, s[0:1]
	v_cmp_le_u32_e64 s[0:1], s27, v19
	v_cmp_le_u32_e32 vcc, s27, v1
	s_nop 0
	v_cndmask_b32_e64 v39, 0, -1, s[0:1]
	v_cmp_le_u32_e64 s[0:1], s26, v38
	v_cndmask_b32_e64 v27, 0, -1, vcc
	v_cmp_le_u32_e32 vcc, s26, v29
	v_cndmask_b32_e64 v38, 0, -1, s[0:1]
	v_cmp_eq_u32_e64 s[0:1], s27, v19
	v_cndmask_b32_e64 v29, 0, -1, vcc
	v_cmp_eq_u32_e32 vcc, s27, v1
	v_cndmask_b32_e64 v19, v39, v38, s[0:1]
	v_lshl_add_u64 v[38:39], v[36:37], 0, 2
	v_cmp_ne_u32_e64 s[0:1], 0, v19
	v_cndmask_b32_e32 v1, v27, v29, vcc
	v_cmp_ne_u32_e32 vcc, 0, v1
	v_cndmask_b32_e64 v19, v41, v39, s[0:1]
	v_xor_b32_e32 v27, s18, v28
	v_cndmask_b32_e32 v1, v37, v19, vcc
	v_cndmask_b32_e64 v19, v40, v38, s[0:1]
	v_cndmask_b32_e32 v19, v36, v19, vcc
	v_xor_b32_e32 v19, v19, v27
	v_xor_b32_e32 v1, v1, v27
	v_sub_co_u32_e32 v28, vcc, v19, v27
	s_nop 1
	v_subb_co_u32_e32 v29, vcc, v1, v27, vcc
.LBB100_15:                             ;   in Loop: Header=BB100_13 Depth=2
	s_andn2_saveexec_b64 s[0:1], s[24:25]
	s_cbranch_execz .LBB100_17
; %bb.16:                               ;   in Loop: Header=BB100_13 Depth=2
	v_cvt_f32_u32_e32 v1, s6
	s_sub_i32 s19, 0, s6
	v_mov_b32_e32 v29, v0
	v_rcp_iflag_f32_e32 v1, v1
	s_nop 0
	v_mul_f32_e32 v1, 0x4f7ffffe, v1
	v_cvt_u32_f32_e32 v1, v1
	v_mul_lo_u32 v19, s19, v1
	v_mul_hi_u32 v19, v1, v19
	v_add_u32_e32 v1, v1, v19
	v_mul_hi_u32 v1, v26, v1
	v_mul_lo_u32 v19, v1, s6
	v_sub_u32_e32 v19, v26, v19
	v_add_u32_e32 v27, 1, v1
	v_subrev_u32_e32 v28, s6, v19
	v_cmp_le_u32_e32 vcc, s6, v19
	s_nop 1
	v_cndmask_b32_e32 v19, v19, v28, vcc
	v_cndmask_b32_e32 v1, v1, v27, vcc
	v_add_u32_e32 v27, 1, v1
	v_cmp_le_u32_e32 vcc, s6, v19
	s_nop 1
	v_cndmask_b32_e32 v28, v1, v27, vcc
.LBB100_17:                             ;   in Loop: Header=BB100_13 Depth=2
	s_or_b64 exec, exec, s[0:1]
	v_cmp_eq_u64_e32 vcc, v[28:29], v[12:13]
	v_cmp_ne_u64_e64 s[0:1], v[28:29], v[12:13]
	s_and_saveexec_b64 s[24:25], s[0:1]
	s_xor_b64 s[24:25], exec, s[24:25]
; %bb.18:                               ;   in Loop: Header=BB100_13 Depth=2
	v_cmp_lt_i64_e64 s[0:1], v[28:29], v[14:15]
                                        ; implicit-def: $vgpr26_vgpr27
                                        ; implicit-def: $vgpr24_vgpr25
	s_nop 1
	v_cndmask_b32_e64 v15, v15, v29, s[0:1]
	v_cndmask_b32_e64 v14, v14, v28, s[0:1]
; %bb.19:                               ;   in Loop: Header=BB100_13 Depth=2
	s_or_saveexec_b64 s[0:1], s[24:25]
	v_mov_b64_e32 v[28:29], v[16:17]
	s_xor_b64 exec, exec, s[0:1]
	s_cbranch_execz .LBB100_12
; %bb.20:                               ;   in Loop: Header=BB100_13 Depth=2
	global_load_dwordx2 v[28:29], v[20:21], off
	v_sub_u32_e32 v1, v26, v18
	v_add_lshl_u32 v1, v31, v1, 3
	ds_write_b8 v30, v35 offset:2048
	s_waitcnt vmcnt(0)
	ds_write_b64 v1, v[28:29]
	v_mov_b64_e32 v[28:29], v[24:25]
	s_branch .LBB100_12
.LBB100_21:                             ;   in Loop: Header=BB100_10 Depth=1
	s_or_b64 exec, exec, s[22:23]
.LBB100_22:                             ;   in Loop: Header=BB100_10 Depth=1
	s_or_b64 exec, exec, s[20:21]
	v_mov_b32_dpp v16, v28 row_shr:1 row_mask:0xf bank_mask:0xf
	v_mov_b32_dpp v17, v29 row_shr:1 row_mask:0xf bank_mask:0xf
	v_cmp_lt_i64_e32 vcc, v[16:17], v[28:29]
	s_waitcnt lgkmcnt(0)
	s_nop 0
	v_cndmask_b32_e32 v17, v29, v17, vcc
	v_cndmask_b32_e32 v16, v28, v16, vcc
	s_nop 0
	v_mov_b32_dpp v19, v17 row_shr:2 row_mask:0xf bank_mask:0xf
	v_mov_b32_dpp v18, v16 row_shr:2 row_mask:0xf bank_mask:0xf
	v_cmp_lt_i64_e32 vcc, v[18:19], v[16:17]
	s_nop 1
	v_cndmask_b32_e32 v1, v17, v19, vcc
	ds_read_u8 v19, v30 offset:2048
	v_cndmask_b32_e32 v16, v16, v18, vcc
	ds_bpermute_b32 v16, v33, v16
	ds_bpermute_b32 v17, v33, v1
	s_waitcnt lgkmcnt(2)
	v_and_b32_e32 v1, 1, v19
	v_cmp_eq_u32_e32 vcc, 1, v1
	v_mov_b64_e32 v[18:19], 0
	s_and_saveexec_b64 s[0:1], vcc
	s_cbranch_execz .LBB100_9
; %bb.23:                               ;   in Loop: Header=BB100_10 Depth=1
	v_lshl_add_u64 v[12:13], v[12:13], 0, s[12:13]
	v_lshl_add_u64 v[18:19], v[4:5], 3, s[2:3]
	global_store_dwordx2 v[18:19], v[12:13], off
	s_and_saveexec_b64 s[20:21], s[4:5]
	s_cbranch_execz .LBB100_8
; %bb.24:                               ;   in Loop: Header=BB100_10 Depth=1
	ds_read_b64 v[12:13], v32
	v_mul_lo_u32 v1, s30, v4
	v_mul_lo_u32 v20, s31, v5
	v_mad_u64_u32 v[18:19], s[22:23], s31, v4, 0
	v_add3_u32 v19, v19, v20, v1
	v_lshl_add_u64 v[18:19], v[18:19], 3, v[8:9]
	s_waitcnt lgkmcnt(0)
	global_store_dwordx2 v[18:19], v[12:13], off
	s_branch .LBB100_8
.LBB100_25:
	s_endpgm
	.section	.rodata,"a",@progbits
	.p2align	6, 0x0
	.amdhsa_kernel _ZN9rocsparseL42csr2bsr_wavefront_per_row_multipass_kernelILj256ELj16ELj4E21rocsparse_complex_numIfEllEEv20rocsparse_direction_T4_S4_S4_S4_S4_21rocsparse_index_base_PKT2_PKT3_PKS4_S5_PS6_PS9_PS4_
		.amdhsa_group_segment_fixed_size 2064
		.amdhsa_private_segment_fixed_size 0
		.amdhsa_kernarg_size 112
		.amdhsa_user_sgpr_count 2
		.amdhsa_user_sgpr_dispatch_ptr 0
		.amdhsa_user_sgpr_queue_ptr 0
		.amdhsa_user_sgpr_kernarg_segment_ptr 1
		.amdhsa_user_sgpr_dispatch_id 0
		.amdhsa_user_sgpr_kernarg_preload_length 0
		.amdhsa_user_sgpr_kernarg_preload_offset 0
		.amdhsa_user_sgpr_private_segment_size 0
		.amdhsa_uses_dynamic_stack 0
		.amdhsa_enable_private_segment 0
		.amdhsa_system_sgpr_workgroup_id_x 1
		.amdhsa_system_sgpr_workgroup_id_y 0
		.amdhsa_system_sgpr_workgroup_id_z 0
		.amdhsa_system_sgpr_workgroup_info 0
		.amdhsa_system_vgpr_workitem_id 0
		.amdhsa_next_free_vgpr 42
		.amdhsa_next_free_sgpr 32
		.amdhsa_accum_offset 44
		.amdhsa_reserve_vcc 1
		.amdhsa_float_round_mode_32 0
		.amdhsa_float_round_mode_16_64 0
		.amdhsa_float_denorm_mode_32 3
		.amdhsa_float_denorm_mode_16_64 3
		.amdhsa_dx10_clamp 1
		.amdhsa_ieee_mode 1
		.amdhsa_fp16_overflow 0
		.amdhsa_tg_split 0
		.amdhsa_exception_fp_ieee_invalid_op 0
		.amdhsa_exception_fp_denorm_src 0
		.amdhsa_exception_fp_ieee_div_zero 0
		.amdhsa_exception_fp_ieee_overflow 0
		.amdhsa_exception_fp_ieee_underflow 0
		.amdhsa_exception_fp_ieee_inexact 0
		.amdhsa_exception_int_div_zero 0
	.end_amdhsa_kernel
	.section	.text._ZN9rocsparseL42csr2bsr_wavefront_per_row_multipass_kernelILj256ELj16ELj4E21rocsparse_complex_numIfEllEEv20rocsparse_direction_T4_S4_S4_S4_S4_21rocsparse_index_base_PKT2_PKT3_PKS4_S5_PS6_PS9_PS4_,"axG",@progbits,_ZN9rocsparseL42csr2bsr_wavefront_per_row_multipass_kernelILj256ELj16ELj4E21rocsparse_complex_numIfEllEEv20rocsparse_direction_T4_S4_S4_S4_S4_21rocsparse_index_base_PKT2_PKT3_PKS4_S5_PS6_PS9_PS4_,comdat
.Lfunc_end100:
	.size	_ZN9rocsparseL42csr2bsr_wavefront_per_row_multipass_kernelILj256ELj16ELj4E21rocsparse_complex_numIfEllEEv20rocsparse_direction_T4_S4_S4_S4_S4_21rocsparse_index_base_PKT2_PKT3_PKS4_S5_PS6_PS9_PS4_, .Lfunc_end100-_ZN9rocsparseL42csr2bsr_wavefront_per_row_multipass_kernelILj256ELj16ELj4E21rocsparse_complex_numIfEllEEv20rocsparse_direction_T4_S4_S4_S4_S4_21rocsparse_index_base_PKT2_PKT3_PKS4_S5_PS6_PS9_PS4_
                                        ; -- End function
	.section	.AMDGPU.csdata,"",@progbits
; Kernel info:
; codeLenInByte = 2192
; NumSgprs: 38
; NumVgprs: 42
; NumAgprs: 0
; TotalNumVgprs: 42
; ScratchSize: 0
; MemoryBound: 0
; FloatMode: 240
; IeeeMode: 1
; LDSByteSize: 2064 bytes/workgroup (compile time only)
; SGPRBlocks: 4
; VGPRBlocks: 5
; NumSGPRsForWavesPerEU: 38
; NumVGPRsForWavesPerEU: 42
; AccumOffset: 44
; Occupancy: 8
; WaveLimiterHint : 0
; COMPUTE_PGM_RSRC2:SCRATCH_EN: 0
; COMPUTE_PGM_RSRC2:USER_SGPR: 2
; COMPUTE_PGM_RSRC2:TRAP_HANDLER: 0
; COMPUTE_PGM_RSRC2:TGID_X_EN: 1
; COMPUTE_PGM_RSRC2:TGID_Y_EN: 0
; COMPUTE_PGM_RSRC2:TGID_Z_EN: 0
; COMPUTE_PGM_RSRC2:TIDIG_COMP_CNT: 0
; COMPUTE_PGM_RSRC3_GFX90A:ACCUM_OFFSET: 10
; COMPUTE_PGM_RSRC3_GFX90A:TG_SPLIT: 0
	.section	.text._ZN9rocsparseL42csr2bsr_wavefront_per_row_multipass_kernelILj256ELj64ELj8E21rocsparse_complex_numIfEllEEv20rocsparse_direction_T4_S4_S4_S4_S4_21rocsparse_index_base_PKT2_PKT3_PKS4_S5_PS6_PS9_PS4_,"axG",@progbits,_ZN9rocsparseL42csr2bsr_wavefront_per_row_multipass_kernelILj256ELj64ELj8E21rocsparse_complex_numIfEllEEv20rocsparse_direction_T4_S4_S4_S4_S4_21rocsparse_index_base_PKT2_PKT3_PKS4_S5_PS6_PS9_PS4_,comdat
	.globl	_ZN9rocsparseL42csr2bsr_wavefront_per_row_multipass_kernelILj256ELj64ELj8E21rocsparse_complex_numIfEllEEv20rocsparse_direction_T4_S4_S4_S4_S4_21rocsparse_index_base_PKT2_PKT3_PKS4_S5_PS6_PS9_PS4_ ; -- Begin function _ZN9rocsparseL42csr2bsr_wavefront_per_row_multipass_kernelILj256ELj64ELj8E21rocsparse_complex_numIfEllEEv20rocsparse_direction_T4_S4_S4_S4_S4_21rocsparse_index_base_PKT2_PKT3_PKS4_S5_PS6_PS9_PS4_
	.p2align	8
	.type	_ZN9rocsparseL42csr2bsr_wavefront_per_row_multipass_kernelILj256ELj64ELj8E21rocsparse_complex_numIfEllEEv20rocsparse_direction_T4_S4_S4_S4_S4_21rocsparse_index_base_PKT2_PKT3_PKS4_S5_PS6_PS9_PS4_,@function
_ZN9rocsparseL42csr2bsr_wavefront_per_row_multipass_kernelILj256ELj64ELj8E21rocsparse_complex_numIfEllEEv20rocsparse_direction_T4_S4_S4_S4_S4_21rocsparse_index_base_PKT2_PKT3_PKS4_S5_PS6_PS9_PS4_: ; @_ZN9rocsparseL42csr2bsr_wavefront_per_row_multipass_kernelILj256ELj64ELj8E21rocsparse_complex_numIfEllEEv20rocsparse_direction_T4_S4_S4_S4_S4_21rocsparse_index_base_PKT2_PKT3_PKS4_S5_PS6_PS9_PS4_
; %bb.0:
	s_load_dwordx2 s[4:5], s[0:1], 0x8
	s_load_dwordx4 s[8:11], s[0:1], 0x18
	s_load_dwordx2 s[6:7], s[0:1], 0x28
	s_load_dword s28, s[0:1], 0x30
	s_load_dwordx2 s[12:13], s[0:1], 0x40
	s_ashr_i32 s3, s2, 31
	v_lshrrev_b32_e32 v30, 6, v0
	s_lshl_b64 s[14:15], s[2:3], 2
	v_bfe_u32 v8, v0, 3, 3
	v_mov_b32_e32 v9, 0
	v_or_b32_e32 v1, s14, v30
	s_waitcnt lgkmcnt(0)
	v_mul_lo_u32 v2, v1, s7
	v_mad_u64_u32 v[4:5], s[16:17], v1, s6, v[8:9]
	s_mul_i32 s3, s15, s6
	v_add3_u32 v5, s3, v5, v2
	v_cmp_gt_i64_e32 vcc, s[4:5], v[4:5]
	v_cmp_gt_i64_e64 s[4:5], s[6:7], v[8:9]
	v_mov_b64_e32 v[2:3], 0
	s_and_b64 s[14:15], s[4:5], vcc
	v_mov_b64_e32 v[16:17], v[2:3]
	s_and_saveexec_b64 s[16:17], s[14:15]
	s_cbranch_execz .LBB101_2
; %bb.1:
	v_lshl_add_u64 v[6:7], v[4:5], 3, s[12:13]
	global_load_dwordx2 v[6:7], v[6:7], off
	s_waitcnt vmcnt(0)
	v_subrev_co_u32_e32 v16, vcc, s28, v6
	s_nop 1
	v_subbrev_co_u32_e32 v17, vcc, 0, v7, vcc
.LBB101_2:
	s_or_b64 exec, exec, s[16:17]
	s_and_saveexec_b64 s[16:17], s[14:15]
	s_cbranch_execz .LBB101_4
; %bb.3:
	v_lshl_add_u64 v[2:3], v[4:5], 3, s[12:13]
	global_load_dwordx2 v[2:3], v[2:3], off offset:8
	s_waitcnt vmcnt(0)
	v_subrev_co_u32_e32 v2, vcc, s28, v2
	s_nop 1
	v_subbrev_co_u32_e32 v3, vcc, 0, v3, vcc
.LBB101_4:
	s_or_b64 exec, exec, s[16:17]
	s_load_dword s12, s[0:1], 0x50
	v_lshl_or_b32 v6, s2, 2, v30
	v_mov_b32_e32 v7, 0
	v_cmp_gt_i64_e32 vcc, s[8:9], v[6:7]
	v_mov_b64_e32 v[4:5], 0
	s_and_saveexec_b64 s[2:3], vcc
	s_cbranch_execz .LBB101_6
; %bb.5:
	s_load_dwordx2 s[8:9], s[0:1], 0x60
	s_waitcnt lgkmcnt(0)
	v_lshl_add_u64 v[4:5], v[6:7], 3, s[8:9]
	global_load_dwordx2 v[4:5], v[4:5], off
	s_waitcnt vmcnt(0)
	v_subrev_co_u32_e32 v4, vcc, s12, v4
	s_nop 1
	v_subbrev_co_u32_e32 v5, vcc, 0, v5, vcc
.LBB101_6:
	s_or_b64 exec, exec, s[2:3]
	v_cmp_lt_i64_e64 s[2:3], s[10:11], 1
	s_and_b64 vcc, exec, s[2:3]
	s_cbranch_vccnz .LBB101_25
; %bb.7:
	s_load_dwordx2 s[2:3], s[0:1], 0x68
	s_load_dwordx2 s[16:17], s[0:1], 0x58
	;; [unrolled: 1-line block ×4, first 2 shown]
	s_load_dword s18, s[0:1], 0x0
	v_and_b32_e32 v6, 7, v0
	v_lshlrev_b32_e32 v10, 3, v8
	s_movk_i32 s0, 0xc0
	v_and_or_b32 v31, v0, s0, v10
	v_mad_u64_u32 v[12:13], s[0:1], v6, s6, 0
	v_mov_b32_e32 v14, v13
	v_or_b32_e32 v0, v31, v6
	v_mad_u64_u32 v[14:15], s[0:1], v6, s7, v[14:15]
	v_lshlrev_b32_e32 v32, 3, v0
	v_mov_b32_e32 v0, 0
	v_mov_b32_e32 v13, v14
	s_waitcnt lgkmcnt(0)
	v_lshl_add_u64 v[12:13], v[12:13], 3, s[16:17]
	v_mov_b32_e32 v11, v0
	v_lshl_add_u64 v[10:11], v[12:13], 0, v[10:11]
	v_mad_u64_u32 v[12:13], s[0:1], v8, s6, 0
	v_mov_b32_e32 v7, v0
	v_mov_b32_e32 v14, v13
	v_cmp_gt_i64_e32 vcc, s[6:7], v[6:7]
	v_mad_u64_u32 v[8:9], s[0:1], v8, s7, v[14:15]
	v_mbcnt_lo_u32_b32 v1, -1, 0
	s_and_b64 s[4:5], s[4:5], vcc
	v_mov_b32_e32 v13, v8
	v_mbcnt_hi_u32_b32 v1, -1, v1
	s_cmp_eq_u32 s18, 0
	s_mul_i32 s18, s6, s7
	s_mul_hi_u32 s19, s6, s6
	v_lshl_add_u64 v[8:9], v[12:13], 3, s[16:17]
	v_lshlrev_b32_e32 v12, 3, v6
	v_mov_b32_e32 v13, v0
	s_mov_b32 s29, 0
	v_lshlrev_b32_e32 v1, 2, v1
	v_lshl_add_u64 v[8:9], v[8:9], 0, v[12:13]
	s_cselect_b64 vcc, -1, 0
	s_add_i32 s0, s19, s18
	v_or_b32_e32 v33, 28, v1
	s_mov_b32 s13, s29
	s_add_i32 s30, s0, s18
	s_mul_i32 s31, s6, s6
	v_or_b32_e32 v34, 0xfc, v1
	v_cndmask_b32_e32 v9, v11, v9, vcc
	v_cndmask_b32_e32 v8, v10, v8, vcc
	s_mov_b64 s[16:17], 0
	v_mov_b64_e32 v[12:13], 0
	v_mov_b32_e32 v10, 0
	v_mov_b32_e32 v11, v0
	s_ashr_i32 s18, s7, 31
	v_mov_b32_e32 v35, 1
	s_branch .LBB101_10
.LBB101_8:                              ;   in Loop: Header=BB101_10 Depth=1
	s_or_b64 exec, exec, s[20:21]
	v_mov_b64_e32 v[18:19], 1
.LBB101_9:                              ;   in Loop: Header=BB101_10 Depth=1
	s_or_b64 exec, exec, s[0:1]
	v_mov_b32_dpp v12, v14 row_shr:1 row_mask:0xf bank_mask:0xf
	v_mov_b32_dpp v13, v15 row_shr:1 row_mask:0xf bank_mask:0xf
	v_cmp_lt_i64_e32 vcc, v[12:13], v[14:15]
	v_lshl_add_u64 v[4:5], v[18:19], 0, v[4:5]
	s_waitcnt lgkmcnt(0)
	v_cndmask_b32_e32 v13, v15, v13, vcc
	v_cndmask_b32_e32 v12, v14, v12, vcc
	s_nop 0
	v_mov_b32_dpp v15, v13 row_shr:2 row_mask:0xf bank_mask:0xf
	v_mov_b32_dpp v14, v12 row_shr:2 row_mask:0xf bank_mask:0xf
	v_cmp_lt_i64_e32 vcc, v[14:15], v[12:13]
	s_nop 1
	v_cndmask_b32_e32 v13, v13, v15, vcc
	v_cndmask_b32_e32 v12, v12, v14, vcc
	s_nop 0
	v_mov_b32_dpp v15, v13 row_shr:4 row_mask:0xf bank_mask:0xe
	v_mov_b32_dpp v14, v12 row_shr:4 row_mask:0xf bank_mask:0xe
	v_cmp_lt_i64_e32 vcc, v[14:15], v[12:13]
	s_nop 1
	;; [unrolled: 7-line block ×3, first 2 shown]
	v_cndmask_b32_e32 v13, v13, v15, vcc
	v_cndmask_b32_e32 v12, v12, v14, vcc
	s_nop 0
	v_mov_b32_dpp v15, v13 row_bcast:15 row_mask:0xa bank_mask:0xf
	v_mov_b32_dpp v14, v12 row_bcast:15 row_mask:0xa bank_mask:0xf
	v_cmp_lt_i64_e32 vcc, v[14:15], v[12:13]
	s_nop 1
	v_cndmask_b32_e32 v13, v13, v15, vcc
	v_cndmask_b32_e32 v12, v12, v14, vcc
	s_nop 0
	v_mov_b32_dpp v15, v13 row_bcast:31 row_mask:0xc bank_mask:0xf
	v_mov_b32_dpp v14, v12 row_bcast:31 row_mask:0xc bank_mask:0xf
	v_cmp_lt_i64_e32 vcc, v[14:15], v[12:13]
	s_nop 1
	v_cndmask_b32_e32 v1, v13, v15, vcc
	v_cndmask_b32_e32 v12, v12, v14, vcc
	ds_bpermute_b32 v12, v34, v12
	ds_bpermute_b32 v13, v34, v1
	s_waitcnt lgkmcnt(0)
	v_cmp_le_i64_e32 vcc, s[10:11], v[12:13]
	s_or_b64 s[16:17], vcc, s[16:17]
	s_andn2_b64 exec, exec, s[16:17]
	s_cbranch_execz .LBB101_25
.LBB101_10:                             ; =>This Loop Header: Depth=1
                                        ;     Child Loop BB101_13 Depth 2
	v_lshl_add_u64 v[16:17], v[16:17], 0, v[6:7]
	v_cmp_lt_i64_e32 vcc, v[16:17], v[2:3]
	v_mov_b64_e32 v[14:15], s[10:11]
	v_mov_b64_e32 v[28:29], v[2:3]
	ds_write_b8 v30, v0 offset:2048
	ds_write_b64 v32, v[10:11]
	s_waitcnt lgkmcnt(0)
	s_and_saveexec_b64 s[20:21], vcc
	s_cbranch_execz .LBB101_22
; %bb.11:                               ;   in Loop: Header=BB101_10 Depth=1
	v_lshlrev_b64 v[14:15], 3, v[16:17]
	v_mad_u64_u32 v[18:19], s[0:1], v12, s6, 0
	v_lshl_add_u64 v[20:21], s[14:15], 0, v[14:15]
	v_lshl_add_u64 v[22:23], s[8:9], 0, v[14:15]
	s_mov_b64 s[22:23], 0
	v_mov_b64_e32 v[14:15], s[10:11]
	v_mov_b64_e32 v[24:25], v[2:3]
	s_branch .LBB101_13
.LBB101_12:                             ;   in Loop: Header=BB101_13 Depth=2
	s_or_b64 exec, exec, s[0:1]
	v_lshl_add_u64 v[16:17], v[16:17], 0, 8
	v_cmp_ge_i64_e64 s[0:1], v[16:17], v[2:3]
	s_xor_b64 s[24:25], vcc, -1
	s_or_b64 s[0:1], s[24:25], s[0:1]
	s_and_b64 s[0:1], exec, s[0:1]
	v_lshl_add_u64 v[20:21], v[20:21], 0, 64
	v_lshl_add_u64 v[22:23], v[22:23], 0, 64
	s_or_b64 s[22:23], s[0:1], s[22:23]
	v_mov_b64_e32 v[24:25], v[28:29]
	s_andn2_b64 exec, exec, s[22:23]
	s_cbranch_execz .LBB101_21
.LBB101_13:                             ;   Parent Loop BB101_10 Depth=1
                                        ; =>  This Inner Loop Header: Depth=2
	global_load_dwordx2 v[26:27], v[22:23], off
	v_mov_b32_e32 v1, s29
                                        ; implicit-def: $vgpr28_vgpr29
	s_waitcnt vmcnt(0)
	v_subrev_co_u32_e32 v26, vcc, s28, v26
	s_nop 1
	v_subb_co_u32_e32 v27, vcc, v27, v1, vcc
	v_or_b32_e32 v1, s7, v27
	v_cmp_ne_u64_e32 vcc, 0, v[0:1]
	s_and_saveexec_b64 s[0:1], vcc
	s_xor_b64 s[24:25], exec, s[0:1]
	s_cbranch_execz .LBB101_15
; %bb.14:                               ;   in Loop: Header=BB101_13 Depth=2
	s_add_u32 s0, s6, s18
	s_mov_b32 s19, s18
	s_addc_u32 s1, s7, s18
	s_xor_b64 s[26:27], s[0:1], s[18:19]
	v_cvt_f32_u32_e32 v1, s26
	v_cvt_f32_u32_e32 v19, s27
	s_sub_u32 s0, 0, s26
	s_subb_u32 s1, 0, s27
	v_mov_b32_e32 v37, v0
	v_fmac_f32_e32 v1, 0x4f800000, v19
	v_rcp_f32_e32 v1, v1
	s_nop 0
	v_mul_f32_e32 v1, 0x5f7ffffc, v1
	v_mul_f32_e32 v19, 0x2f800000, v1
	v_trunc_f32_e32 v19, v19
	v_fmac_f32_e32 v1, 0xcf800000, v19
	v_cvt_u32_f32_e32 v19, v19
	v_cvt_u32_f32_e32 v1, v1
	v_mul_lo_u32 v28, s0, v19
	v_mul_hi_u32 v36, s0, v1
	v_mul_lo_u32 v29, s1, v1
	v_add_u32_e32 v28, v36, v28
	v_mul_lo_u32 v38, s0, v1
	v_add_u32_e32 v39, v28, v29
	v_mul_hi_u32 v29, v1, v39
	v_mul_lo_u32 v28, v1, v39
	v_mul_hi_u32 v36, v1, v38
	v_lshl_add_u64 v[28:29], v[36:37], 0, v[28:29]
	v_mul_hi_u32 v37, v19, v38
	v_mul_lo_u32 v38, v19, v38
	v_add_co_u32_e32 v28, vcc, v28, v38
	v_mul_hi_u32 v36, v19, v39
	s_nop 0
	v_addc_co_u32_e32 v28, vcc, v29, v37, vcc
	v_mov_b32_e32 v29, v0
	s_nop 0
	v_addc_co_u32_e32 v37, vcc, 0, v36, vcc
	v_mul_lo_u32 v36, v19, v39
	v_lshl_add_u64 v[28:29], v[28:29], 0, v[36:37]
	v_add_co_u32_e32 v1, vcc, v1, v28
	v_mul_lo_u32 v36, s0, v1
	s_nop 0
	v_addc_co_u32_e32 v19, vcc, v19, v29, vcc
	v_mul_lo_u32 v28, s0, v19
	v_mul_hi_u32 v29, s0, v1
	v_add_u32_e32 v28, v29, v28
	v_mul_lo_u32 v29, s1, v1
	v_add_u32_e32 v38, v28, v29
	v_mul_hi_u32 v40, v19, v36
	v_mul_lo_u32 v41, v19, v36
	v_mul_hi_u32 v29, v1, v38
	v_mul_lo_u32 v28, v1, v38
	v_mul_hi_u32 v36, v1, v36
	v_mov_b32_e32 v37, v0
	v_lshl_add_u64 v[28:29], v[36:37], 0, v[28:29]
	v_add_co_u32_e32 v28, vcc, v28, v41
	v_mul_hi_u32 v39, v19, v38
	s_nop 0
	v_addc_co_u32_e32 v28, vcc, v29, v40, vcc
	v_mul_lo_u32 v36, v19, v38
	s_nop 0
	v_addc_co_u32_e32 v37, vcc, 0, v39, vcc
	v_mov_b32_e32 v29, v0
	v_lshl_add_u64 v[28:29], v[28:29], 0, v[36:37]
	v_add_co_u32_e32 v1, vcc, v1, v28
	v_ashrrev_i32_e32 v28, 31, v27
	s_nop 0
	v_addc_co_u32_e32 v19, vcc, v19, v29, vcc
	v_mov_b32_e32 v29, v28
	v_lshl_add_u64 v[36:37], v[26:27], 0, v[28:29]
	v_xor_b32_e32 v29, v36, v28
	v_xor_b32_e32 v27, v37, v28
	v_mad_u64_u32 v[36:37], s[0:1], v29, v19, 0
	v_mul_hi_u32 v38, v29, v1
	v_mov_b32_e32 v39, v0
	v_lshl_add_u64 v[36:37], v[38:39], 0, v[36:37]
	v_mad_u64_u32 v[40:41], s[0:1], v27, v1, 0
	v_add_co_u32_e32 v1, vcc, v36, v40
	v_mad_u64_u32 v[38:39], s[0:1], v27, v19, 0
	s_nop 0
	v_addc_co_u32_e32 v36, vcc, v37, v41, vcc
	v_mov_b32_e32 v37, v0
	s_nop 0
	v_addc_co_u32_e32 v39, vcc, 0, v39, vcc
	v_lshl_add_u64 v[36:37], v[36:37], 0, v[38:39]
	v_mul_lo_u32 v1, s27, v36
	v_mul_lo_u32 v19, s26, v37
	v_mad_u64_u32 v[38:39], s[0:1], s26, v36, 0
	v_add3_u32 v1, v39, v19, v1
	v_sub_u32_e32 v19, v27, v1
	v_mov_b32_e32 v39, s27
	v_sub_co_u32_e32 v29, vcc, v29, v38
	v_lshl_add_u64 v[40:41], v[36:37], 0, 1
	s_nop 0
	v_subb_co_u32_e64 v19, s[0:1], v19, v39, vcc
	v_subrev_co_u32_e64 v38, s[0:1], s26, v29
	v_subb_co_u32_e32 v1, vcc, v27, v1, vcc
	s_nop 0
	v_subbrev_co_u32_e64 v19, s[0:1], 0, v19, s[0:1]
	v_cmp_le_u32_e64 s[0:1], s27, v19
	v_cmp_le_u32_e32 vcc, s27, v1
	s_nop 0
	v_cndmask_b32_e64 v39, 0, -1, s[0:1]
	v_cmp_le_u32_e64 s[0:1], s26, v38
	v_cndmask_b32_e64 v27, 0, -1, vcc
	v_cmp_le_u32_e32 vcc, s26, v29
	v_cndmask_b32_e64 v38, 0, -1, s[0:1]
	v_cmp_eq_u32_e64 s[0:1], s27, v19
	v_cndmask_b32_e64 v29, 0, -1, vcc
	v_cmp_eq_u32_e32 vcc, s27, v1
	v_cndmask_b32_e64 v19, v39, v38, s[0:1]
	v_lshl_add_u64 v[38:39], v[36:37], 0, 2
	v_cmp_ne_u32_e64 s[0:1], 0, v19
	v_cndmask_b32_e32 v1, v27, v29, vcc
	v_cmp_ne_u32_e32 vcc, 0, v1
	v_cndmask_b32_e64 v19, v41, v39, s[0:1]
	v_xor_b32_e32 v27, s18, v28
	v_cndmask_b32_e32 v1, v37, v19, vcc
	v_cndmask_b32_e64 v19, v40, v38, s[0:1]
	v_cndmask_b32_e32 v19, v36, v19, vcc
	v_xor_b32_e32 v19, v19, v27
	v_xor_b32_e32 v1, v1, v27
	v_sub_co_u32_e32 v28, vcc, v19, v27
	s_nop 1
	v_subb_co_u32_e32 v29, vcc, v1, v27, vcc
.LBB101_15:                             ;   in Loop: Header=BB101_13 Depth=2
	s_andn2_saveexec_b64 s[0:1], s[24:25]
	s_cbranch_execz .LBB101_17
; %bb.16:                               ;   in Loop: Header=BB101_13 Depth=2
	v_cvt_f32_u32_e32 v1, s6
	s_sub_i32 s19, 0, s6
	v_mov_b32_e32 v29, v0
	v_rcp_iflag_f32_e32 v1, v1
	s_nop 0
	v_mul_f32_e32 v1, 0x4f7ffffe, v1
	v_cvt_u32_f32_e32 v1, v1
	v_mul_lo_u32 v19, s19, v1
	v_mul_hi_u32 v19, v1, v19
	v_add_u32_e32 v1, v1, v19
	v_mul_hi_u32 v1, v26, v1
	v_mul_lo_u32 v19, v1, s6
	v_sub_u32_e32 v19, v26, v19
	v_add_u32_e32 v27, 1, v1
	v_subrev_u32_e32 v28, s6, v19
	v_cmp_le_u32_e32 vcc, s6, v19
	s_nop 1
	v_cndmask_b32_e32 v19, v19, v28, vcc
	v_cndmask_b32_e32 v1, v1, v27, vcc
	v_add_u32_e32 v27, 1, v1
	v_cmp_le_u32_e32 vcc, s6, v19
	s_nop 1
	v_cndmask_b32_e32 v28, v1, v27, vcc
.LBB101_17:                             ;   in Loop: Header=BB101_13 Depth=2
	s_or_b64 exec, exec, s[0:1]
	v_cmp_eq_u64_e32 vcc, v[28:29], v[12:13]
	v_cmp_ne_u64_e64 s[0:1], v[28:29], v[12:13]
	s_and_saveexec_b64 s[24:25], s[0:1]
	s_xor_b64 s[24:25], exec, s[24:25]
; %bb.18:                               ;   in Loop: Header=BB101_13 Depth=2
	v_cmp_lt_i64_e64 s[0:1], v[28:29], v[14:15]
                                        ; implicit-def: $vgpr26_vgpr27
                                        ; implicit-def: $vgpr24_vgpr25
	s_nop 1
	v_cndmask_b32_e64 v15, v15, v29, s[0:1]
	v_cndmask_b32_e64 v14, v14, v28, s[0:1]
; %bb.19:                               ;   in Loop: Header=BB101_13 Depth=2
	s_or_saveexec_b64 s[0:1], s[24:25]
	v_mov_b64_e32 v[28:29], v[16:17]
	s_xor_b64 exec, exec, s[0:1]
	s_cbranch_execz .LBB101_12
; %bb.20:                               ;   in Loop: Header=BB101_13 Depth=2
	global_load_dwordx2 v[28:29], v[20:21], off
	v_sub_u32_e32 v1, v26, v18
	v_add_lshl_u32 v1, v31, v1, 3
	ds_write_b8 v30, v35 offset:2048
	s_waitcnt vmcnt(0)
	ds_write_b64 v1, v[28:29]
	v_mov_b64_e32 v[28:29], v[24:25]
	s_branch .LBB101_12
.LBB101_21:                             ;   in Loop: Header=BB101_10 Depth=1
	s_or_b64 exec, exec, s[22:23]
.LBB101_22:                             ;   in Loop: Header=BB101_10 Depth=1
	s_or_b64 exec, exec, s[20:21]
	v_mov_b32_dpp v16, v28 row_shr:1 row_mask:0xf bank_mask:0xf
	v_mov_b32_dpp v17, v29 row_shr:1 row_mask:0xf bank_mask:0xf
	v_cmp_lt_i64_e32 vcc, v[16:17], v[28:29]
	s_waitcnt lgkmcnt(0)
	s_nop 0
	v_cndmask_b32_e32 v17, v29, v17, vcc
	v_cndmask_b32_e32 v16, v28, v16, vcc
	s_nop 0
	v_mov_b32_dpp v19, v17 row_shr:2 row_mask:0xf bank_mask:0xf
	v_mov_b32_dpp v18, v16 row_shr:2 row_mask:0xf bank_mask:0xf
	v_cmp_lt_i64_e32 vcc, v[18:19], v[16:17]
	s_nop 1
	v_cndmask_b32_e32 v17, v17, v19, vcc
	v_cndmask_b32_e32 v16, v16, v18, vcc
	s_nop 0
	v_mov_b32_dpp v19, v17 row_shr:4 row_mask:0xf bank_mask:0xe
	v_mov_b32_dpp v18, v16 row_shr:4 row_mask:0xf bank_mask:0xe
	v_cmp_lt_i64_e32 vcc, v[18:19], v[16:17]
	s_nop 1
	v_cndmask_b32_e32 v1, v17, v19, vcc
	ds_read_u8 v19, v30 offset:2048
	v_cndmask_b32_e32 v16, v16, v18, vcc
	ds_bpermute_b32 v16, v33, v16
	ds_bpermute_b32 v17, v33, v1
	s_waitcnt lgkmcnt(2)
	v_and_b32_e32 v1, 1, v19
	v_cmp_eq_u32_e32 vcc, 1, v1
	v_mov_b64_e32 v[18:19], 0
	s_and_saveexec_b64 s[0:1], vcc
	s_cbranch_execz .LBB101_9
; %bb.23:                               ;   in Loop: Header=BB101_10 Depth=1
	v_lshl_add_u64 v[12:13], v[12:13], 0, s[12:13]
	v_lshl_add_u64 v[18:19], v[4:5], 3, s[2:3]
	global_store_dwordx2 v[18:19], v[12:13], off
	s_and_saveexec_b64 s[20:21], s[4:5]
	s_cbranch_execz .LBB101_8
; %bb.24:                               ;   in Loop: Header=BB101_10 Depth=1
	ds_read_b64 v[12:13], v32
	v_mul_lo_u32 v1, s30, v4
	v_mul_lo_u32 v20, s31, v5
	v_mad_u64_u32 v[18:19], s[22:23], s31, v4, 0
	v_add3_u32 v19, v19, v20, v1
	v_lshl_add_u64 v[18:19], v[18:19], 3, v[8:9]
	s_waitcnt lgkmcnt(0)
	global_store_dwordx2 v[18:19], v[12:13], off
	s_branch .LBB101_8
.LBB101_25:
	s_endpgm
	.section	.rodata,"a",@progbits
	.p2align	6, 0x0
	.amdhsa_kernel _ZN9rocsparseL42csr2bsr_wavefront_per_row_multipass_kernelILj256ELj64ELj8E21rocsparse_complex_numIfEllEEv20rocsparse_direction_T4_S4_S4_S4_S4_21rocsparse_index_base_PKT2_PKT3_PKS4_S5_PS6_PS9_PS4_
		.amdhsa_group_segment_fixed_size 2052
		.amdhsa_private_segment_fixed_size 0
		.amdhsa_kernarg_size 112
		.amdhsa_user_sgpr_count 2
		.amdhsa_user_sgpr_dispatch_ptr 0
		.amdhsa_user_sgpr_queue_ptr 0
		.amdhsa_user_sgpr_kernarg_segment_ptr 1
		.amdhsa_user_sgpr_dispatch_id 0
		.amdhsa_user_sgpr_kernarg_preload_length 0
		.amdhsa_user_sgpr_kernarg_preload_offset 0
		.amdhsa_user_sgpr_private_segment_size 0
		.amdhsa_uses_dynamic_stack 0
		.amdhsa_enable_private_segment 0
		.amdhsa_system_sgpr_workgroup_id_x 1
		.amdhsa_system_sgpr_workgroup_id_y 0
		.amdhsa_system_sgpr_workgroup_id_z 0
		.amdhsa_system_sgpr_workgroup_info 0
		.amdhsa_system_vgpr_workitem_id 0
		.amdhsa_next_free_vgpr 42
		.amdhsa_next_free_sgpr 32
		.amdhsa_accum_offset 44
		.amdhsa_reserve_vcc 1
		.amdhsa_float_round_mode_32 0
		.amdhsa_float_round_mode_16_64 0
		.amdhsa_float_denorm_mode_32 3
		.amdhsa_float_denorm_mode_16_64 3
		.amdhsa_dx10_clamp 1
		.amdhsa_ieee_mode 1
		.amdhsa_fp16_overflow 0
		.amdhsa_tg_split 0
		.amdhsa_exception_fp_ieee_invalid_op 0
		.amdhsa_exception_fp_denorm_src 0
		.amdhsa_exception_fp_ieee_div_zero 0
		.amdhsa_exception_fp_ieee_overflow 0
		.amdhsa_exception_fp_ieee_underflow 0
		.amdhsa_exception_fp_ieee_inexact 0
		.amdhsa_exception_int_div_zero 0
	.end_amdhsa_kernel
	.section	.text._ZN9rocsparseL42csr2bsr_wavefront_per_row_multipass_kernelILj256ELj64ELj8E21rocsparse_complex_numIfEllEEv20rocsparse_direction_T4_S4_S4_S4_S4_21rocsparse_index_base_PKT2_PKT3_PKS4_S5_PS6_PS9_PS4_,"axG",@progbits,_ZN9rocsparseL42csr2bsr_wavefront_per_row_multipass_kernelILj256ELj64ELj8E21rocsparse_complex_numIfEllEEv20rocsparse_direction_T4_S4_S4_S4_S4_21rocsparse_index_base_PKT2_PKT3_PKS4_S5_PS6_PS9_PS4_,comdat
.Lfunc_end101:
	.size	_ZN9rocsparseL42csr2bsr_wavefront_per_row_multipass_kernelILj256ELj64ELj8E21rocsparse_complex_numIfEllEEv20rocsparse_direction_T4_S4_S4_S4_S4_21rocsparse_index_base_PKT2_PKT3_PKS4_S5_PS6_PS9_PS4_, .Lfunc_end101-_ZN9rocsparseL42csr2bsr_wavefront_per_row_multipass_kernelILj256ELj64ELj8E21rocsparse_complex_numIfEllEEv20rocsparse_direction_T4_S4_S4_S4_S4_21rocsparse_index_base_PKT2_PKT3_PKS4_S5_PS6_PS9_PS4_
                                        ; -- End function
	.section	.AMDGPU.csdata,"",@progbits
; Kernel info:
; codeLenInByte = 2300
; NumSgprs: 38
; NumVgprs: 42
; NumAgprs: 0
; TotalNumVgprs: 42
; ScratchSize: 0
; MemoryBound: 0
; FloatMode: 240
; IeeeMode: 1
; LDSByteSize: 2052 bytes/workgroup (compile time only)
; SGPRBlocks: 4
; VGPRBlocks: 5
; NumSGPRsForWavesPerEU: 38
; NumVGPRsForWavesPerEU: 42
; AccumOffset: 44
; Occupancy: 8
; WaveLimiterHint : 0
; COMPUTE_PGM_RSRC2:SCRATCH_EN: 0
; COMPUTE_PGM_RSRC2:USER_SGPR: 2
; COMPUTE_PGM_RSRC2:TRAP_HANDLER: 0
; COMPUTE_PGM_RSRC2:TGID_X_EN: 1
; COMPUTE_PGM_RSRC2:TGID_Y_EN: 0
; COMPUTE_PGM_RSRC2:TGID_Z_EN: 0
; COMPUTE_PGM_RSRC2:TIDIG_COMP_CNT: 0
; COMPUTE_PGM_RSRC3_GFX90A:ACCUM_OFFSET: 10
; COMPUTE_PGM_RSRC3_GFX90A:TG_SPLIT: 0
	.section	.text._ZN9rocsparseL42csr2bsr_wavefront_per_row_multipass_kernelILj256ELj32ELj8E21rocsparse_complex_numIfEllEEv20rocsparse_direction_T4_S4_S4_S4_S4_21rocsparse_index_base_PKT2_PKT3_PKS4_S5_PS6_PS9_PS4_,"axG",@progbits,_ZN9rocsparseL42csr2bsr_wavefront_per_row_multipass_kernelILj256ELj32ELj8E21rocsparse_complex_numIfEllEEv20rocsparse_direction_T4_S4_S4_S4_S4_21rocsparse_index_base_PKT2_PKT3_PKS4_S5_PS6_PS9_PS4_,comdat
	.globl	_ZN9rocsparseL42csr2bsr_wavefront_per_row_multipass_kernelILj256ELj32ELj8E21rocsparse_complex_numIfEllEEv20rocsparse_direction_T4_S4_S4_S4_S4_21rocsparse_index_base_PKT2_PKT3_PKS4_S5_PS6_PS9_PS4_ ; -- Begin function _ZN9rocsparseL42csr2bsr_wavefront_per_row_multipass_kernelILj256ELj32ELj8E21rocsparse_complex_numIfEllEEv20rocsparse_direction_T4_S4_S4_S4_S4_21rocsparse_index_base_PKT2_PKT3_PKS4_S5_PS6_PS9_PS4_
	.p2align	8
	.type	_ZN9rocsparseL42csr2bsr_wavefront_per_row_multipass_kernelILj256ELj32ELj8E21rocsparse_complex_numIfEllEEv20rocsparse_direction_T4_S4_S4_S4_S4_21rocsparse_index_base_PKT2_PKT3_PKS4_S5_PS6_PS9_PS4_,@function
_ZN9rocsparseL42csr2bsr_wavefront_per_row_multipass_kernelILj256ELj32ELj8E21rocsparse_complex_numIfEllEEv20rocsparse_direction_T4_S4_S4_S4_S4_21rocsparse_index_base_PKT2_PKT3_PKS4_S5_PS6_PS9_PS4_: ; @_ZN9rocsparseL42csr2bsr_wavefront_per_row_multipass_kernelILj256ELj32ELj8E21rocsparse_complex_numIfEllEEv20rocsparse_direction_T4_S4_S4_S4_S4_21rocsparse_index_base_PKT2_PKT3_PKS4_S5_PS6_PS9_PS4_
; %bb.0:
	s_load_dwordx2 s[4:5], s[0:1], 0x8
	s_load_dwordx4 s[8:11], s[0:1], 0x18
	s_load_dwordx2 s[6:7], s[0:1], 0x28
	s_load_dword s33, s[0:1], 0x30
	s_load_dwordx2 s[12:13], s[0:1], 0x40
	s_ashr_i32 s3, s2, 31
	v_lshrrev_b32_e32 v36, 5, v0
	s_lshl_b64 s[14:15], s[2:3], 3
	v_bfe_u32 v10, v0, 2, 3
	v_mov_b32_e32 v11, 0
	v_or_b32_e32 v1, s14, v36
	s_waitcnt lgkmcnt(0)
	v_mul_lo_u32 v2, v1, s7
	v_mad_u64_u32 v[4:5], s[16:17], v1, s6, v[10:11]
	s_mul_i32 s3, s15, s6
	v_add3_u32 v5, s3, v5, v2
	v_cmp_gt_i64_e32 vcc, s[4:5], v[4:5]
	v_cmp_gt_i64_e64 s[4:5], s[6:7], v[10:11]
	v_mov_b64_e32 v[2:3], 0
	s_and_b64 s[14:15], s[4:5], vcc
	v_mov_b64_e32 v[22:23], v[2:3]
	s_and_saveexec_b64 s[16:17], s[14:15]
	s_cbranch_execz .LBB102_2
; %bb.1:
	v_lshl_add_u64 v[6:7], v[4:5], 3, s[12:13]
	global_load_dwordx2 v[6:7], v[6:7], off
	s_waitcnt vmcnt(0)
	v_subrev_co_u32_e32 v22, vcc, s33, v6
	s_nop 1
	v_subbrev_co_u32_e32 v23, vcc, 0, v7, vcc
.LBB102_2:
	s_or_b64 exec, exec, s[16:17]
	s_and_saveexec_b64 s[16:17], s[14:15]
	s_cbranch_execz .LBB102_4
; %bb.3:
	v_lshl_add_u64 v[2:3], v[4:5], 3, s[12:13]
	global_load_dwordx2 v[2:3], v[2:3], off offset:8
	s_waitcnt vmcnt(0)
	v_subrev_co_u32_e32 v2, vcc, s33, v2
	s_nop 1
	v_subbrev_co_u32_e32 v3, vcc, 0, v3, vcc
.LBB102_4:
	s_or_b64 exec, exec, s[16:17]
	s_load_dword s12, s[0:1], 0x50
	v_lshl_or_b32 v6, s2, 3, v36
	v_mov_b32_e32 v7, 0
	v_cmp_gt_i64_e32 vcc, s[8:9], v[6:7]
	v_mov_b64_e32 v[4:5], 0
	s_and_saveexec_b64 s[2:3], vcc
	s_cbranch_execz .LBB102_6
; %bb.5:
	s_load_dwordx2 s[8:9], s[0:1], 0x60
	s_waitcnt lgkmcnt(0)
	v_lshl_add_u64 v[4:5], v[6:7], 3, s[8:9]
	global_load_dwordx2 v[4:5], v[4:5], off
	s_waitcnt vmcnt(0)
	v_subrev_co_u32_e32 v4, vcc, s12, v4
	s_nop 1
	v_subbrev_co_u32_e32 v5, vcc, 0, v5, vcc
.LBB102_6:
	s_or_b64 exec, exec, s[2:3]
	v_cmp_lt_i64_e64 s[2:3], s[10:11], 1
	s_and_b64 vcc, exec, s[2:3]
	s_cbranch_vccnz .LBB102_27
; %bb.7:
	s_mul_i32 s2, s6, s7
	s_mul_hi_u32 s3, s6, s6
	s_add_i32 s3, s3, s2
	s_load_dwordx2 s[8:9], s[0:1], 0x68
	s_add_i32 s34, s3, s2
	s_load_dwordx2 s[2:3], s[0:1], 0x58
	s_load_dwordx2 s[14:15], s[0:1], 0x48
	;; [unrolled: 1-line block ×3, first 2 shown]
	s_load_dword s18, s[0:1], 0x0
	v_mov_b32_e32 v6, 0
	v_lshlrev_b32_e32 v12, 3, v10
	v_mov_b32_e32 v13, v6
	s_waitcnt lgkmcnt(0)
	v_lshl_add_u64 v[8:9], s[2:3], 0, v[12:13]
	v_lshl_or_b32 v37, v36, 6, v12
	s_cmp_eq_u32 s18, 0
	v_mad_u64_u32 v[12:13], s[18:19], v10, s6, 0
	v_mov_b32_e32 v14, v13
	v_mad_u64_u32 v[10:11], s[18:19], v10, s7, v[14:15]
	v_and_b32_e32 v0, 3, v0
	v_mov_b32_e32 v13, v10
	v_lshl_add_u64 v[10:11], v[12:13], 3, s[2:3]
	v_mad_u64_u32 v[12:13], s[2:3], v0, s6, 0
	v_mov_b32_e32 v14, v13
	v_mad_u64_u32 v[14:15], s[2:3], v0, s7, v[14:15]
	v_or_b32_e32 v16, 4, v0
	v_mbcnt_lo_u32_b32 v7, -1, 0
	v_mov_b32_e32 v13, v14
	v_mad_u64_u32 v[14:15], s[18:19], v16, s6, 0
	v_mov_b32_e32 v1, v6
	v_mbcnt_hi_u32_b32 v7, -1, v7
	v_mov_b32_e32 v17, v6
	v_mov_b32_e32 v18, v15
	s_mov_b32 s36, 0
	v_lshlrev_b32_e32 v7, 2, v7
	v_cmp_gt_u64_e32 vcc, s[6:7], v[0:1]
	v_cmp_gt_u64_e64 s[2:3], s[6:7], v[16:17]
	v_mad_u64_u32 v[16:17], s[18:19], v16, s7, v[18:19]
	v_or_b32_e32 v38, 12, v7
	s_cselect_b64 s[0:1], -1, 0
	v_or_b32_e32 v39, 0x7c, v7
	v_or_b32_e32 v7, v37, v0
	s_and_b64 s[18:19], s[4:5], vcc
	s_and_b64 s[4:5], s[4:5], s[2:3]
	s_mov_b32 s2, s36
	s_mov_b32 s3, s36
	s_mul_i32 s35, s6, s6
	s_mov_b32 s13, s36
	v_lshlrev_b32_e32 v40, 3, v7
	v_mov_b32_e32 v15, v16
	s_mov_b64 s[20:21], 0
	v_mov_b64_e32 v[20:21], 0
	v_mov_b64_e32 v[16:17], s[2:3]
	s_ashr_i32 s22, s7, 31
	v_mov_b32_e32 v41, 1
	s_branch .LBB102_10
.LBB102_8:                              ;   in Loop: Header=BB102_10 Depth=1
	s_or_b64 exec, exec, s[24:25]
	v_mov_b64_e32 v[24:25], 1
.LBB102_9:                              ;   in Loop: Header=BB102_10 Depth=1
	s_or_b64 exec, exec, s[2:3]
	v_mov_b32_dpp v20, v18 row_shr:1 row_mask:0xf bank_mask:0xf
	v_mov_b32_dpp v21, v19 row_shr:1 row_mask:0xf bank_mask:0xf
	v_cmp_lt_i64_e32 vcc, v[20:21], v[18:19]
	v_lshl_add_u64 v[4:5], v[24:25], 0, v[4:5]
	s_waitcnt lgkmcnt(0)
	v_cndmask_b32_e32 v19, v19, v21, vcc
	v_cndmask_b32_e32 v18, v18, v20, vcc
	s_nop 0
	v_mov_b32_dpp v21, v19 row_shr:2 row_mask:0xf bank_mask:0xf
	v_mov_b32_dpp v20, v18 row_shr:2 row_mask:0xf bank_mask:0xf
	v_cmp_lt_i64_e32 vcc, v[20:21], v[18:19]
	s_nop 1
	v_cndmask_b32_e32 v19, v19, v21, vcc
	v_cndmask_b32_e32 v18, v18, v20, vcc
	s_nop 0
	v_mov_b32_dpp v21, v19 row_shr:4 row_mask:0xf bank_mask:0xe
	v_mov_b32_dpp v20, v18 row_shr:4 row_mask:0xf bank_mask:0xe
	v_cmp_lt_i64_e32 vcc, v[20:21], v[18:19]
	s_nop 1
	;; [unrolled: 7-line block ×3, first 2 shown]
	v_cndmask_b32_e32 v19, v19, v21, vcc
	v_cndmask_b32_e32 v18, v18, v20, vcc
	s_nop 0
	v_mov_b32_dpp v21, v19 row_bcast:15 row_mask:0xa bank_mask:0xf
	v_mov_b32_dpp v20, v18 row_bcast:15 row_mask:0xa bank_mask:0xf
	v_cmp_lt_i64_e32 vcc, v[20:21], v[18:19]
	s_nop 1
	v_cndmask_b32_e32 v7, v19, v21, vcc
	v_cndmask_b32_e32 v18, v18, v20, vcc
	ds_bpermute_b32 v20, v39, v18
	ds_bpermute_b32 v21, v39, v7
	s_waitcnt lgkmcnt(0)
	v_cmp_le_i64_e32 vcc, s[10:11], v[20:21]
	s_or_b64 s[20:21], vcc, s[20:21]
	s_andn2_b64 exec, exec, s[20:21]
	s_cbranch_execz .LBB102_27
.LBB102_10:                             ; =>This Loop Header: Depth=1
                                        ;     Child Loop BB102_13 Depth 2
	v_lshl_add_u64 v[22:23], v[22:23], 0, v[0:1]
	v_cmp_lt_i64_e32 vcc, v[22:23], v[2:3]
	v_mov_b64_e32 v[18:19], s[10:11]
	v_mov_b64_e32 v[34:35], v[2:3]
	ds_write_b8 v36, v6 offset:4096
	ds_write2_b64 v40, v[16:17], v[16:17] offset1:4
	s_waitcnt lgkmcnt(0)
	s_and_saveexec_b64 s[24:25], vcc
	s_cbranch_execz .LBB102_22
; %bb.11:                               ;   in Loop: Header=BB102_10 Depth=1
	v_lshlrev_b64 v[18:19], 3, v[22:23]
	v_mad_u64_u32 v[24:25], s[2:3], v20, s6, 0
	v_lshl_add_u64 v[26:27], s[16:17], 0, v[18:19]
	v_lshl_add_u64 v[28:29], s[14:15], 0, v[18:19]
	s_mov_b64 s[26:27], 0
	v_mov_b64_e32 v[18:19], s[10:11]
	v_mov_b64_e32 v[30:31], v[2:3]
	s_branch .LBB102_13
.LBB102_12:                             ;   in Loop: Header=BB102_13 Depth=2
	s_or_b64 exec, exec, s[2:3]
	v_lshl_add_u64 v[22:23], v[22:23], 0, 4
	v_cmp_ge_i64_e64 s[2:3], v[22:23], v[2:3]
	s_xor_b64 s[28:29], vcc, -1
	s_or_b64 s[2:3], s[28:29], s[2:3]
	s_and_b64 s[2:3], exec, s[2:3]
	v_lshl_add_u64 v[26:27], v[26:27], 0, 32
	v_lshl_add_u64 v[28:29], v[28:29], 0, 32
	s_or_b64 s[26:27], s[2:3], s[26:27]
	v_mov_b64_e32 v[30:31], v[34:35]
	s_andn2_b64 exec, exec, s[26:27]
	s_cbranch_execz .LBB102_21
.LBB102_13:                             ;   Parent Loop BB102_10 Depth=1
                                        ; =>  This Inner Loop Header: Depth=2
	global_load_dwordx2 v[32:33], v[28:29], off
	v_mov_b32_e32 v7, s36
                                        ; implicit-def: $vgpr34_vgpr35
	s_waitcnt vmcnt(0)
	v_subrev_co_u32_e32 v32, vcc, s33, v32
	s_nop 1
	v_subb_co_u32_e32 v33, vcc, v33, v7, vcc
	v_or_b32_e32 v7, s7, v33
	v_cmp_ne_u64_e32 vcc, 0, v[6:7]
	s_and_saveexec_b64 s[2:3], vcc
	s_xor_b64 s[28:29], exec, s[2:3]
	s_cbranch_execz .LBB102_15
; %bb.14:                               ;   in Loop: Header=BB102_13 Depth=2
	s_add_u32 s2, s6, s22
	s_mov_b32 s23, s22
	s_addc_u32 s3, s7, s22
	s_xor_b64 s[30:31], s[2:3], s[22:23]
	v_cvt_f32_u32_e32 v7, s30
	v_cvt_f32_u32_e32 v25, s31
	s_sub_u32 s2, 0, s30
	s_subb_u32 s3, 0, s31
	v_mov_b32_e32 v43, v6
	v_fmac_f32_e32 v7, 0x4f800000, v25
	v_rcp_f32_e32 v7, v7
	s_nop 0
	v_mul_f32_e32 v7, 0x5f7ffffc, v7
	v_mul_f32_e32 v25, 0x2f800000, v7
	v_trunc_f32_e32 v25, v25
	v_fmac_f32_e32 v7, 0xcf800000, v25
	v_cvt_u32_f32_e32 v25, v25
	v_cvt_u32_f32_e32 v7, v7
	v_mul_lo_u32 v34, s2, v25
	v_mul_hi_u32 v42, s2, v7
	v_mul_lo_u32 v35, s3, v7
	v_add_u32_e32 v34, v42, v34
	v_mul_lo_u32 v44, s2, v7
	v_add_u32_e32 v45, v34, v35
	v_mul_hi_u32 v35, v7, v45
	v_mul_lo_u32 v34, v7, v45
	v_mul_hi_u32 v42, v7, v44
	v_lshl_add_u64 v[34:35], v[42:43], 0, v[34:35]
	v_mul_hi_u32 v43, v25, v44
	v_mul_lo_u32 v44, v25, v44
	v_add_co_u32_e32 v34, vcc, v34, v44
	v_mul_hi_u32 v42, v25, v45
	s_nop 0
	v_addc_co_u32_e32 v34, vcc, v35, v43, vcc
	v_mov_b32_e32 v35, v6
	s_nop 0
	v_addc_co_u32_e32 v43, vcc, 0, v42, vcc
	v_mul_lo_u32 v42, v25, v45
	v_lshl_add_u64 v[34:35], v[34:35], 0, v[42:43]
	v_add_co_u32_e32 v7, vcc, v7, v34
	v_mul_lo_u32 v42, s2, v7
	s_nop 0
	v_addc_co_u32_e32 v25, vcc, v25, v35, vcc
	v_mul_lo_u32 v34, s2, v25
	v_mul_hi_u32 v35, s2, v7
	v_add_u32_e32 v34, v35, v34
	v_mul_lo_u32 v35, s3, v7
	v_add_u32_e32 v44, v34, v35
	v_mul_hi_u32 v46, v25, v42
	v_mul_lo_u32 v47, v25, v42
	v_mul_hi_u32 v35, v7, v44
	v_mul_lo_u32 v34, v7, v44
	v_mul_hi_u32 v42, v7, v42
	v_mov_b32_e32 v43, v6
	v_lshl_add_u64 v[34:35], v[42:43], 0, v[34:35]
	v_add_co_u32_e32 v34, vcc, v34, v47
	v_mul_hi_u32 v45, v25, v44
	s_nop 0
	v_addc_co_u32_e32 v34, vcc, v35, v46, vcc
	v_mul_lo_u32 v42, v25, v44
	s_nop 0
	v_addc_co_u32_e32 v43, vcc, 0, v45, vcc
	v_mov_b32_e32 v35, v6
	v_lshl_add_u64 v[34:35], v[34:35], 0, v[42:43]
	v_add_co_u32_e32 v7, vcc, v7, v34
	v_ashrrev_i32_e32 v34, 31, v33
	s_nop 0
	v_addc_co_u32_e32 v25, vcc, v25, v35, vcc
	v_mov_b32_e32 v35, v34
	v_lshl_add_u64 v[42:43], v[32:33], 0, v[34:35]
	v_xor_b32_e32 v35, v42, v34
	v_xor_b32_e32 v33, v43, v34
	v_mad_u64_u32 v[42:43], s[2:3], v35, v25, 0
	v_mul_hi_u32 v44, v35, v7
	v_mov_b32_e32 v45, v6
	v_lshl_add_u64 v[42:43], v[44:45], 0, v[42:43]
	v_mad_u64_u32 v[46:47], s[2:3], v33, v7, 0
	v_add_co_u32_e32 v7, vcc, v42, v46
	v_mad_u64_u32 v[44:45], s[2:3], v33, v25, 0
	s_nop 0
	v_addc_co_u32_e32 v42, vcc, v43, v47, vcc
	v_mov_b32_e32 v43, v6
	s_nop 0
	v_addc_co_u32_e32 v45, vcc, 0, v45, vcc
	v_lshl_add_u64 v[42:43], v[42:43], 0, v[44:45]
	v_mul_lo_u32 v7, s31, v42
	v_mul_lo_u32 v25, s30, v43
	v_mad_u64_u32 v[44:45], s[2:3], s30, v42, 0
	v_add3_u32 v7, v45, v25, v7
	v_sub_u32_e32 v25, v33, v7
	v_mov_b32_e32 v45, s31
	v_sub_co_u32_e32 v35, vcc, v35, v44
	v_lshl_add_u64 v[46:47], v[42:43], 0, 1
	s_nop 0
	v_subb_co_u32_e64 v25, s[2:3], v25, v45, vcc
	v_subrev_co_u32_e64 v44, s[2:3], s30, v35
	v_subb_co_u32_e32 v7, vcc, v33, v7, vcc
	s_nop 0
	v_subbrev_co_u32_e64 v25, s[2:3], 0, v25, s[2:3]
	v_cmp_le_u32_e64 s[2:3], s31, v25
	v_cmp_le_u32_e32 vcc, s31, v7
	s_nop 0
	v_cndmask_b32_e64 v45, 0, -1, s[2:3]
	v_cmp_le_u32_e64 s[2:3], s30, v44
	v_cndmask_b32_e64 v33, 0, -1, vcc
	v_cmp_le_u32_e32 vcc, s30, v35
	v_cndmask_b32_e64 v44, 0, -1, s[2:3]
	v_cmp_eq_u32_e64 s[2:3], s31, v25
	v_cndmask_b32_e64 v35, 0, -1, vcc
	v_cmp_eq_u32_e32 vcc, s31, v7
	v_cndmask_b32_e64 v25, v45, v44, s[2:3]
	v_lshl_add_u64 v[44:45], v[42:43], 0, 2
	v_cmp_ne_u32_e64 s[2:3], 0, v25
	v_cndmask_b32_e32 v7, v33, v35, vcc
	v_cmp_ne_u32_e32 vcc, 0, v7
	v_cndmask_b32_e64 v25, v47, v45, s[2:3]
	v_xor_b32_e32 v33, s22, v34
	v_cndmask_b32_e32 v7, v43, v25, vcc
	v_cndmask_b32_e64 v25, v46, v44, s[2:3]
	v_cndmask_b32_e32 v25, v42, v25, vcc
	v_xor_b32_e32 v25, v25, v33
	v_xor_b32_e32 v7, v7, v33
	v_sub_co_u32_e32 v34, vcc, v25, v33
	s_nop 1
	v_subb_co_u32_e32 v35, vcc, v7, v33, vcc
.LBB102_15:                             ;   in Loop: Header=BB102_13 Depth=2
	s_andn2_saveexec_b64 s[2:3], s[28:29]
	s_cbranch_execz .LBB102_17
; %bb.16:                               ;   in Loop: Header=BB102_13 Depth=2
	v_cvt_f32_u32_e32 v7, s6
	s_sub_i32 s23, 0, s6
	v_mov_b32_e32 v35, v6
	v_rcp_iflag_f32_e32 v7, v7
	s_nop 0
	v_mul_f32_e32 v7, 0x4f7ffffe, v7
	v_cvt_u32_f32_e32 v7, v7
	v_mul_lo_u32 v25, s23, v7
	v_mul_hi_u32 v25, v7, v25
	v_add_u32_e32 v7, v7, v25
	v_mul_hi_u32 v7, v32, v7
	v_mul_lo_u32 v25, v7, s6
	v_sub_u32_e32 v25, v32, v25
	v_add_u32_e32 v33, 1, v7
	v_subrev_u32_e32 v34, s6, v25
	v_cmp_le_u32_e32 vcc, s6, v25
	s_nop 1
	v_cndmask_b32_e32 v25, v25, v34, vcc
	v_cndmask_b32_e32 v7, v7, v33, vcc
	v_add_u32_e32 v33, 1, v7
	v_cmp_le_u32_e32 vcc, s6, v25
	s_nop 1
	v_cndmask_b32_e32 v34, v7, v33, vcc
.LBB102_17:                             ;   in Loop: Header=BB102_13 Depth=2
	s_or_b64 exec, exec, s[2:3]
	v_cmp_eq_u64_e32 vcc, v[34:35], v[20:21]
	v_cmp_ne_u64_e64 s[2:3], v[34:35], v[20:21]
	s_and_saveexec_b64 s[28:29], s[2:3]
	s_xor_b64 s[28:29], exec, s[28:29]
; %bb.18:                               ;   in Loop: Header=BB102_13 Depth=2
	v_cmp_lt_i64_e64 s[2:3], v[34:35], v[18:19]
                                        ; implicit-def: $vgpr32_vgpr33
                                        ; implicit-def: $vgpr30_vgpr31
	s_nop 1
	v_cndmask_b32_e64 v19, v19, v35, s[2:3]
	v_cndmask_b32_e64 v18, v18, v34, s[2:3]
; %bb.19:                               ;   in Loop: Header=BB102_13 Depth=2
	s_or_saveexec_b64 s[2:3], s[28:29]
	v_mov_b64_e32 v[34:35], v[22:23]
	s_xor_b64 exec, exec, s[2:3]
	s_cbranch_execz .LBB102_12
; %bb.20:                               ;   in Loop: Header=BB102_13 Depth=2
	global_load_dwordx2 v[34:35], v[26:27], off
	v_sub_u32_e32 v7, v32, v24
	v_add_lshl_u32 v7, v37, v7, 3
	ds_write_b8 v36, v41 offset:4096
	s_waitcnt vmcnt(0)
	ds_write_b64 v7, v[34:35]
	v_mov_b64_e32 v[34:35], v[30:31]
	s_branch .LBB102_12
.LBB102_21:                             ;   in Loop: Header=BB102_10 Depth=1
	s_or_b64 exec, exec, s[26:27]
.LBB102_22:                             ;   in Loop: Header=BB102_10 Depth=1
	s_or_b64 exec, exec, s[24:25]
	v_mov_b32_dpp v22, v34 row_shr:1 row_mask:0xf bank_mask:0xf
	v_mov_b32_dpp v23, v35 row_shr:1 row_mask:0xf bank_mask:0xf
	v_cmp_lt_i64_e32 vcc, v[22:23], v[34:35]
	s_waitcnt lgkmcnt(0)
	s_nop 0
	v_cndmask_b32_e32 v23, v35, v23, vcc
	v_cndmask_b32_e32 v22, v34, v22, vcc
	s_nop 0
	v_mov_b32_dpp v25, v23 row_shr:2 row_mask:0xf bank_mask:0xf
	v_mov_b32_dpp v24, v22 row_shr:2 row_mask:0xf bank_mask:0xf
	v_cmp_lt_i64_e32 vcc, v[24:25], v[22:23]
	s_nop 1
	v_cndmask_b32_e32 v7, v23, v25, vcc
	ds_read_u8 v25, v36 offset:4096
	v_cndmask_b32_e32 v22, v22, v24, vcc
	ds_bpermute_b32 v22, v38, v22
	ds_bpermute_b32 v23, v38, v7
	s_waitcnt lgkmcnt(2)
	v_and_b32_e32 v7, 1, v25
	v_cmp_eq_u32_e32 vcc, 1, v7
	v_mov_b64_e32 v[24:25], 0
	s_and_saveexec_b64 s[2:3], vcc
	s_cbranch_execz .LBB102_9
; %bb.23:                               ;   in Loop: Header=BB102_10 Depth=1
	v_lshl_add_u64 v[20:21], v[20:21], 0, s[12:13]
	v_lshl_add_u64 v[24:25], v[4:5], 3, s[8:9]
	global_store_dwordx2 v[24:25], v[20:21], off
	v_mul_lo_u32 v7, s34, v4
	v_mul_lo_u32 v24, s35, v5
	v_mad_u64_u32 v[20:21], s[24:25], s35, v4, 0
	v_add3_u32 v21, v21, v24, v7
	v_lshlrev_b64 v[24:25], 3, v[20:21]
	v_lshl_add_u64 v[20:21], v[8:9], 0, v[24:25]
	v_lshl_add_u64 v[24:25], v[10:11], 0, v[24:25]
	v_lshlrev_b32_e32 v26, 3, v0
	s_and_saveexec_b64 s[24:25], s[18:19]
	s_cbranch_execz .LBB102_25
; %bb.24:                               ;   in Loop: Header=BB102_10 Depth=1
	ds_read_b64 v[30:31], v40
	v_mov_b32_e32 v27, v6
	v_lshl_add_u64 v[28:29], v[12:13], 3, v[20:21]
	v_lshl_add_u64 v[32:33], v[24:25], 0, v[26:27]
	v_cndmask_b32_e64 v29, v29, v33, s[0:1]
	v_cndmask_b32_e64 v28, v28, v32, s[0:1]
	s_waitcnt lgkmcnt(0)
	global_store_dwordx2 v[28:29], v[30:31], off
.LBB102_25:                             ;   in Loop: Header=BB102_10 Depth=1
	s_or_b64 exec, exec, s[24:25]
	s_and_saveexec_b64 s[24:25], s[4:5]
	s_cbranch_execz .LBB102_8
; %bb.26:                               ;   in Loop: Header=BB102_10 Depth=1
	v_mov_b32_e32 v27, v6
	v_lshl_add_u64 v[24:25], v[24:25], 0, v[26:27]
	ds_read_b64 v[26:27], v40 offset:32
	v_lshl_add_u64 v[24:25], v[24:25], 0, 32
	v_lshl_add_u64 v[20:21], v[14:15], 3, v[20:21]
	v_cndmask_b32_e64 v21, v21, v25, s[0:1]
	v_cndmask_b32_e64 v20, v20, v24, s[0:1]
	s_waitcnt lgkmcnt(0)
	global_store_dwordx2 v[20:21], v[26:27], off
	s_branch .LBB102_8
.LBB102_27:
	s_endpgm
	.section	.rodata,"a",@progbits
	.p2align	6, 0x0
	.amdhsa_kernel _ZN9rocsparseL42csr2bsr_wavefront_per_row_multipass_kernelILj256ELj32ELj8E21rocsparse_complex_numIfEllEEv20rocsparse_direction_T4_S4_S4_S4_S4_21rocsparse_index_base_PKT2_PKT3_PKS4_S5_PS6_PS9_PS4_
		.amdhsa_group_segment_fixed_size 4104
		.amdhsa_private_segment_fixed_size 0
		.amdhsa_kernarg_size 112
		.amdhsa_user_sgpr_count 2
		.amdhsa_user_sgpr_dispatch_ptr 0
		.amdhsa_user_sgpr_queue_ptr 0
		.amdhsa_user_sgpr_kernarg_segment_ptr 1
		.amdhsa_user_sgpr_dispatch_id 0
		.amdhsa_user_sgpr_kernarg_preload_length 0
		.amdhsa_user_sgpr_kernarg_preload_offset 0
		.amdhsa_user_sgpr_private_segment_size 0
		.amdhsa_uses_dynamic_stack 0
		.amdhsa_enable_private_segment 0
		.amdhsa_system_sgpr_workgroup_id_x 1
		.amdhsa_system_sgpr_workgroup_id_y 0
		.amdhsa_system_sgpr_workgroup_id_z 0
		.amdhsa_system_sgpr_workgroup_info 0
		.amdhsa_system_vgpr_workitem_id 0
		.amdhsa_next_free_vgpr 48
		.amdhsa_next_free_sgpr 37
		.amdhsa_accum_offset 48
		.amdhsa_reserve_vcc 1
		.amdhsa_float_round_mode_32 0
		.amdhsa_float_round_mode_16_64 0
		.amdhsa_float_denorm_mode_32 3
		.amdhsa_float_denorm_mode_16_64 3
		.amdhsa_dx10_clamp 1
		.amdhsa_ieee_mode 1
		.amdhsa_fp16_overflow 0
		.amdhsa_tg_split 0
		.amdhsa_exception_fp_ieee_invalid_op 0
		.amdhsa_exception_fp_denorm_src 0
		.amdhsa_exception_fp_ieee_div_zero 0
		.amdhsa_exception_fp_ieee_overflow 0
		.amdhsa_exception_fp_ieee_underflow 0
		.amdhsa_exception_fp_ieee_inexact 0
		.amdhsa_exception_int_div_zero 0
	.end_amdhsa_kernel
	.section	.text._ZN9rocsparseL42csr2bsr_wavefront_per_row_multipass_kernelILj256ELj32ELj8E21rocsparse_complex_numIfEllEEv20rocsparse_direction_T4_S4_S4_S4_S4_21rocsparse_index_base_PKT2_PKT3_PKS4_S5_PS6_PS9_PS4_,"axG",@progbits,_ZN9rocsparseL42csr2bsr_wavefront_per_row_multipass_kernelILj256ELj32ELj8E21rocsparse_complex_numIfEllEEv20rocsparse_direction_T4_S4_S4_S4_S4_21rocsparse_index_base_PKT2_PKT3_PKS4_S5_PS6_PS9_PS4_,comdat
.Lfunc_end102:
	.size	_ZN9rocsparseL42csr2bsr_wavefront_per_row_multipass_kernelILj256ELj32ELj8E21rocsparse_complex_numIfEllEEv20rocsparse_direction_T4_S4_S4_S4_S4_21rocsparse_index_base_PKT2_PKT3_PKS4_S5_PS6_PS9_PS4_, .Lfunc_end102-_ZN9rocsparseL42csr2bsr_wavefront_per_row_multipass_kernelILj256ELj32ELj8E21rocsparse_complex_numIfEllEEv20rocsparse_direction_T4_S4_S4_S4_S4_21rocsparse_index_base_PKT2_PKT3_PKS4_S5_PS6_PS9_PS4_
                                        ; -- End function
	.section	.AMDGPU.csdata,"",@progbits
; Kernel info:
; codeLenInByte = 2372
; NumSgprs: 43
; NumVgprs: 48
; NumAgprs: 0
; TotalNumVgprs: 48
; ScratchSize: 0
; MemoryBound: 0
; FloatMode: 240
; IeeeMode: 1
; LDSByteSize: 4104 bytes/workgroup (compile time only)
; SGPRBlocks: 5
; VGPRBlocks: 5
; NumSGPRsForWavesPerEU: 43
; NumVGPRsForWavesPerEU: 48
; AccumOffset: 48
; Occupancy: 8
; WaveLimiterHint : 0
; COMPUTE_PGM_RSRC2:SCRATCH_EN: 0
; COMPUTE_PGM_RSRC2:USER_SGPR: 2
; COMPUTE_PGM_RSRC2:TRAP_HANDLER: 0
; COMPUTE_PGM_RSRC2:TGID_X_EN: 1
; COMPUTE_PGM_RSRC2:TGID_Y_EN: 0
; COMPUTE_PGM_RSRC2:TGID_Z_EN: 0
; COMPUTE_PGM_RSRC2:TIDIG_COMP_CNT: 0
; COMPUTE_PGM_RSRC3_GFX90A:ACCUM_OFFSET: 11
; COMPUTE_PGM_RSRC3_GFX90A:TG_SPLIT: 0
	.section	.text._ZN9rocsparseL42csr2bsr_wavefront_per_row_multipass_kernelILj256ELj64ELj16E21rocsparse_complex_numIfEllEEv20rocsparse_direction_T4_S4_S4_S4_S4_21rocsparse_index_base_PKT2_PKT3_PKS4_S5_PS6_PS9_PS4_,"axG",@progbits,_ZN9rocsparseL42csr2bsr_wavefront_per_row_multipass_kernelILj256ELj64ELj16E21rocsparse_complex_numIfEllEEv20rocsparse_direction_T4_S4_S4_S4_S4_21rocsparse_index_base_PKT2_PKT3_PKS4_S5_PS6_PS9_PS4_,comdat
	.globl	_ZN9rocsparseL42csr2bsr_wavefront_per_row_multipass_kernelILj256ELj64ELj16E21rocsparse_complex_numIfEllEEv20rocsparse_direction_T4_S4_S4_S4_S4_21rocsparse_index_base_PKT2_PKT3_PKS4_S5_PS6_PS9_PS4_ ; -- Begin function _ZN9rocsparseL42csr2bsr_wavefront_per_row_multipass_kernelILj256ELj64ELj16E21rocsparse_complex_numIfEllEEv20rocsparse_direction_T4_S4_S4_S4_S4_21rocsparse_index_base_PKT2_PKT3_PKS4_S5_PS6_PS9_PS4_
	.p2align	8
	.type	_ZN9rocsparseL42csr2bsr_wavefront_per_row_multipass_kernelILj256ELj64ELj16E21rocsparse_complex_numIfEllEEv20rocsparse_direction_T4_S4_S4_S4_S4_21rocsparse_index_base_PKT2_PKT3_PKS4_S5_PS6_PS9_PS4_,@function
_ZN9rocsparseL42csr2bsr_wavefront_per_row_multipass_kernelILj256ELj64ELj16E21rocsparse_complex_numIfEllEEv20rocsparse_direction_T4_S4_S4_S4_S4_21rocsparse_index_base_PKT2_PKT3_PKS4_S5_PS6_PS9_PS4_: ; @_ZN9rocsparseL42csr2bsr_wavefront_per_row_multipass_kernelILj256ELj64ELj16E21rocsparse_complex_numIfEllEEv20rocsparse_direction_T4_S4_S4_S4_S4_21rocsparse_index_base_PKT2_PKT3_PKS4_S5_PS6_PS9_PS4_
; %bb.0:
	s_load_dwordx2 s[4:5], s[0:1], 0x8
	s_load_dwordx4 s[8:11], s[0:1], 0x18
	s_load_dwordx2 s[12:13], s[0:1], 0x28
	s_load_dword s33, s[0:1], 0x30
	s_load_dwordx2 s[6:7], s[0:1], 0x40
	s_ashr_i32 s3, s2, 31
	v_lshrrev_b32_e32 v40, 6, v0
	s_lshl_b64 s[14:15], s[2:3], 2
	v_bfe_u32 v10, v0, 2, 4
	v_mov_b32_e32 v11, 0
	v_or_b32_e32 v1, s14, v40
	s_waitcnt lgkmcnt(0)
	v_mul_lo_u32 v2, v1, s13
	v_mad_u64_u32 v[4:5], s[16:17], v1, s12, v[10:11]
	s_mul_i32 s3, s15, s12
	v_add3_u32 v5, s3, v5, v2
	v_cmp_gt_i64_e32 vcc, s[4:5], v[4:5]
	v_cmp_gt_i64_e64 s[4:5], s[12:13], v[10:11]
	v_mov_b64_e32 v[2:3], 0
	s_and_b64 s[14:15], s[4:5], vcc
	v_mov_b64_e32 v[26:27], v[2:3]
	s_and_saveexec_b64 s[16:17], s[14:15]
	s_cbranch_execz .LBB103_2
; %bb.1:
	v_lshl_add_u64 v[6:7], v[4:5], 3, s[6:7]
	global_load_dwordx2 v[6:7], v[6:7], off
	s_waitcnt vmcnt(0)
	v_subrev_co_u32_e32 v26, vcc, s33, v6
	s_nop 1
	v_subbrev_co_u32_e32 v27, vcc, 0, v7, vcc
.LBB103_2:
	s_or_b64 exec, exec, s[16:17]
	s_and_saveexec_b64 s[16:17], s[14:15]
	s_cbranch_execz .LBB103_4
; %bb.3:
	v_lshl_add_u64 v[2:3], v[4:5], 3, s[6:7]
	global_load_dwordx2 v[2:3], v[2:3], off offset:8
	s_waitcnt vmcnt(0)
	v_subrev_co_u32_e32 v2, vcc, s33, v2
	s_nop 1
	v_subbrev_co_u32_e32 v3, vcc, 0, v3, vcc
.LBB103_4:
	s_or_b64 exec, exec, s[16:17]
	s_load_dword s14, s[0:1], 0x50
	v_lshl_or_b32 v6, s2, 2, v40
	v_mov_b32_e32 v7, 0
	v_cmp_gt_i64_e32 vcc, s[8:9], v[6:7]
	v_mov_b64_e32 v[4:5], 0
	s_and_saveexec_b64 s[2:3], vcc
	s_cbranch_execz .LBB103_6
; %bb.5:
	s_load_dwordx2 s[6:7], s[0:1], 0x60
	s_waitcnt lgkmcnt(0)
	v_lshl_add_u64 v[4:5], v[6:7], 3, s[6:7]
	global_load_dwordx2 v[4:5], v[4:5], off
	s_waitcnt vmcnt(0)
	v_subrev_co_u32_e32 v4, vcc, s14, v4
	s_nop 1
	v_subbrev_co_u32_e32 v5, vcc, 0, v5, vcc
.LBB103_6:
	s_or_b64 exec, exec, s[2:3]
	v_cmp_lt_i64_e64 s[2:3], s[10:11], 1
	s_and_b64 vcc, exec, s[2:3]
	s_cbranch_vccnz .LBB103_31
; %bb.7:
	s_load_dwordx2 s[20:21], s[0:1], 0x38
	s_load_dword s6, s[0:1], 0x0
	s_mul_i32 s2, s12, s13
	s_mul_hi_u32 s3, s12, s12
	s_add_i32 s3, s3, s2
	s_load_dwordx2 s[16:17], s[0:1], 0x68
	s_add_i32 s40, s3, s2
	s_load_dwordx2 s[2:3], s[0:1], 0x58
	s_load_dwordx2 s[18:19], s[0:1], 0x48
	s_waitcnt lgkmcnt(0)
	s_cmp_eq_u32 s6, 0
	v_mad_u64_u32 v[12:13], s[6:7], v10, s12, 0
	v_lshlrev_b32_e32 v1, 8, v40
	v_mov_b32_e32 v14, v13
	v_lshlrev_b32_e32 v8, 3, v10
	v_mov_b32_e32 v6, 0
	v_lshl_or_b32 v41, v10, 4, v1
	v_mad_u64_u32 v[10:11], s[6:7], v10, s13, v[14:15]
	v_mov_b32_e32 v9, v6
	v_and_b32_e32 v0, 3, v0
	v_mov_b32_e32 v13, v10
	v_lshl_add_u64 v[8:9], s[2:3], 0, v[8:9]
	v_lshl_add_u64 v[10:11], v[12:13], 3, s[2:3]
	v_mad_u64_u32 v[12:13], s[2:3], v0, s12, 0
	v_mov_b32_e32 v14, v13
	v_mad_u64_u32 v[14:15], s[2:3], v0, s13, v[14:15]
	v_or_b32_e32 v16, 4, v0
	v_mov_b32_e32 v13, v14
	v_mad_u64_u32 v[14:15], s[6:7], v16, s12, 0
	v_mov_b32_e32 v17, v6
	v_mov_b32_e32 v18, v15
	v_cmp_gt_u64_e64 s[2:3], s[12:13], v[16:17]
	v_mad_u64_u32 v[16:17], s[6:7], v16, s13, v[18:19]
	v_or_b32_e32 v18, 8, v0
	v_mov_b32_e32 v15, v16
	v_mad_u64_u32 v[16:17], s[8:9], v18, s12, 0
	v_mov_b32_e32 v19, v6
	v_mov_b32_e32 v20, v17
	v_mbcnt_lo_u32_b32 v7, -1, 0
	v_cmp_gt_u64_e64 s[6:7], s[12:13], v[18:19]
	v_mad_u64_u32 v[18:19], s[8:9], v18, s13, v[20:21]
	v_or_b32_e32 v20, 12, v0
	v_mbcnt_hi_u32_b32 v7, -1, v7
	v_mov_b32_e32 v17, v18
	v_mad_u64_u32 v[18:19], s[22:23], v20, s12, 0
	s_mov_b32 s42, 0
	v_mov_b32_e32 v1, v6
	v_lshlrev_b32_e32 v7, 2, v7
	v_mov_b32_e32 v21, v6
	v_mov_b32_e32 v22, v19
	v_or_b32_e32 v42, 12, v7
	s_cselect_b64 s[0:1], -1, 0
	v_or_b32_e32 v43, 0xfc, v7
	v_or_b32_e32 v7, v41, v0
	v_cmp_gt_u64_e32 vcc, s[12:13], v[0:1]
	v_cmp_gt_u64_e64 s[8:9], s[12:13], v[20:21]
	v_mad_u64_u32 v[20:21], s[22:23], v20, s13, v[22:23]
	s_and_b64 s[24:25], s[4:5], s[2:3]
	s_mov_b32 s2, s42
	s_mov_b32 s3, s42
	s_mul_i32 s41, s12, s12
	s_mov_b32 s15, s42
	v_lshlrev_b32_e32 v44, 3, v7
	v_mov_b32_e32 v19, v20
	s_and_b64 s[22:23], s[4:5], vcc
	s_and_b64 s[6:7], s[4:5], s[6:7]
	s_and_b64 s[4:5], s[4:5], s[8:9]
	s_mov_b64 s[8:9], 0
	v_mov_b64_e32 v[24:25], 0
	v_mov_b64_e32 v[20:21], s[2:3]
	s_ashr_i32 s26, s13, 31
	s_mov_b64 s[28:29], 0x60
	v_mov_b32_e32 v45, 1
	s_branch .LBB103_10
.LBB103_8:                              ;   in Loop: Header=BB103_10 Depth=1
	s_or_b64 exec, exec, s[30:31]
	v_mov_b64_e32 v[28:29], 1
.LBB103_9:                              ;   in Loop: Header=BB103_10 Depth=1
	s_or_b64 exec, exec, s[2:3]
	v_mov_b32_dpp v24, v22 row_shr:1 row_mask:0xf bank_mask:0xf
	v_mov_b32_dpp v25, v23 row_shr:1 row_mask:0xf bank_mask:0xf
	v_cmp_lt_i64_e32 vcc, v[24:25], v[22:23]
	v_lshl_add_u64 v[4:5], v[28:29], 0, v[4:5]
	s_waitcnt lgkmcnt(0)
	v_cndmask_b32_e32 v23, v23, v25, vcc
	v_cndmask_b32_e32 v22, v22, v24, vcc
	s_nop 0
	v_mov_b32_dpp v25, v23 row_shr:2 row_mask:0xf bank_mask:0xf
	v_mov_b32_dpp v24, v22 row_shr:2 row_mask:0xf bank_mask:0xf
	v_cmp_lt_i64_e32 vcc, v[24:25], v[22:23]
	s_nop 1
	v_cndmask_b32_e32 v23, v23, v25, vcc
	v_cndmask_b32_e32 v22, v22, v24, vcc
	s_nop 0
	v_mov_b32_dpp v25, v23 row_shr:4 row_mask:0xf bank_mask:0xe
	v_mov_b32_dpp v24, v22 row_shr:4 row_mask:0xf bank_mask:0xe
	v_cmp_lt_i64_e32 vcc, v[24:25], v[22:23]
	s_nop 1
	;; [unrolled: 7-line block ×3, first 2 shown]
	v_cndmask_b32_e32 v23, v23, v25, vcc
	v_cndmask_b32_e32 v22, v22, v24, vcc
	s_nop 0
	v_mov_b32_dpp v25, v23 row_bcast:15 row_mask:0xa bank_mask:0xf
	v_mov_b32_dpp v24, v22 row_bcast:15 row_mask:0xa bank_mask:0xf
	v_cmp_lt_i64_e32 vcc, v[24:25], v[22:23]
	s_nop 1
	v_cndmask_b32_e32 v23, v23, v25, vcc
	v_cndmask_b32_e32 v22, v22, v24, vcc
	s_nop 0
	v_mov_b32_dpp v25, v23 row_bcast:31 row_mask:0xc bank_mask:0xf
	v_mov_b32_dpp v24, v22 row_bcast:31 row_mask:0xc bank_mask:0xf
	v_cmp_lt_i64_e32 vcc, v[24:25], v[22:23]
	s_nop 1
	v_cndmask_b32_e32 v7, v23, v25, vcc
	v_cndmask_b32_e32 v22, v22, v24, vcc
	ds_bpermute_b32 v24, v43, v22
	ds_bpermute_b32 v25, v43, v7
	s_waitcnt lgkmcnt(0)
	v_cmp_le_i64_e32 vcc, s[10:11], v[24:25]
	s_or_b64 s[8:9], vcc, s[8:9]
	s_andn2_b64 exec, exec, s[8:9]
	s_cbranch_execz .LBB103_31
.LBB103_10:                             ; =>This Loop Header: Depth=1
                                        ;     Child Loop BB103_13 Depth 2
	v_lshl_add_u64 v[26:27], v[26:27], 0, v[0:1]
	v_cmp_lt_i64_e32 vcc, v[26:27], v[2:3]
	v_mov_b64_e32 v[22:23], s[10:11]
	v_mov_b64_e32 v[38:39], v[2:3]
	ds_write_b8 v40, v6 offset:8192
	ds_write2_b64 v44, v[20:21], v[20:21] offset1:4
	ds_write2_b64 v44, v[20:21], v[20:21] offset0:8 offset1:12
	s_waitcnt lgkmcnt(0)
	s_and_saveexec_b64 s[30:31], vcc
	s_cbranch_execz .LBB103_22
; %bb.11:                               ;   in Loop: Header=BB103_10 Depth=1
	v_lshlrev_b64 v[22:23], 3, v[26:27]
	v_mad_u64_u32 v[28:29], s[2:3], v24, s12, 0
	v_lshl_add_u64 v[30:31], s[20:21], 0, v[22:23]
	v_lshl_add_u64 v[32:33], s[18:19], 0, v[22:23]
	s_mov_b64 s[34:35], 0
	v_mov_b64_e32 v[22:23], s[10:11]
	v_mov_b64_e32 v[34:35], v[2:3]
	s_branch .LBB103_13
.LBB103_12:                             ;   in Loop: Header=BB103_13 Depth=2
	s_or_b64 exec, exec, s[2:3]
	v_lshl_add_u64 v[26:27], v[26:27], 0, 4
	v_cmp_ge_i64_e64 s[2:3], v[26:27], v[2:3]
	s_xor_b64 s[36:37], vcc, -1
	s_or_b64 s[2:3], s[36:37], s[2:3]
	s_and_b64 s[2:3], exec, s[2:3]
	v_lshl_add_u64 v[30:31], v[30:31], 0, 32
	v_lshl_add_u64 v[32:33], v[32:33], 0, 32
	s_or_b64 s[34:35], s[2:3], s[34:35]
	v_mov_b64_e32 v[34:35], v[38:39]
	s_andn2_b64 exec, exec, s[34:35]
	s_cbranch_execz .LBB103_21
.LBB103_13:                             ;   Parent Loop BB103_10 Depth=1
                                        ; =>  This Inner Loop Header: Depth=2
	global_load_dwordx2 v[36:37], v[32:33], off
	v_mov_b32_e32 v7, s42
                                        ; implicit-def: $vgpr38_vgpr39
	s_waitcnt vmcnt(0)
	v_subrev_co_u32_e32 v36, vcc, s33, v36
	s_nop 1
	v_subb_co_u32_e32 v37, vcc, v37, v7, vcc
	v_or_b32_e32 v7, s13, v37
	v_cmp_ne_u64_e32 vcc, 0, v[6:7]
	s_and_saveexec_b64 s[2:3], vcc
	s_xor_b64 s[36:37], exec, s[2:3]
	s_cbranch_execz .LBB103_15
; %bb.14:                               ;   in Loop: Header=BB103_13 Depth=2
	s_add_u32 s2, s12, s26
	s_mov_b32 s27, s26
	s_addc_u32 s3, s13, s26
	s_xor_b64 s[38:39], s[2:3], s[26:27]
	v_cvt_f32_u32_e32 v7, s38
	v_cvt_f32_u32_e32 v29, s39
	s_sub_u32 s2, 0, s38
	s_subb_u32 s3, 0, s39
	v_mov_b32_e32 v47, v6
	v_fmac_f32_e32 v7, 0x4f800000, v29
	v_rcp_f32_e32 v7, v7
	s_nop 0
	v_mul_f32_e32 v7, 0x5f7ffffc, v7
	v_mul_f32_e32 v29, 0x2f800000, v7
	v_trunc_f32_e32 v29, v29
	v_fmac_f32_e32 v7, 0xcf800000, v29
	v_cvt_u32_f32_e32 v29, v29
	v_cvt_u32_f32_e32 v7, v7
	v_mul_lo_u32 v38, s2, v29
	v_mul_hi_u32 v46, s2, v7
	v_mul_lo_u32 v39, s3, v7
	v_add_u32_e32 v38, v46, v38
	v_mul_lo_u32 v48, s2, v7
	v_add_u32_e32 v49, v38, v39
	v_mul_hi_u32 v39, v7, v49
	v_mul_lo_u32 v38, v7, v49
	v_mul_hi_u32 v46, v7, v48
	v_lshl_add_u64 v[38:39], v[46:47], 0, v[38:39]
	v_mul_hi_u32 v47, v29, v48
	v_mul_lo_u32 v48, v29, v48
	v_add_co_u32_e32 v38, vcc, v38, v48
	v_mul_hi_u32 v46, v29, v49
	s_nop 0
	v_addc_co_u32_e32 v38, vcc, v39, v47, vcc
	v_mov_b32_e32 v39, v6
	s_nop 0
	v_addc_co_u32_e32 v47, vcc, 0, v46, vcc
	v_mul_lo_u32 v46, v29, v49
	v_lshl_add_u64 v[38:39], v[38:39], 0, v[46:47]
	v_add_co_u32_e32 v7, vcc, v7, v38
	v_mul_lo_u32 v46, s2, v7
	s_nop 0
	v_addc_co_u32_e32 v29, vcc, v29, v39, vcc
	v_mul_lo_u32 v38, s2, v29
	v_mul_hi_u32 v39, s2, v7
	v_add_u32_e32 v38, v39, v38
	v_mul_lo_u32 v39, s3, v7
	v_add_u32_e32 v48, v38, v39
	v_mul_hi_u32 v50, v29, v46
	v_mul_lo_u32 v51, v29, v46
	v_mul_hi_u32 v39, v7, v48
	v_mul_lo_u32 v38, v7, v48
	v_mul_hi_u32 v46, v7, v46
	v_mov_b32_e32 v47, v6
	v_lshl_add_u64 v[38:39], v[46:47], 0, v[38:39]
	v_add_co_u32_e32 v38, vcc, v38, v51
	v_mul_hi_u32 v49, v29, v48
	s_nop 0
	v_addc_co_u32_e32 v38, vcc, v39, v50, vcc
	v_mul_lo_u32 v46, v29, v48
	s_nop 0
	v_addc_co_u32_e32 v47, vcc, 0, v49, vcc
	v_mov_b32_e32 v39, v6
	v_lshl_add_u64 v[38:39], v[38:39], 0, v[46:47]
	v_add_co_u32_e32 v7, vcc, v7, v38
	v_ashrrev_i32_e32 v38, 31, v37
	s_nop 0
	v_addc_co_u32_e32 v29, vcc, v29, v39, vcc
	v_mov_b32_e32 v39, v38
	v_lshl_add_u64 v[46:47], v[36:37], 0, v[38:39]
	v_xor_b32_e32 v39, v46, v38
	v_xor_b32_e32 v37, v47, v38
	v_mad_u64_u32 v[46:47], s[2:3], v39, v29, 0
	v_mul_hi_u32 v48, v39, v7
	v_mov_b32_e32 v49, v6
	v_lshl_add_u64 v[46:47], v[48:49], 0, v[46:47]
	v_mad_u64_u32 v[50:51], s[2:3], v37, v7, 0
	v_add_co_u32_e32 v7, vcc, v46, v50
	v_mad_u64_u32 v[48:49], s[2:3], v37, v29, 0
	s_nop 0
	v_addc_co_u32_e32 v46, vcc, v47, v51, vcc
	v_mov_b32_e32 v47, v6
	s_nop 0
	v_addc_co_u32_e32 v49, vcc, 0, v49, vcc
	v_lshl_add_u64 v[46:47], v[46:47], 0, v[48:49]
	v_mul_lo_u32 v7, s39, v46
	v_mul_lo_u32 v29, s38, v47
	v_mad_u64_u32 v[48:49], s[2:3], s38, v46, 0
	v_add3_u32 v7, v49, v29, v7
	v_sub_u32_e32 v29, v37, v7
	v_mov_b32_e32 v49, s39
	v_sub_co_u32_e32 v39, vcc, v39, v48
	v_lshl_add_u64 v[50:51], v[46:47], 0, 1
	s_nop 0
	v_subb_co_u32_e64 v29, s[2:3], v29, v49, vcc
	v_subrev_co_u32_e64 v48, s[2:3], s38, v39
	v_subb_co_u32_e32 v7, vcc, v37, v7, vcc
	s_nop 0
	v_subbrev_co_u32_e64 v29, s[2:3], 0, v29, s[2:3]
	v_cmp_le_u32_e64 s[2:3], s39, v29
	v_cmp_le_u32_e32 vcc, s39, v7
	s_nop 0
	v_cndmask_b32_e64 v49, 0, -1, s[2:3]
	v_cmp_le_u32_e64 s[2:3], s38, v48
	v_cndmask_b32_e64 v37, 0, -1, vcc
	v_cmp_le_u32_e32 vcc, s38, v39
	v_cndmask_b32_e64 v48, 0, -1, s[2:3]
	v_cmp_eq_u32_e64 s[2:3], s39, v29
	v_cndmask_b32_e64 v39, 0, -1, vcc
	v_cmp_eq_u32_e32 vcc, s39, v7
	v_cndmask_b32_e64 v29, v49, v48, s[2:3]
	v_lshl_add_u64 v[48:49], v[46:47], 0, 2
	v_cmp_ne_u32_e64 s[2:3], 0, v29
	v_cndmask_b32_e32 v7, v37, v39, vcc
	v_cmp_ne_u32_e32 vcc, 0, v7
	v_cndmask_b32_e64 v29, v51, v49, s[2:3]
	v_xor_b32_e32 v37, s26, v38
	v_cndmask_b32_e32 v7, v47, v29, vcc
	v_cndmask_b32_e64 v29, v50, v48, s[2:3]
	v_cndmask_b32_e32 v29, v46, v29, vcc
	v_xor_b32_e32 v29, v29, v37
	v_xor_b32_e32 v7, v7, v37
	v_sub_co_u32_e32 v38, vcc, v29, v37
	s_nop 1
	v_subb_co_u32_e32 v39, vcc, v7, v37, vcc
.LBB103_15:                             ;   in Loop: Header=BB103_13 Depth=2
	s_andn2_saveexec_b64 s[2:3], s[36:37]
	s_cbranch_execz .LBB103_17
; %bb.16:                               ;   in Loop: Header=BB103_13 Depth=2
	v_cvt_f32_u32_e32 v7, s12
	s_sub_i32 s27, 0, s12
	v_mov_b32_e32 v39, v6
	v_rcp_iflag_f32_e32 v7, v7
	s_nop 0
	v_mul_f32_e32 v7, 0x4f7ffffe, v7
	v_cvt_u32_f32_e32 v7, v7
	v_mul_lo_u32 v29, s27, v7
	v_mul_hi_u32 v29, v7, v29
	v_add_u32_e32 v7, v7, v29
	v_mul_hi_u32 v7, v36, v7
	v_mul_lo_u32 v29, v7, s12
	v_sub_u32_e32 v29, v36, v29
	v_add_u32_e32 v37, 1, v7
	v_subrev_u32_e32 v38, s12, v29
	v_cmp_le_u32_e32 vcc, s12, v29
	s_nop 1
	v_cndmask_b32_e32 v29, v29, v38, vcc
	v_cndmask_b32_e32 v7, v7, v37, vcc
	v_add_u32_e32 v37, 1, v7
	v_cmp_le_u32_e32 vcc, s12, v29
	s_nop 1
	v_cndmask_b32_e32 v38, v7, v37, vcc
.LBB103_17:                             ;   in Loop: Header=BB103_13 Depth=2
	s_or_b64 exec, exec, s[2:3]
	v_cmp_eq_u64_e32 vcc, v[38:39], v[24:25]
	v_cmp_ne_u64_e64 s[2:3], v[38:39], v[24:25]
	s_and_saveexec_b64 s[36:37], s[2:3]
	s_xor_b64 s[36:37], exec, s[36:37]
; %bb.18:                               ;   in Loop: Header=BB103_13 Depth=2
	v_cmp_lt_i64_e64 s[2:3], v[38:39], v[22:23]
                                        ; implicit-def: $vgpr36_vgpr37
                                        ; implicit-def: $vgpr34_vgpr35
	s_nop 1
	v_cndmask_b32_e64 v23, v23, v39, s[2:3]
	v_cndmask_b32_e64 v22, v22, v38, s[2:3]
; %bb.19:                               ;   in Loop: Header=BB103_13 Depth=2
	s_or_saveexec_b64 s[2:3], s[36:37]
	v_mov_b64_e32 v[38:39], v[26:27]
	s_xor_b64 exec, exec, s[2:3]
	s_cbranch_execz .LBB103_12
; %bb.20:                               ;   in Loop: Header=BB103_13 Depth=2
	global_load_dwordx2 v[38:39], v[30:31], off
	v_sub_u32_e32 v7, v36, v28
	v_add_lshl_u32 v7, v41, v7, 3
	ds_write_b8 v40, v45 offset:8192
	s_waitcnt vmcnt(0)
	ds_write_b64 v7, v[38:39]
	v_mov_b64_e32 v[38:39], v[34:35]
	s_branch .LBB103_12
.LBB103_21:                             ;   in Loop: Header=BB103_10 Depth=1
	s_or_b64 exec, exec, s[34:35]
.LBB103_22:                             ;   in Loop: Header=BB103_10 Depth=1
	s_or_b64 exec, exec, s[30:31]
	v_mov_b32_dpp v26, v38 row_shr:1 row_mask:0xf bank_mask:0xf
	v_mov_b32_dpp v27, v39 row_shr:1 row_mask:0xf bank_mask:0xf
	v_cmp_lt_i64_e32 vcc, v[26:27], v[38:39]
	s_waitcnt lgkmcnt(0)
	s_nop 0
	v_cndmask_b32_e32 v27, v39, v27, vcc
	v_cndmask_b32_e32 v26, v38, v26, vcc
	s_nop 0
	v_mov_b32_dpp v29, v27 row_shr:2 row_mask:0xf bank_mask:0xf
	v_mov_b32_dpp v28, v26 row_shr:2 row_mask:0xf bank_mask:0xf
	v_cmp_lt_i64_e32 vcc, v[28:29], v[26:27]
	s_nop 1
	v_cndmask_b32_e32 v7, v27, v29, vcc
	ds_read_u8 v29, v40 offset:8192
	v_cndmask_b32_e32 v26, v26, v28, vcc
	ds_bpermute_b32 v26, v42, v26
	ds_bpermute_b32 v27, v42, v7
	s_waitcnt lgkmcnt(2)
	v_and_b32_e32 v7, 1, v29
	v_cmp_eq_u32_e32 vcc, 1, v7
	v_mov_b64_e32 v[28:29], 0
	s_and_saveexec_b64 s[2:3], vcc
	s_cbranch_execz .LBB103_9
; %bb.23:                               ;   in Loop: Header=BB103_10 Depth=1
	v_lshl_add_u64 v[24:25], v[24:25], 0, s[14:15]
	v_lshl_add_u64 v[28:29], v[4:5], 3, s[16:17]
	global_store_dwordx2 v[28:29], v[24:25], off
	v_mul_lo_u32 v7, s40, v4
	v_mul_lo_u32 v28, s41, v5
	v_mad_u64_u32 v[24:25], s[30:31], s41, v4, 0
	v_add3_u32 v25, v25, v28, v7
	v_lshlrev_b64 v[28:29], 3, v[24:25]
	v_lshl_add_u64 v[24:25], v[8:9], 0, v[28:29]
	v_lshl_add_u64 v[28:29], v[10:11], 0, v[28:29]
	v_lshlrev_b32_e32 v30, 3, v0
	s_and_saveexec_b64 s[30:31], s[22:23]
	s_cbranch_execnz .LBB103_27
; %bb.24:                               ;   in Loop: Header=BB103_10 Depth=1
	s_or_b64 exec, exec, s[30:31]
	s_and_saveexec_b64 s[30:31], s[24:25]
	s_cbranch_execnz .LBB103_28
.LBB103_25:                             ;   in Loop: Header=BB103_10 Depth=1
	s_or_b64 exec, exec, s[30:31]
	s_and_saveexec_b64 s[30:31], s[6:7]
	s_cbranch_execnz .LBB103_29
.LBB103_26:                             ;   in Loop: Header=BB103_10 Depth=1
	s_or_b64 exec, exec, s[30:31]
	s_and_saveexec_b64 s[30:31], s[4:5]
	s_cbranch_execz .LBB103_8
	s_branch .LBB103_30
.LBB103_27:                             ;   in Loop: Header=BB103_10 Depth=1
	ds_read_b64 v[34:35], v44
	v_mov_b32_e32 v31, v6
	v_lshl_add_u64 v[32:33], v[12:13], 3, v[24:25]
	v_lshl_add_u64 v[36:37], v[28:29], 0, v[30:31]
	v_cndmask_b32_e64 v33, v33, v37, s[0:1]
	v_cndmask_b32_e64 v32, v32, v36, s[0:1]
	s_waitcnt lgkmcnt(0)
	global_store_dwordx2 v[32:33], v[34:35], off
	s_or_b64 exec, exec, s[30:31]
	s_and_saveexec_b64 s[30:31], s[24:25]
	s_cbranch_execz .LBB103_25
.LBB103_28:                             ;   in Loop: Header=BB103_10 Depth=1
	ds_read_b64 v[34:35], v44 offset:32
	v_mov_b32_e32 v31, v6
	v_lshl_add_u64 v[32:33], v[28:29], 0, v[30:31]
	v_lshl_add_u64 v[32:33], v[32:33], 0, 32
	;; [unrolled: 1-line block ×3, first 2 shown]
	v_cndmask_b32_e64 v33, v37, v33, s[0:1]
	v_cndmask_b32_e64 v32, v36, v32, s[0:1]
	s_waitcnt lgkmcnt(0)
	global_store_dwordx2 v[32:33], v[34:35], off
	s_or_b64 exec, exec, s[30:31]
	s_and_saveexec_b64 s[30:31], s[6:7]
	s_cbranch_execz .LBB103_26
.LBB103_29:                             ;   in Loop: Header=BB103_10 Depth=1
	ds_read_b64 v[34:35], v44 offset:64
	v_mov_b32_e32 v31, v6
	v_lshl_add_u64 v[32:33], v[28:29], 0, v[30:31]
	v_lshl_add_u64 v[32:33], v[32:33], 0, 64
	;; [unrolled: 1-line block ×3, first 2 shown]
	v_cndmask_b32_e64 v33, v37, v33, s[0:1]
	v_cndmask_b32_e64 v32, v36, v32, s[0:1]
	s_waitcnt lgkmcnt(0)
	global_store_dwordx2 v[32:33], v[34:35], off
	s_or_b64 exec, exec, s[30:31]
	s_and_saveexec_b64 s[30:31], s[4:5]
	s_cbranch_execz .LBB103_8
.LBB103_30:                             ;   in Loop: Header=BB103_10 Depth=1
	v_mov_b32_e32 v31, v6
	v_lshl_add_u64 v[28:29], v[28:29], 0, v[30:31]
	ds_read_b64 v[30:31], v44 offset:96
	v_lshl_add_u64 v[28:29], v[28:29], 0, s[28:29]
	v_lshl_add_u64 v[24:25], v[18:19], 3, v[24:25]
	v_cndmask_b32_e64 v25, v25, v29, s[0:1]
	v_cndmask_b32_e64 v24, v24, v28, s[0:1]
	s_waitcnt lgkmcnt(0)
	global_store_dwordx2 v[24:25], v[30:31], off
	s_branch .LBB103_8
.LBB103_31:
	s_endpgm
	.section	.rodata,"a",@progbits
	.p2align	6, 0x0
	.amdhsa_kernel _ZN9rocsparseL42csr2bsr_wavefront_per_row_multipass_kernelILj256ELj64ELj16E21rocsparse_complex_numIfEllEEv20rocsparse_direction_T4_S4_S4_S4_S4_21rocsparse_index_base_PKT2_PKT3_PKS4_S5_PS6_PS9_PS4_
		.amdhsa_group_segment_fixed_size 8196
		.amdhsa_private_segment_fixed_size 0
		.amdhsa_kernarg_size 112
		.amdhsa_user_sgpr_count 2
		.amdhsa_user_sgpr_dispatch_ptr 0
		.amdhsa_user_sgpr_queue_ptr 0
		.amdhsa_user_sgpr_kernarg_segment_ptr 1
		.amdhsa_user_sgpr_dispatch_id 0
		.amdhsa_user_sgpr_kernarg_preload_length 0
		.amdhsa_user_sgpr_kernarg_preload_offset 0
		.amdhsa_user_sgpr_private_segment_size 0
		.amdhsa_uses_dynamic_stack 0
		.amdhsa_enable_private_segment 0
		.amdhsa_system_sgpr_workgroup_id_x 1
		.amdhsa_system_sgpr_workgroup_id_y 0
		.amdhsa_system_sgpr_workgroup_id_z 0
		.amdhsa_system_sgpr_workgroup_info 0
		.amdhsa_system_vgpr_workitem_id 0
		.amdhsa_next_free_vgpr 52
		.amdhsa_next_free_sgpr 43
		.amdhsa_accum_offset 52
		.amdhsa_reserve_vcc 1
		.amdhsa_float_round_mode_32 0
		.amdhsa_float_round_mode_16_64 0
		.amdhsa_float_denorm_mode_32 3
		.amdhsa_float_denorm_mode_16_64 3
		.amdhsa_dx10_clamp 1
		.amdhsa_ieee_mode 1
		.amdhsa_fp16_overflow 0
		.amdhsa_tg_split 0
		.amdhsa_exception_fp_ieee_invalid_op 0
		.amdhsa_exception_fp_denorm_src 0
		.amdhsa_exception_fp_ieee_div_zero 0
		.amdhsa_exception_fp_ieee_overflow 0
		.amdhsa_exception_fp_ieee_underflow 0
		.amdhsa_exception_fp_ieee_inexact 0
		.amdhsa_exception_int_div_zero 0
	.end_amdhsa_kernel
	.section	.text._ZN9rocsparseL42csr2bsr_wavefront_per_row_multipass_kernelILj256ELj64ELj16E21rocsparse_complex_numIfEllEEv20rocsparse_direction_T4_S4_S4_S4_S4_21rocsparse_index_base_PKT2_PKT3_PKS4_S5_PS6_PS9_PS4_,"axG",@progbits,_ZN9rocsparseL42csr2bsr_wavefront_per_row_multipass_kernelILj256ELj64ELj16E21rocsparse_complex_numIfEllEEv20rocsparse_direction_T4_S4_S4_S4_S4_21rocsparse_index_base_PKT2_PKT3_PKS4_S5_PS6_PS9_PS4_,comdat
.Lfunc_end103:
	.size	_ZN9rocsparseL42csr2bsr_wavefront_per_row_multipass_kernelILj256ELj64ELj16E21rocsparse_complex_numIfEllEEv20rocsparse_direction_T4_S4_S4_S4_S4_21rocsparse_index_base_PKT2_PKT3_PKS4_S5_PS6_PS9_PS4_, .Lfunc_end103-_ZN9rocsparseL42csr2bsr_wavefront_per_row_multipass_kernelILj256ELj64ELj16E21rocsparse_complex_numIfEllEEv20rocsparse_direction_T4_S4_S4_S4_S4_21rocsparse_index_base_PKT2_PKT3_PKS4_S5_PS6_PS9_PS4_
                                        ; -- End function
	.section	.AMDGPU.csdata,"",@progbits
; Kernel info:
; codeLenInByte = 2708
; NumSgprs: 49
; NumVgprs: 52
; NumAgprs: 0
; TotalNumVgprs: 52
; ScratchSize: 0
; MemoryBound: 0
; FloatMode: 240
; IeeeMode: 1
; LDSByteSize: 8196 bytes/workgroup (compile time only)
; SGPRBlocks: 6
; VGPRBlocks: 6
; NumSGPRsForWavesPerEU: 49
; NumVGPRsForWavesPerEU: 52
; AccumOffset: 52
; Occupancy: 7
; WaveLimiterHint : 0
; COMPUTE_PGM_RSRC2:SCRATCH_EN: 0
; COMPUTE_PGM_RSRC2:USER_SGPR: 2
; COMPUTE_PGM_RSRC2:TRAP_HANDLER: 0
; COMPUTE_PGM_RSRC2:TGID_X_EN: 1
; COMPUTE_PGM_RSRC2:TGID_Y_EN: 0
; COMPUTE_PGM_RSRC2:TGID_Z_EN: 0
; COMPUTE_PGM_RSRC2:TIDIG_COMP_CNT: 0
; COMPUTE_PGM_RSRC3_GFX90A:ACCUM_OFFSET: 12
; COMPUTE_PGM_RSRC3_GFX90A:TG_SPLIT: 0
	.section	.text._ZN9rocsparseL42csr2bsr_wavefront_per_row_multipass_kernelILj256ELj32ELj16E21rocsparse_complex_numIfEllEEv20rocsparse_direction_T4_S4_S4_S4_S4_21rocsparse_index_base_PKT2_PKT3_PKS4_S5_PS6_PS9_PS4_,"axG",@progbits,_ZN9rocsparseL42csr2bsr_wavefront_per_row_multipass_kernelILj256ELj32ELj16E21rocsparse_complex_numIfEllEEv20rocsparse_direction_T4_S4_S4_S4_S4_21rocsparse_index_base_PKT2_PKT3_PKS4_S5_PS6_PS9_PS4_,comdat
	.globl	_ZN9rocsparseL42csr2bsr_wavefront_per_row_multipass_kernelILj256ELj32ELj16E21rocsparse_complex_numIfEllEEv20rocsparse_direction_T4_S4_S4_S4_S4_21rocsparse_index_base_PKT2_PKT3_PKS4_S5_PS6_PS9_PS4_ ; -- Begin function _ZN9rocsparseL42csr2bsr_wavefront_per_row_multipass_kernelILj256ELj32ELj16E21rocsparse_complex_numIfEllEEv20rocsparse_direction_T4_S4_S4_S4_S4_21rocsparse_index_base_PKT2_PKT3_PKS4_S5_PS6_PS9_PS4_
	.p2align	8
	.type	_ZN9rocsparseL42csr2bsr_wavefront_per_row_multipass_kernelILj256ELj32ELj16E21rocsparse_complex_numIfEllEEv20rocsparse_direction_T4_S4_S4_S4_S4_21rocsparse_index_base_PKT2_PKT3_PKS4_S5_PS6_PS9_PS4_,@function
_ZN9rocsparseL42csr2bsr_wavefront_per_row_multipass_kernelILj256ELj32ELj16E21rocsparse_complex_numIfEllEEv20rocsparse_direction_T4_S4_S4_S4_S4_21rocsparse_index_base_PKT2_PKT3_PKS4_S5_PS6_PS9_PS4_: ; @_ZN9rocsparseL42csr2bsr_wavefront_per_row_multipass_kernelILj256ELj32ELj16E21rocsparse_complex_numIfEllEEv20rocsparse_direction_T4_S4_S4_S4_S4_21rocsparse_index_base_PKT2_PKT3_PKS4_S5_PS6_PS9_PS4_
; %bb.0:
	s_load_dwordx2 s[4:5], s[0:1], 0x8
	s_load_dwordx4 s[16:19], s[0:1], 0x18
	s_load_dwordx2 s[20:21], s[0:1], 0x28
	s_load_dword s33, s[0:1], 0x30
	s_load_dwordx2 s[6:7], s[0:1], 0x40
	s_ashr_i32 s3, s2, 31
	v_lshrrev_b32_e32 v48, 5, v0
	s_lshl_b64 s[8:9], s[2:3], 3
	v_bfe_u32 v10, v0, 1, 4
	v_mov_b32_e32 v11, 0
	v_or_b32_e32 v1, s8, v48
	s_waitcnt lgkmcnt(0)
	v_mul_lo_u32 v2, v1, s21
	v_mad_u64_u32 v[4:5], s[10:11], v1, s20, v[10:11]
	s_mul_i32 s3, s9, s20
	v_add3_u32 v5, s3, v5, v2
	v_cmp_gt_i64_e32 vcc, s[4:5], v[4:5]
	v_cmp_gt_i64_e64 s[4:5], s[20:21], v[10:11]
	v_mov_b64_e32 v[2:3], 0
	s_and_b64 s[8:9], s[4:5], vcc
	v_mov_b64_e32 v[32:33], v[2:3]
	s_and_saveexec_b64 s[10:11], s[8:9]
	s_cbranch_execz .LBB104_2
; %bb.1:
	v_lshl_add_u64 v[6:7], v[4:5], 3, s[6:7]
	global_load_dwordx2 v[6:7], v[6:7], off
	s_waitcnt vmcnt(0)
	v_subrev_co_u32_e32 v32, vcc, s33, v6
	s_nop 1
	v_subbrev_co_u32_e32 v33, vcc, 0, v7, vcc
.LBB104_2:
	s_or_b64 exec, exec, s[10:11]
	s_and_saveexec_b64 s[10:11], s[8:9]
	s_cbranch_execz .LBB104_4
; %bb.3:
	v_lshl_add_u64 v[2:3], v[4:5], 3, s[6:7]
	global_load_dwordx2 v[2:3], v[2:3], off offset:8
	s_waitcnt vmcnt(0)
	v_subrev_co_u32_e32 v2, vcc, s33, v2
	s_nop 1
	v_subbrev_co_u32_e32 v3, vcc, 0, v3, vcc
.LBB104_4:
	s_or_b64 exec, exec, s[10:11]
	s_load_dword s22, s[0:1], 0x50
	v_lshl_or_b32 v6, s2, 3, v48
	v_mov_b32_e32 v7, 0
	v_cmp_gt_i64_e32 vcc, s[16:17], v[6:7]
	v_mov_b64_e32 v[4:5], 0
	s_and_saveexec_b64 s[2:3], vcc
	s_cbranch_execz .LBB104_6
; %bb.5:
	s_load_dwordx2 s[6:7], s[0:1], 0x60
	s_waitcnt lgkmcnt(0)
	v_lshl_add_u64 v[4:5], v[6:7], 3, s[6:7]
	global_load_dwordx2 v[4:5], v[4:5], off
	s_waitcnt vmcnt(0)
	v_subrev_co_u32_e32 v4, vcc, s22, v4
	s_nop 1
	v_subbrev_co_u32_e32 v5, vcc, 0, v5, vcc
.LBB104_6:
	s_or_b64 exec, exec, s[2:3]
	v_cmp_lt_i64_e64 s[2:3], s[18:19], 1
	s_and_b64 vcc, exec, s[2:3]
	s_cbranch_vccnz .LBB104_39
; %bb.7:
	s_load_dwordx2 s[28:29], s[0:1], 0x38
	s_load_dword s6, s[0:1], 0x0
	s_mul_i32 s2, s20, s21
	s_mul_hi_u32 s3, s20, s20
	s_add_i32 s3, s3, s2
	s_load_dwordx2 s[24:25], s[0:1], 0x68
	s_add_i32 s52, s3, s2
	s_load_dwordx2 s[2:3], s[0:1], 0x58
	s_load_dwordx2 s[26:27], s[0:1], 0x48
	v_and_b32_e32 v0, 1, v0
	s_waitcnt lgkmcnt(0)
	s_cmp_eq_u32 s6, 0
	v_mad_u64_u32 v[12:13], s[6:7], v10, s20, 0
	v_lshlrev_b32_e32 v1, 8, v48
	v_mov_b32_e32 v14, v13
	v_or_b32_e32 v16, 2, v0
	v_lshlrev_b32_e32 v8, 3, v10
	v_mov_b32_e32 v6, 0
	v_lshl_or_b32 v49, v10, 4, v1
	v_mad_u64_u32 v[10:11], s[6:7], v10, s21, v[14:15]
	v_mad_u64_u32 v[14:15], s[6:7], v16, s20, 0
	v_mov_b32_e32 v9, v6
	v_mov_b32_e32 v13, v10
	v_mov_b32_e32 v17, v6
	v_mov_b32_e32 v18, v15
	v_lshl_add_u64 v[8:9], s[2:3], 0, v[8:9]
	v_lshl_add_u64 v[10:11], v[12:13], 3, s[2:3]
	v_cmp_gt_u64_e64 s[2:3], s[20:21], v[16:17]
	v_mad_u64_u32 v[16:17], s[6:7], v16, s21, v[18:19]
	v_or_b32_e32 v18, 4, v0
	v_mov_b32_e32 v15, v16
	v_mad_u64_u32 v[16:17], s[8:9], v18, s20, 0
	v_mov_b32_e32 v19, v6
	v_mov_b32_e32 v20, v17
	v_cmp_gt_u64_e64 s[6:7], s[20:21], v[18:19]
	v_mad_u64_u32 v[18:19], s[8:9], v18, s21, v[20:21]
	v_or_b32_e32 v20, 6, v0
	v_mov_b32_e32 v17, v18
	v_mad_u64_u32 v[18:19], s[10:11], v20, s20, 0
	v_mov_b32_e32 v21, v6
	v_mov_b32_e32 v22, v19
	;; [unrolled: 7-line block ×5, first 2 shown]
	v_mbcnt_lo_u32_b32 v7, -1, 0
	v_cmp_gt_u64_e64 s[14:15], s[20:21], v[26:27]
	v_mad_u64_u32 v[26:27], s[16:17], v26, s21, v[28:29]
	v_or_b32_e32 v28, 14, v0
	v_mbcnt_hi_u32_b32 v7, -1, v7
	v_mov_b32_e32 v25, v26
	v_mad_u64_u32 v[26:27], s[30:31], v28, s20, 0
	s_mov_b32 s54, 0
	v_mov_b32_e32 v1, v6
	v_lshlrev_b32_e32 v7, 2, v7
	v_mov_b32_e32 v29, v6
	v_mov_b32_e32 v30, v27
	v_or_b32_e32 v50, 4, v7
	s_cselect_b64 s[0:1], -1, 0
	v_or_b32_e32 v51, 0x7c, v7
	v_or_b32_e32 v7, v49, v0
	v_cmp_gt_u64_e32 vcc, s[20:21], v[0:1]
	v_cmp_gt_u64_e64 s[16:17], s[20:21], v[28:29]
	v_mad_u64_u32 v[28:29], s[30:31], v28, s21, v[30:31]
	s_and_b64 s[34:35], s[4:5], s[2:3]
	s_mov_b32 s2, s54
	s_mov_b32 s3, s54
	s_mul_i32 s53, s20, s20
	s_mov_b32 s23, s54
	v_lshlrev_b32_e32 v52, 3, v7
	v_mul_lo_u32 v13, v0, s21
	v_mul_lo_u32 v12, v0, s20
	v_mov_b32_e32 v27, v28
	s_and_b64 s[30:31], s[4:5], vcc
	s_and_b64 s[6:7], s[4:5], s[6:7]
	s_and_b64 s[8:9], s[4:5], s[8:9]
	;; [unrolled: 1-line block ×6, first 2 shown]
	s_mov_b64 s[16:17], 0
	v_mov_b64_e32 v[34:35], 0
	v_mov_b64_e32 v[28:29], s[2:3]
	s_mov_b64 s[36:37], 0x50
	s_mov_b64 s[38:39], 0x60
	s_mov_b64 s[40:41], 0x70
	v_mov_b32_e32 v53, 1
	s_branch .LBB104_10
.LBB104_8:                              ;   in Loop: Header=BB104_10 Depth=1
	s_or_b64 exec, exec, s[42:43]
	v_mov_b64_e32 v[36:37], 1
.LBB104_9:                              ;   in Loop: Header=BB104_10 Depth=1
	s_or_b64 exec, exec, s[2:3]
	v_mov_b32_dpp v34, v30 row_shr:1 row_mask:0xf bank_mask:0xf
	v_mov_b32_dpp v35, v31 row_shr:1 row_mask:0xf bank_mask:0xf
	v_cmp_lt_i64_e32 vcc, v[34:35], v[30:31]
	v_lshl_add_u64 v[4:5], v[36:37], 0, v[4:5]
	s_waitcnt lgkmcnt(0)
	v_cndmask_b32_e32 v31, v31, v35, vcc
	v_cndmask_b32_e32 v30, v30, v34, vcc
	s_nop 0
	v_mov_b32_dpp v35, v31 row_shr:2 row_mask:0xf bank_mask:0xf
	v_mov_b32_dpp v34, v30 row_shr:2 row_mask:0xf bank_mask:0xf
	v_cmp_lt_i64_e32 vcc, v[34:35], v[30:31]
	s_nop 1
	v_cndmask_b32_e32 v31, v31, v35, vcc
	v_cndmask_b32_e32 v30, v30, v34, vcc
	s_nop 0
	v_mov_b32_dpp v35, v31 row_shr:4 row_mask:0xf bank_mask:0xe
	v_mov_b32_dpp v34, v30 row_shr:4 row_mask:0xf bank_mask:0xe
	v_cmp_lt_i64_e32 vcc, v[34:35], v[30:31]
	s_nop 1
	;; [unrolled: 7-line block ×3, first 2 shown]
	v_cndmask_b32_e32 v31, v31, v35, vcc
	v_cndmask_b32_e32 v30, v30, v34, vcc
	s_nop 0
	v_mov_b32_dpp v35, v31 row_bcast:15 row_mask:0xa bank_mask:0xf
	v_mov_b32_dpp v34, v30 row_bcast:15 row_mask:0xa bank_mask:0xf
	v_cmp_lt_i64_e32 vcc, v[34:35], v[30:31]
	s_nop 1
	v_cndmask_b32_e32 v7, v31, v35, vcc
	v_cndmask_b32_e32 v30, v30, v34, vcc
	ds_bpermute_b32 v34, v51, v30
	ds_bpermute_b32 v35, v51, v7
	s_waitcnt lgkmcnt(0)
	v_cmp_le_i64_e32 vcc, s[18:19], v[34:35]
	s_or_b64 s[16:17], vcc, s[16:17]
	s_andn2_b64 exec, exec, s[16:17]
	s_cbranch_execz .LBB104_39
.LBB104_10:                             ; =>This Loop Header: Depth=1
                                        ;     Child Loop BB104_13 Depth 2
	v_lshl_add_u64 v[32:33], v[32:33], 0, v[0:1]
	v_cmp_lt_i64_e32 vcc, v[32:33], v[2:3]
	v_mov_b64_e32 v[30:31], s[18:19]
	v_mov_b64_e32 v[46:47], v[2:3]
	ds_write_b8 v48, v6 offset:16384
	ds_write2_b64 v52, v[28:29], v[28:29] offset1:2
	ds_write2_b64 v52, v[28:29], v[28:29] offset0:4 offset1:6
	ds_write2_b64 v52, v[28:29], v[28:29] offset0:8 offset1:10
	;; [unrolled: 1-line block ×3, first 2 shown]
	s_waitcnt lgkmcnt(0)
	s_and_saveexec_b64 s[42:43], vcc
	s_cbranch_execz .LBB104_22
; %bb.11:                               ;   in Loop: Header=BB104_10 Depth=1
	v_lshlrev_b64 v[30:31], 3, v[32:33]
	v_mad_u64_u32 v[36:37], s[2:3], v34, s20, 0
	v_lshl_add_u64 v[38:39], s[28:29], 0, v[30:31]
	v_lshl_add_u64 v[40:41], s[26:27], 0, v[30:31]
	s_mov_b64 s[44:45], 0
	v_mov_b64_e32 v[30:31], s[18:19]
	v_mov_b64_e32 v[42:43], v[2:3]
	s_branch .LBB104_13
.LBB104_12:                             ;   in Loop: Header=BB104_13 Depth=2
	s_or_b64 exec, exec, s[2:3]
	v_lshl_add_u64 v[32:33], v[32:33], 0, 2
	v_cmp_ge_i64_e64 s[2:3], v[32:33], v[2:3]
	s_xor_b64 s[46:47], vcc, -1
	s_or_b64 s[2:3], s[46:47], s[2:3]
	s_and_b64 s[2:3], exec, s[2:3]
	v_lshl_add_u64 v[38:39], v[38:39], 0, 16
	v_lshl_add_u64 v[40:41], v[40:41], 0, 16
	s_or_b64 s[44:45], s[2:3], s[44:45]
	v_mov_b64_e32 v[42:43], v[46:47]
	s_andn2_b64 exec, exec, s[44:45]
	s_cbranch_execz .LBB104_21
.LBB104_13:                             ;   Parent Loop BB104_10 Depth=1
                                        ; =>  This Inner Loop Header: Depth=2
	global_load_dwordx2 v[44:45], v[40:41], off
	v_mov_b32_e32 v7, s54
                                        ; implicit-def: $vgpr46_vgpr47
	s_waitcnt vmcnt(0)
	v_subrev_co_u32_e32 v44, vcc, s33, v44
	s_nop 1
	v_subb_co_u32_e32 v45, vcc, v45, v7, vcc
	v_or_b32_e32 v7, s21, v45
	v_cmp_ne_u64_e32 vcc, 0, v[6:7]
	s_and_saveexec_b64 s[2:3], vcc
	s_xor_b64 s[46:47], exec, s[2:3]
	s_cbranch_execz .LBB104_15
; %bb.14:                               ;   in Loop: Header=BB104_13 Depth=2
	s_ashr_i32 s48, s21, 31
	s_add_u32 s2, s20, s48
	s_mov_b32 s49, s48
	s_addc_u32 s3, s21, s48
	s_xor_b64 s[50:51], s[2:3], s[48:49]
	v_cvt_f32_u32_e32 v7, s50
	v_cvt_f32_u32_e32 v37, s51
	s_sub_u32 s2, 0, s50
	s_subb_u32 s3, 0, s51
	v_mov_b32_e32 v55, v6
	v_fmac_f32_e32 v7, 0x4f800000, v37
	v_rcp_f32_e32 v7, v7
	s_nop 0
	v_mul_f32_e32 v7, 0x5f7ffffc, v7
	v_mul_f32_e32 v37, 0x2f800000, v7
	v_trunc_f32_e32 v37, v37
	v_fmac_f32_e32 v7, 0xcf800000, v37
	v_cvt_u32_f32_e32 v37, v37
	v_cvt_u32_f32_e32 v7, v7
	v_mul_lo_u32 v46, s2, v37
	v_mul_hi_u32 v54, s2, v7
	v_mul_lo_u32 v47, s3, v7
	v_add_u32_e32 v46, v54, v46
	v_mul_lo_u32 v56, s2, v7
	v_add_u32_e32 v57, v46, v47
	v_mul_hi_u32 v47, v7, v57
	v_mul_lo_u32 v46, v7, v57
	v_mul_hi_u32 v54, v7, v56
	v_lshl_add_u64 v[46:47], v[54:55], 0, v[46:47]
	v_mul_hi_u32 v55, v37, v56
	v_mul_lo_u32 v56, v37, v56
	v_add_co_u32_e32 v46, vcc, v46, v56
	v_mul_hi_u32 v54, v37, v57
	s_nop 0
	v_addc_co_u32_e32 v46, vcc, v47, v55, vcc
	v_mov_b32_e32 v47, v6
	s_nop 0
	v_addc_co_u32_e32 v55, vcc, 0, v54, vcc
	v_mul_lo_u32 v54, v37, v57
	v_lshl_add_u64 v[46:47], v[46:47], 0, v[54:55]
	v_add_co_u32_e32 v7, vcc, v7, v46
	v_mul_lo_u32 v54, s2, v7
	s_nop 0
	v_addc_co_u32_e32 v37, vcc, v37, v47, vcc
	v_mul_lo_u32 v46, s2, v37
	v_mul_hi_u32 v47, s2, v7
	v_add_u32_e32 v46, v47, v46
	v_mul_lo_u32 v47, s3, v7
	v_add_u32_e32 v56, v46, v47
	v_mul_hi_u32 v58, v37, v54
	v_mul_lo_u32 v59, v37, v54
	v_mul_hi_u32 v47, v7, v56
	v_mul_lo_u32 v46, v7, v56
	v_mul_hi_u32 v54, v7, v54
	v_mov_b32_e32 v55, v6
	v_lshl_add_u64 v[46:47], v[54:55], 0, v[46:47]
	v_add_co_u32_e32 v46, vcc, v46, v59
	v_mul_hi_u32 v57, v37, v56
	s_nop 0
	v_addc_co_u32_e32 v46, vcc, v47, v58, vcc
	v_mul_lo_u32 v54, v37, v56
	s_nop 0
	v_addc_co_u32_e32 v55, vcc, 0, v57, vcc
	v_mov_b32_e32 v47, v6
	v_lshl_add_u64 v[46:47], v[46:47], 0, v[54:55]
	v_add_co_u32_e32 v7, vcc, v7, v46
	v_ashrrev_i32_e32 v46, 31, v45
	s_nop 0
	v_addc_co_u32_e32 v37, vcc, v37, v47, vcc
	v_mov_b32_e32 v47, v46
	v_lshl_add_u64 v[54:55], v[44:45], 0, v[46:47]
	v_xor_b32_e32 v47, v54, v46
	v_xor_b32_e32 v45, v55, v46
	v_mad_u64_u32 v[54:55], s[2:3], v47, v37, 0
	v_mul_hi_u32 v56, v47, v7
	v_mov_b32_e32 v57, v6
	v_lshl_add_u64 v[54:55], v[56:57], 0, v[54:55]
	v_mad_u64_u32 v[58:59], s[2:3], v45, v7, 0
	v_add_co_u32_e32 v7, vcc, v54, v58
	v_mad_u64_u32 v[56:57], s[2:3], v45, v37, 0
	s_nop 0
	v_addc_co_u32_e32 v54, vcc, v55, v59, vcc
	v_mov_b32_e32 v55, v6
	s_nop 0
	v_addc_co_u32_e32 v57, vcc, 0, v57, vcc
	v_lshl_add_u64 v[54:55], v[54:55], 0, v[56:57]
	v_mul_lo_u32 v7, s51, v54
	v_mul_lo_u32 v37, s50, v55
	v_mad_u64_u32 v[56:57], s[2:3], s50, v54, 0
	v_add3_u32 v7, v57, v37, v7
	v_sub_u32_e32 v37, v45, v7
	v_mov_b32_e32 v57, s51
	v_sub_co_u32_e32 v47, vcc, v47, v56
	v_lshl_add_u64 v[58:59], v[54:55], 0, 1
	s_nop 0
	v_subb_co_u32_e64 v37, s[2:3], v37, v57, vcc
	v_subrev_co_u32_e64 v56, s[2:3], s50, v47
	v_subb_co_u32_e32 v7, vcc, v45, v7, vcc
	s_nop 0
	v_subbrev_co_u32_e64 v37, s[2:3], 0, v37, s[2:3]
	v_cmp_le_u32_e64 s[2:3], s51, v37
	v_cmp_le_u32_e32 vcc, s51, v7
	s_nop 0
	v_cndmask_b32_e64 v57, 0, -1, s[2:3]
	v_cmp_le_u32_e64 s[2:3], s50, v56
	v_cndmask_b32_e64 v45, 0, -1, vcc
	v_cmp_le_u32_e32 vcc, s50, v47
	v_cndmask_b32_e64 v56, 0, -1, s[2:3]
	v_cmp_eq_u32_e64 s[2:3], s51, v37
	v_cndmask_b32_e64 v47, 0, -1, vcc
	v_cmp_eq_u32_e32 vcc, s51, v7
	v_cndmask_b32_e64 v37, v57, v56, s[2:3]
	v_lshl_add_u64 v[56:57], v[54:55], 0, 2
	v_cmp_ne_u32_e64 s[2:3], 0, v37
	v_cndmask_b32_e32 v7, v45, v47, vcc
	v_cmp_ne_u32_e32 vcc, 0, v7
	v_cndmask_b32_e64 v37, v59, v57, s[2:3]
	v_xor_b32_e32 v45, s48, v46
	v_cndmask_b32_e32 v7, v55, v37, vcc
	v_cndmask_b32_e64 v37, v58, v56, s[2:3]
	v_cndmask_b32_e32 v37, v54, v37, vcc
	v_xor_b32_e32 v37, v37, v45
	v_xor_b32_e32 v7, v7, v45
	v_sub_co_u32_e32 v46, vcc, v37, v45
	s_nop 1
	v_subb_co_u32_e32 v47, vcc, v7, v45, vcc
.LBB104_15:                             ;   in Loop: Header=BB104_13 Depth=2
	s_andn2_saveexec_b64 s[2:3], s[46:47]
	s_cbranch_execz .LBB104_17
; %bb.16:                               ;   in Loop: Header=BB104_13 Depth=2
	v_cvt_f32_u32_e32 v7, s20
	s_sub_i32 s46, 0, s20
	v_mov_b32_e32 v47, v6
	v_rcp_iflag_f32_e32 v7, v7
	s_nop 0
	v_mul_f32_e32 v7, 0x4f7ffffe, v7
	v_cvt_u32_f32_e32 v7, v7
	v_mul_lo_u32 v37, s46, v7
	v_mul_hi_u32 v37, v7, v37
	v_add_u32_e32 v7, v7, v37
	v_mul_hi_u32 v7, v44, v7
	v_mul_lo_u32 v37, v7, s20
	v_sub_u32_e32 v37, v44, v37
	v_add_u32_e32 v45, 1, v7
	v_subrev_u32_e32 v46, s20, v37
	v_cmp_le_u32_e32 vcc, s20, v37
	s_nop 1
	v_cndmask_b32_e32 v37, v37, v46, vcc
	v_cndmask_b32_e32 v7, v7, v45, vcc
	v_add_u32_e32 v45, 1, v7
	v_cmp_le_u32_e32 vcc, s20, v37
	s_nop 1
	v_cndmask_b32_e32 v46, v7, v45, vcc
.LBB104_17:                             ;   in Loop: Header=BB104_13 Depth=2
	s_or_b64 exec, exec, s[2:3]
	v_cmp_eq_u64_e32 vcc, v[46:47], v[34:35]
	v_cmp_ne_u64_e64 s[2:3], v[46:47], v[34:35]
	s_and_saveexec_b64 s[46:47], s[2:3]
	s_xor_b64 s[46:47], exec, s[46:47]
; %bb.18:                               ;   in Loop: Header=BB104_13 Depth=2
	v_cmp_lt_i64_e64 s[2:3], v[46:47], v[30:31]
                                        ; implicit-def: $vgpr44_vgpr45
                                        ; implicit-def: $vgpr42_vgpr43
	s_nop 1
	v_cndmask_b32_e64 v31, v31, v47, s[2:3]
	v_cndmask_b32_e64 v30, v30, v46, s[2:3]
; %bb.19:                               ;   in Loop: Header=BB104_13 Depth=2
	s_or_saveexec_b64 s[2:3], s[46:47]
	v_mov_b64_e32 v[46:47], v[32:33]
	s_xor_b64 exec, exec, s[2:3]
	s_cbranch_execz .LBB104_12
; %bb.20:                               ;   in Loop: Header=BB104_13 Depth=2
	global_load_dwordx2 v[46:47], v[38:39], off
	v_sub_u32_e32 v7, v44, v36
	v_add_lshl_u32 v7, v49, v7, 3
	ds_write_b8 v48, v53 offset:16384
	s_waitcnt vmcnt(0)
	ds_write_b64 v7, v[46:47]
	v_mov_b64_e32 v[46:47], v[42:43]
	s_branch .LBB104_12
.LBB104_21:                             ;   in Loop: Header=BB104_10 Depth=1
	s_or_b64 exec, exec, s[44:45]
.LBB104_22:                             ;   in Loop: Header=BB104_10 Depth=1
	s_or_b64 exec, exec, s[42:43]
	v_mov_b32_dpp v32, v46 row_shr:1 row_mask:0xf bank_mask:0xf
	v_mov_b32_dpp v33, v47 row_shr:1 row_mask:0xf bank_mask:0xf
	s_waitcnt lgkmcnt(0)
	v_cmp_lt_i64_e32 vcc, v[32:33], v[46:47]
	ds_read_u8 v36, v48 offset:16384
	s_nop 0
	v_cndmask_b32_e32 v7, v47, v33, vcc
	v_cndmask_b32_e32 v32, v46, v32, vcc
	ds_bpermute_b32 v32, v50, v32
	ds_bpermute_b32 v33, v50, v7
	s_waitcnt lgkmcnt(2)
	v_and_b32_e32 v7, 1, v36
	v_cmp_eq_u32_e32 vcc, 1, v7
	v_mov_b64_e32 v[36:37], 0
	s_and_saveexec_b64 s[2:3], vcc
	s_cbranch_execz .LBB104_9
; %bb.23:                               ;   in Loop: Header=BB104_10 Depth=1
	v_lshl_add_u64 v[34:35], v[34:35], 0, s[22:23]
	v_lshl_add_u64 v[36:37], v[4:5], 3, s[24:25]
	global_store_dwordx2 v[36:37], v[34:35], off
	v_mul_lo_u32 v7, s52, v4
	v_mul_lo_u32 v36, s53, v5
	v_mad_u64_u32 v[34:35], s[42:43], s53, v4, 0
	v_add3_u32 v35, v35, v36, v7
	v_lshlrev_b64 v[36:37], 3, v[34:35]
	v_lshl_add_u64 v[34:35], v[8:9], 0, v[36:37]
	v_lshl_add_u64 v[36:37], v[10:11], 0, v[36:37]
	v_lshlrev_b32_e32 v38, 3, v0
	s_and_saveexec_b64 s[42:43], s[30:31]
	s_cbranch_execnz .LBB104_31
; %bb.24:                               ;   in Loop: Header=BB104_10 Depth=1
	s_or_b64 exec, exec, s[42:43]
	s_and_saveexec_b64 s[42:43], s[34:35]
	s_cbranch_execnz .LBB104_32
.LBB104_25:                             ;   in Loop: Header=BB104_10 Depth=1
	s_or_b64 exec, exec, s[42:43]
	s_and_saveexec_b64 s[42:43], s[6:7]
	s_cbranch_execnz .LBB104_33
.LBB104_26:                             ;   in Loop: Header=BB104_10 Depth=1
	s_or_b64 exec, exec, s[42:43]
	s_and_saveexec_b64 s[42:43], s[8:9]
	s_cbranch_execnz .LBB104_34
.LBB104_27:                             ;   in Loop: Header=BB104_10 Depth=1
	s_or_b64 exec, exec, s[42:43]
	s_and_saveexec_b64 s[42:43], s[10:11]
	s_cbranch_execnz .LBB104_35
.LBB104_28:                             ;   in Loop: Header=BB104_10 Depth=1
	s_or_b64 exec, exec, s[42:43]
	s_and_saveexec_b64 s[42:43], s[12:13]
	s_cbranch_execnz .LBB104_36
.LBB104_29:                             ;   in Loop: Header=BB104_10 Depth=1
	s_or_b64 exec, exec, s[42:43]
	s_and_saveexec_b64 s[42:43], s[14:15]
	s_cbranch_execnz .LBB104_37
.LBB104_30:                             ;   in Loop: Header=BB104_10 Depth=1
	s_or_b64 exec, exec, s[42:43]
	s_and_saveexec_b64 s[42:43], s[4:5]
	s_cbranch_execz .LBB104_8
	s_branch .LBB104_38
.LBB104_31:                             ;   in Loop: Header=BB104_10 Depth=1
	ds_read_b64 v[42:43], v52
	v_mov_b32_e32 v39, v6
	v_lshl_add_u64 v[40:41], v[12:13], 3, v[34:35]
	v_lshl_add_u64 v[44:45], v[36:37], 0, v[38:39]
	v_cndmask_b32_e64 v41, v41, v45, s[0:1]
	v_cndmask_b32_e64 v40, v40, v44, s[0:1]
	s_waitcnt lgkmcnt(0)
	global_store_dwordx2 v[40:41], v[42:43], off
	s_or_b64 exec, exec, s[42:43]
	s_and_saveexec_b64 s[42:43], s[34:35]
	s_cbranch_execz .LBB104_25
.LBB104_32:                             ;   in Loop: Header=BB104_10 Depth=1
	ds_read_b64 v[42:43], v52 offset:16
	v_mov_b32_e32 v39, v6
	v_lshl_add_u64 v[40:41], v[36:37], 0, v[38:39]
	v_lshl_add_u64 v[40:41], v[40:41], 0, 16
	;; [unrolled: 1-line block ×3, first 2 shown]
	v_cndmask_b32_e64 v41, v45, v41, s[0:1]
	v_cndmask_b32_e64 v40, v44, v40, s[0:1]
	s_waitcnt lgkmcnt(0)
	global_store_dwordx2 v[40:41], v[42:43], off
	s_or_b64 exec, exec, s[42:43]
	s_and_saveexec_b64 s[42:43], s[6:7]
	s_cbranch_execz .LBB104_26
.LBB104_33:                             ;   in Loop: Header=BB104_10 Depth=1
	ds_read_b64 v[42:43], v52 offset:32
	v_mov_b32_e32 v39, v6
	v_lshl_add_u64 v[40:41], v[36:37], 0, v[38:39]
	v_lshl_add_u64 v[40:41], v[40:41], 0, 32
	;; [unrolled: 1-line block ×3, first 2 shown]
	v_cndmask_b32_e64 v41, v45, v41, s[0:1]
	v_cndmask_b32_e64 v40, v44, v40, s[0:1]
	s_waitcnt lgkmcnt(0)
	global_store_dwordx2 v[40:41], v[42:43], off
	s_or_b64 exec, exec, s[42:43]
	s_and_saveexec_b64 s[42:43], s[8:9]
	s_cbranch_execz .LBB104_27
.LBB104_34:                             ;   in Loop: Header=BB104_10 Depth=1
	ds_read_b64 v[42:43], v52 offset:48
	v_mov_b32_e32 v39, v6
	v_lshl_add_u64 v[40:41], v[36:37], 0, v[38:39]
	v_lshl_add_u64 v[40:41], v[40:41], 0, 48
	v_lshl_add_u64 v[44:45], v[18:19], 3, v[34:35]
	v_cndmask_b32_e64 v41, v45, v41, s[0:1]
	v_cndmask_b32_e64 v40, v44, v40, s[0:1]
	s_waitcnt lgkmcnt(0)
	global_store_dwordx2 v[40:41], v[42:43], off
	s_or_b64 exec, exec, s[42:43]
	s_and_saveexec_b64 s[42:43], s[10:11]
	s_cbranch_execz .LBB104_28
.LBB104_35:                             ;   in Loop: Header=BB104_10 Depth=1
	ds_read_b64 v[42:43], v52 offset:64
	v_mov_b32_e32 v39, v6
	v_lshl_add_u64 v[40:41], v[36:37], 0, v[38:39]
	v_lshl_add_u64 v[40:41], v[40:41], 0, 64
	;; [unrolled: 1-line block ×3, first 2 shown]
	v_cndmask_b32_e64 v41, v45, v41, s[0:1]
	v_cndmask_b32_e64 v40, v44, v40, s[0:1]
	s_waitcnt lgkmcnt(0)
	global_store_dwordx2 v[40:41], v[42:43], off
	s_or_b64 exec, exec, s[42:43]
	s_and_saveexec_b64 s[42:43], s[12:13]
	s_cbranch_execz .LBB104_29
.LBB104_36:                             ;   in Loop: Header=BB104_10 Depth=1
	ds_read_b64 v[42:43], v52 offset:80
	v_mov_b32_e32 v39, v6
	v_lshl_add_u64 v[40:41], v[36:37], 0, v[38:39]
	v_lshl_add_u64 v[40:41], v[40:41], 0, s[36:37]
	;; [unrolled: 1-line block ×3, first 2 shown]
	v_cndmask_b32_e64 v41, v45, v41, s[0:1]
	v_cndmask_b32_e64 v40, v44, v40, s[0:1]
	s_waitcnt lgkmcnt(0)
	global_store_dwordx2 v[40:41], v[42:43], off
	s_or_b64 exec, exec, s[42:43]
	s_and_saveexec_b64 s[42:43], s[14:15]
	s_cbranch_execz .LBB104_30
.LBB104_37:                             ;   in Loop: Header=BB104_10 Depth=1
	ds_read_b64 v[42:43], v52 offset:96
	v_mov_b32_e32 v39, v6
	v_lshl_add_u64 v[40:41], v[36:37], 0, v[38:39]
	v_lshl_add_u64 v[40:41], v[40:41], 0, s[38:39]
	;; [unrolled: 1-line block ×3, first 2 shown]
	v_cndmask_b32_e64 v41, v45, v41, s[0:1]
	v_cndmask_b32_e64 v40, v44, v40, s[0:1]
	s_waitcnt lgkmcnt(0)
	global_store_dwordx2 v[40:41], v[42:43], off
	s_or_b64 exec, exec, s[42:43]
	s_and_saveexec_b64 s[42:43], s[4:5]
	s_cbranch_execz .LBB104_8
.LBB104_38:                             ;   in Loop: Header=BB104_10 Depth=1
	v_mov_b32_e32 v39, v6
	v_lshl_add_u64 v[36:37], v[36:37], 0, v[38:39]
	ds_read_b64 v[38:39], v52 offset:112
	v_lshl_add_u64 v[36:37], v[36:37], 0, s[40:41]
	v_lshl_add_u64 v[34:35], v[26:27], 3, v[34:35]
	v_cndmask_b32_e64 v35, v35, v37, s[0:1]
	v_cndmask_b32_e64 v34, v34, v36, s[0:1]
	s_waitcnt lgkmcnt(0)
	global_store_dwordx2 v[34:35], v[38:39], off
	s_branch .LBB104_8
.LBB104_39:
	s_endpgm
	.section	.rodata,"a",@progbits
	.p2align	6, 0x0
	.amdhsa_kernel _ZN9rocsparseL42csr2bsr_wavefront_per_row_multipass_kernelILj256ELj32ELj16E21rocsparse_complex_numIfEllEEv20rocsparse_direction_T4_S4_S4_S4_S4_21rocsparse_index_base_PKT2_PKT3_PKS4_S5_PS6_PS9_PS4_
		.amdhsa_group_segment_fixed_size 16392
		.amdhsa_private_segment_fixed_size 0
		.amdhsa_kernarg_size 112
		.amdhsa_user_sgpr_count 2
		.amdhsa_user_sgpr_dispatch_ptr 0
		.amdhsa_user_sgpr_queue_ptr 0
		.amdhsa_user_sgpr_kernarg_segment_ptr 1
		.amdhsa_user_sgpr_dispatch_id 0
		.amdhsa_user_sgpr_kernarg_preload_length 0
		.amdhsa_user_sgpr_kernarg_preload_offset 0
		.amdhsa_user_sgpr_private_segment_size 0
		.amdhsa_uses_dynamic_stack 0
		.amdhsa_enable_private_segment 0
		.amdhsa_system_sgpr_workgroup_id_x 1
		.amdhsa_system_sgpr_workgroup_id_y 0
		.amdhsa_system_sgpr_workgroup_id_z 0
		.amdhsa_system_sgpr_workgroup_info 0
		.amdhsa_system_vgpr_workitem_id 0
		.amdhsa_next_free_vgpr 60
		.amdhsa_next_free_sgpr 55
		.amdhsa_accum_offset 60
		.amdhsa_reserve_vcc 1
		.amdhsa_float_round_mode_32 0
		.amdhsa_float_round_mode_16_64 0
		.amdhsa_float_denorm_mode_32 3
		.amdhsa_float_denorm_mode_16_64 3
		.amdhsa_dx10_clamp 1
		.amdhsa_ieee_mode 1
		.amdhsa_fp16_overflow 0
		.amdhsa_tg_split 0
		.amdhsa_exception_fp_ieee_invalid_op 0
		.amdhsa_exception_fp_denorm_src 0
		.amdhsa_exception_fp_ieee_div_zero 0
		.amdhsa_exception_fp_ieee_overflow 0
		.amdhsa_exception_fp_ieee_underflow 0
		.amdhsa_exception_fp_ieee_inexact 0
		.amdhsa_exception_int_div_zero 0
	.end_amdhsa_kernel
	.section	.text._ZN9rocsparseL42csr2bsr_wavefront_per_row_multipass_kernelILj256ELj32ELj16E21rocsparse_complex_numIfEllEEv20rocsparse_direction_T4_S4_S4_S4_S4_21rocsparse_index_base_PKT2_PKT3_PKS4_S5_PS6_PS9_PS4_,"axG",@progbits,_ZN9rocsparseL42csr2bsr_wavefront_per_row_multipass_kernelILj256ELj32ELj16E21rocsparse_complex_numIfEllEEv20rocsparse_direction_T4_S4_S4_S4_S4_21rocsparse_index_base_PKT2_PKT3_PKS4_S5_PS6_PS9_PS4_,comdat
.Lfunc_end104:
	.size	_ZN9rocsparseL42csr2bsr_wavefront_per_row_multipass_kernelILj256ELj32ELj16E21rocsparse_complex_numIfEllEEv20rocsparse_direction_T4_S4_S4_S4_S4_21rocsparse_index_base_PKT2_PKT3_PKS4_S5_PS6_PS9_PS4_, .Lfunc_end104-_ZN9rocsparseL42csr2bsr_wavefront_per_row_multipass_kernelILj256ELj32ELj16E21rocsparse_complex_numIfEllEEv20rocsparse_direction_T4_S4_S4_S4_S4_21rocsparse_index_base_PKT2_PKT3_PKS4_S5_PS6_PS9_PS4_
                                        ; -- End function
	.section	.AMDGPU.csdata,"",@progbits
; Kernel info:
; codeLenInByte = 3188
; NumSgprs: 61
; NumVgprs: 60
; NumAgprs: 0
; TotalNumVgprs: 60
; ScratchSize: 0
; MemoryBound: 0
; FloatMode: 240
; IeeeMode: 1
; LDSByteSize: 16392 bytes/workgroup (compile time only)
; SGPRBlocks: 7
; VGPRBlocks: 7
; NumSGPRsForWavesPerEU: 61
; NumVGPRsForWavesPerEU: 60
; AccumOffset: 60
; Occupancy: 3
; WaveLimiterHint : 0
; COMPUTE_PGM_RSRC2:SCRATCH_EN: 0
; COMPUTE_PGM_RSRC2:USER_SGPR: 2
; COMPUTE_PGM_RSRC2:TRAP_HANDLER: 0
; COMPUTE_PGM_RSRC2:TGID_X_EN: 1
; COMPUTE_PGM_RSRC2:TGID_Y_EN: 0
; COMPUTE_PGM_RSRC2:TGID_Z_EN: 0
; COMPUTE_PGM_RSRC2:TIDIG_COMP_CNT: 0
; COMPUTE_PGM_RSRC3_GFX90A:ACCUM_OFFSET: 14
; COMPUTE_PGM_RSRC3_GFX90A:TG_SPLIT: 0
	.section	.text._ZN9rocsparseL38csr2bsr_block_per_row_multipass_kernelILj256ELj32E21rocsparse_complex_numIfEllEEv20rocsparse_direction_T3_S4_S4_S4_S4_21rocsparse_index_base_PKT1_PKT2_PKS4_S5_PS6_PS9_PS4_,"axG",@progbits,_ZN9rocsparseL38csr2bsr_block_per_row_multipass_kernelILj256ELj32E21rocsparse_complex_numIfEllEEv20rocsparse_direction_T3_S4_S4_S4_S4_21rocsparse_index_base_PKT1_PKT2_PKS4_S5_PS6_PS9_PS4_,comdat
	.globl	_ZN9rocsparseL38csr2bsr_block_per_row_multipass_kernelILj256ELj32E21rocsparse_complex_numIfEllEEv20rocsparse_direction_T3_S4_S4_S4_S4_21rocsparse_index_base_PKT1_PKT2_PKS4_S5_PS6_PS9_PS4_ ; -- Begin function _ZN9rocsparseL38csr2bsr_block_per_row_multipass_kernelILj256ELj32E21rocsparse_complex_numIfEllEEv20rocsparse_direction_T3_S4_S4_S4_S4_21rocsparse_index_base_PKT1_PKT2_PKS4_S5_PS6_PS9_PS4_
	.p2align	8
	.type	_ZN9rocsparseL38csr2bsr_block_per_row_multipass_kernelILj256ELj32E21rocsparse_complex_numIfEllEEv20rocsparse_direction_T3_S4_S4_S4_S4_21rocsparse_index_base_PKT1_PKT2_PKS4_S5_PS6_PS9_PS4_,@function
_ZN9rocsparseL38csr2bsr_block_per_row_multipass_kernelILj256ELj32E21rocsparse_complex_numIfEllEEv20rocsparse_direction_T3_S4_S4_S4_S4_21rocsparse_index_base_PKT1_PKT2_PKS4_S5_PS6_PS9_PS4_: ; @_ZN9rocsparseL38csr2bsr_block_per_row_multipass_kernelILj256ELj32E21rocsparse_complex_numIfEllEEv20rocsparse_direction_T3_S4_S4_S4_S4_21rocsparse_index_base_PKT1_PKT2_PKS4_S5_PS6_PS9_PS4_
; %bb.0:
	s_load_dwordx2 s[6:7], s[0:1], 0x8
	s_load_dwordx4 s[20:23], s[0:1], 0x20
	s_load_dword s33, s[0:1], 0x30
	s_load_dwordx2 s[4:5], s[0:1], 0x40
	s_ashr_i32 s3, s2, 31
	v_lshrrev_b32_e32 v10, 3, v0
	v_mov_b32_e32 v11, 0
	s_waitcnt lgkmcnt(0)
	s_mul_i32 s8, s2, s23
	s_mul_i32 s9, s3, s22
	v_mov_b32_e32 v1, s22
	s_add_i32 s10, s8, s9
	v_mad_u64_u32 v[4:5], s[8:9], s2, v1, v[10:11]
	v_add_u32_e32 v5, s10, v5
	v_cmp_gt_i64_e32 vcc, s[6:7], v[4:5]
	v_cmp_gt_i64_e64 s[18:19], s[22:23], v[10:11]
	v_mov_b64_e32 v[2:3], 0
	s_and_b64 s[6:7], s[18:19], vcc
	v_mov_b64_e32 v[20:21], v[2:3]
	s_and_saveexec_b64 s[8:9], s[6:7]
	s_cbranch_execnz .LBB105_3
; %bb.1:
	s_or_b64 exec, exec, s[8:9]
	s_and_saveexec_b64 s[8:9], s[6:7]
	s_cbranch_execnz .LBB105_4
.LBB105_2:
	s_or_b64 exec, exec, s[8:9]
	v_cmp_lt_i64_e64 s[4:5], s[20:21], 1
	s_and_b64 vcc, exec, s[4:5]
	s_cbranch_vccz .LBB105_5
	s_branch .LBB105_45
.LBB105_3:
	v_lshl_add_u64 v[6:7], v[4:5], 3, s[4:5]
	global_load_dwordx2 v[6:7], v[6:7], off
	s_waitcnt vmcnt(0)
	v_subrev_co_u32_e32 v20, vcc, s33, v6
	s_nop 1
	v_subbrev_co_u32_e32 v21, vcc, 0, v7, vcc
	s_or_b64 exec, exec, s[8:9]
	s_and_saveexec_b64 s[8:9], s[6:7]
	s_cbranch_execz .LBB105_2
.LBB105_4:
	v_lshl_add_u64 v[2:3], v[4:5], 3, s[4:5]
	global_load_dwordx2 v[2:3], v[2:3], off offset:8
	s_waitcnt vmcnt(0)
	v_subrev_co_u32_e32 v2, vcc, s33, v2
	s_nop 1
	v_subbrev_co_u32_e32 v3, vcc, 0, v3, vcc
	s_or_b64 exec, exec, s[8:9]
	v_cmp_lt_i64_e64 s[4:5], s[20:21], 1
	s_and_b64 vcc, exec, s[4:5]
	s_cbranch_vccnz .LBB105_45
.LBB105_5:
	s_load_dwordx2 s[24:25], s[0:1], 0x68
	s_load_dwordx4 s[4:7], s[0:1], 0x58
	s_load_dword s58, s[0:1], 0x50
	s_mul_i32 s8, s22, s23
	s_mul_hi_u32 s9, s22, s22
	s_add_i32 s9, s9, s8
	s_add_i32 s60, s9, s8
	s_lshl_b64 s[2:3], s[2:3], 3
	s_waitcnt lgkmcnt(0)
	s_add_u32 s2, s6, s2
	s_addc_u32 s3, s7, s3
	s_load_dwordx2 s[6:7], s[2:3], 0x0
	s_load_dwordx2 s[26:27], s[0:1], 0x48
	;; [unrolled: 1-line block ×3, first 2 shown]
	s_load_dword s8, s[0:1], 0x0
	v_mad_u64_u32 v[12:13], s[2:3], v10, s22, 0
	v_mov_b32_e32 v14, v13
	v_lshlrev_b32_e32 v6, 3, v10
	v_mov_b32_e32 v4, 0
	s_waitcnt lgkmcnt(0)
	s_sub_u32 s30, s6, s58
	v_lshlrev_b32_e32 v34, 5, v10
	v_mad_u64_u32 v[10:11], s[2:3], v10, s23, v[14:15]
	v_mov_b32_e32 v7, v4
	v_and_b32_e32 v8, 7, v0
	s_subb_u32 s31, s7, 0
	v_mbcnt_lo_u32_b32 v1, -1, 0
	v_mov_b32_e32 v13, v10
	s_movk_i32 s2, 0x80
	v_lshl_add_u64 v[6:7], s[4:5], 0, v[6:7]
	v_mbcnt_hi_u32_b32 v1, -1, v1
	s_cmp_eq_u32 s8, 0
	v_lshl_add_u64 v[10:11], v[12:13], 3, s[4:5]
	v_lshlrev_b32_e32 v36, 3, v0
	v_cmp_gt_u32_e64 s[2:3], s2, v0
	v_cmp_gt_u32_e64 s[4:5], 64, v0
	;; [unrolled: 1-line block ×7, first 2 shown]
	v_cmp_eq_u32_e64 s[16:17], 0, v0
	v_or_b32_e32 v0, v34, v8
	v_lshl_or_b32 v35, v1, 2, 28
	v_lshlrev_b32_e32 v12, 3, v8
	v_mov_b32_e32 v13, v4
	v_lshlrev_b32_e32 v37, 3, v0
	v_mad_u64_u32 v[0:1], s[36:37], v8, s22, 0
	v_lshl_add_u64 v[10:11], v[10:11], 0, v[12:13]
	v_mov_b32_e32 v12, v1
	v_mad_u64_u32 v[12:13], s[36:37], v8, s23, v[12:13]
	v_or_b32_e32 v14, 8, v8
	v_mov_b32_e32 v9, v4
	v_mov_b32_e32 v1, v12
	v_mad_u64_u32 v[12:13], s[38:39], v14, s22, 0
	v_cmp_gt_i64_e32 vcc, s[22:23], v[8:9]
	v_mov_b32_e32 v15, v4
	v_mov_b32_e32 v16, v13
	s_cselect_b64 s[0:1], -1, 0
	s_and_b64 s[34:35], s[18:19], vcc
	v_cmp_gt_i64_e32 vcc, s[22:23], v[14:15]
	v_mad_u64_u32 v[14:15], s[38:39], v14, s23, v[16:17]
	v_or_b32_e32 v16, 16, v8
	v_mov_b32_e32 v13, v14
	v_mad_u64_u32 v[14:15], s[40:41], v16, s22, 0
	v_mov_b32_e32 v17, v4
	v_mov_b32_e32 v18, v15
	s_and_b64 s[36:37], s[18:19], vcc
	v_cmp_gt_i64_e32 vcc, s[22:23], v[16:17]
	v_mad_u64_u32 v[16:17], s[40:41], v16, s23, v[18:19]
	v_or_b32_e32 v18, 24, v8
	v_mov_b32_e32 v19, v4
	s_and_b64 s[38:39], s[18:19], vcc
	v_cmp_gt_i64_e32 vcc, s[22:23], v[18:19]
	v_mov_b32_e32 v15, v16
	s_and_b64 s[40:41], s[18:19], vcc
	v_mad_u64_u32 v[16:17], s[18:19], v18, s22, 0
	v_mov_b32_e32 v22, v17
	s_mov_b32 s59, 0
	v_mad_u64_u32 v[18:19], s[18:19], v18, s23, v[22:23]
	s_mov_b32 s18, s59
	s_mov_b32 s19, s59
	s_mul_i32 s61, s22, s22
	v_mov_b32_e32 v17, v18
	s_mov_b64 s[46:47], 0
	v_mov_b64_e32 v[18:19], s[18:19]
	s_mov_b64 s[42:43], 0x80
	s_mov_b64 s[44:45], 0xc0
	v_mov_b32_e32 v38, 1
	s_branch .LBB105_7
.LBB105_6:                              ;   in Loop: Header=BB105_7 Depth=1
	s_or_b64 exec, exec, s[46:47]
	s_waitcnt lgkmcnt(0)
	s_barrier
	ds_read_b64 v[22:23], v4
	s_add_u32 s30, s18, s30
	s_addc_u32 s31, s19, s31
	s_waitcnt lgkmcnt(0)
	s_barrier
	v_cmp_gt_i64_e32 vcc, s[20:21], v[22:23]
	v_readfirstlane_b32 s46, v22
	v_readfirstlane_b32 s47, v23
	s_cbranch_vccz .LBB105_45
.LBB105_7:                              ; =>This Loop Header: Depth=1
                                        ;     Child Loop BB105_10 Depth 2
	v_lshl_add_u64 v[20:21], v[20:21], 0, v[8:9]
	v_cmp_lt_i64_e32 vcc, v[20:21], v[2:3]
	v_mov_b64_e32 v[22:23], s[20:21]
	v_mov_b64_e32 v[32:33], v[2:3]
	ds_write_b8 v4, v4 offset:8192
	ds_write2_b64 v37, v[18:19], v[18:19] offset1:8
	ds_write2_b64 v37, v[18:19], v[18:19] offset0:16 offset1:24
	s_waitcnt lgkmcnt(0)
	s_barrier
	s_and_saveexec_b64 s[48:49], vcc
	s_cbranch_execz .LBB105_19
; %bb.8:                                ;   in Loop: Header=BB105_7 Depth=1
	v_lshlrev_b64 v[22:23], 3, v[20:21]
	s_mul_i32 s62, s46, s22
	v_lshl_add_u64 v[24:25], s[28:29], 0, v[22:23]
	v_lshl_add_u64 v[26:27], s[26:27], 0, v[22:23]
	s_mov_b64 s[50:51], 0
	v_mov_b64_e32 v[22:23], s[20:21]
	v_mov_b64_e32 v[28:29], v[2:3]
	s_branch .LBB105_10
.LBB105_9:                              ;   in Loop: Header=BB105_10 Depth=2
	s_or_b64 exec, exec, s[18:19]
	v_lshl_add_u64 v[20:21], v[20:21], 0, 8
	v_cmp_ge_i64_e64 s[18:19], v[20:21], v[2:3]
	s_xor_b64 s[52:53], vcc, -1
	s_or_b64 s[18:19], s[52:53], s[18:19]
	s_and_b64 s[18:19], exec, s[18:19]
	v_lshl_add_u64 v[24:25], v[24:25], 0, 64
	v_lshl_add_u64 v[26:27], v[26:27], 0, 64
	s_or_b64 s[50:51], s[18:19], s[50:51]
	v_mov_b64_e32 v[28:29], v[32:33]
	s_andn2_b64 exec, exec, s[50:51]
	s_cbranch_execz .LBB105_18
.LBB105_10:                             ;   Parent Loop BB105_7 Depth=1
                                        ; =>  This Inner Loop Header: Depth=2
	global_load_dwordx2 v[30:31], v[26:27], off
	v_mov_b32_e32 v5, s59
                                        ; implicit-def: $vgpr32_vgpr33
	s_waitcnt vmcnt(0)
	v_subrev_co_u32_e32 v30, vcc, s33, v30
	s_nop 1
	v_subb_co_u32_e32 v31, vcc, v31, v5, vcc
	v_or_b32_e32 v5, s23, v31
	v_cmp_ne_u64_e32 vcc, 0, v[4:5]
	s_and_saveexec_b64 s[18:19], vcc
	s_xor_b64 s[52:53], exec, s[18:19]
	s_cbranch_execz .LBB105_12
; %bb.11:                               ;   in Loop: Header=BB105_10 Depth=2
	s_ashr_i32 s54, s23, 31
	s_add_u32 s18, s22, s54
	s_mov_b32 s55, s54
	s_addc_u32 s19, s23, s54
	s_xor_b64 s[56:57], s[18:19], s[54:55]
	v_cvt_f32_u32_e32 v5, s56
	v_cvt_f32_u32_e32 v32, s57
	s_sub_u32 s18, 0, s56
	s_subb_u32 s19, 0, s57
	v_mov_b32_e32 v41, v4
	v_fmac_f32_e32 v5, 0x4f800000, v32
	v_rcp_f32_e32 v5, v5
	s_nop 0
	v_mul_f32_e32 v5, 0x5f7ffffc, v5
	v_mul_f32_e32 v32, 0x2f800000, v5
	v_trunc_f32_e32 v32, v32
	v_fmac_f32_e32 v5, 0xcf800000, v32
	v_cvt_u32_f32_e32 v39, v32
	v_cvt_u32_f32_e32 v5, v5
	v_mul_lo_u32 v32, s18, v39
	v_mul_hi_u32 v40, s18, v5
	v_mul_lo_u32 v33, s19, v5
	v_add_u32_e32 v32, v40, v32
	v_mul_lo_u32 v42, s18, v5
	v_add_u32_e32 v43, v32, v33
	v_mul_hi_u32 v33, v5, v43
	v_mul_lo_u32 v32, v5, v43
	v_mul_hi_u32 v40, v5, v42
	v_lshl_add_u64 v[32:33], v[40:41], 0, v[32:33]
	v_mul_hi_u32 v41, v39, v42
	v_mul_lo_u32 v42, v39, v42
	v_add_co_u32_e32 v32, vcc, v32, v42
	v_mul_hi_u32 v40, v39, v43
	s_nop 0
	v_addc_co_u32_e32 v32, vcc, v33, v41, vcc
	v_mov_b32_e32 v33, v4
	s_nop 0
	v_addc_co_u32_e32 v41, vcc, 0, v40, vcc
	v_mul_lo_u32 v40, v39, v43
	v_lshl_add_u64 v[32:33], v[32:33], 0, v[40:41]
	v_add_co_u32_e32 v5, vcc, v5, v32
	v_mul_lo_u32 v40, s18, v5
	s_nop 0
	v_addc_co_u32_e32 v39, vcc, v39, v33, vcc
	v_mul_lo_u32 v32, s18, v39
	v_mul_hi_u32 v33, s18, v5
	v_add_u32_e32 v32, v33, v32
	v_mul_lo_u32 v33, s19, v5
	v_add_u32_e32 v42, v32, v33
	v_mul_hi_u32 v44, v39, v40
	v_mul_lo_u32 v45, v39, v40
	v_mul_hi_u32 v33, v5, v42
	v_mul_lo_u32 v32, v5, v42
	v_mul_hi_u32 v40, v5, v40
	v_mov_b32_e32 v41, v4
	v_lshl_add_u64 v[32:33], v[40:41], 0, v[32:33]
	v_add_co_u32_e32 v32, vcc, v32, v45
	v_mul_hi_u32 v43, v39, v42
	s_nop 0
	v_addc_co_u32_e32 v32, vcc, v33, v44, vcc
	v_mul_lo_u32 v40, v39, v42
	s_nop 0
	v_addc_co_u32_e32 v41, vcc, 0, v43, vcc
	v_mov_b32_e32 v33, v4
	v_lshl_add_u64 v[32:33], v[32:33], 0, v[40:41]
	v_add_co_u32_e32 v5, vcc, v5, v32
	v_ashrrev_i32_e32 v32, 31, v31
	s_nop 0
	v_addc_co_u32_e32 v39, vcc, v39, v33, vcc
	v_mov_b32_e32 v33, v32
	v_lshl_add_u64 v[40:41], v[30:31], 0, v[32:33]
	v_xor_b32_e32 v33, v40, v32
	v_xor_b32_e32 v31, v41, v32
	v_mad_u64_u32 v[40:41], s[18:19], v33, v39, 0
	v_mul_hi_u32 v42, v33, v5
	v_mov_b32_e32 v43, v4
	v_lshl_add_u64 v[40:41], v[42:43], 0, v[40:41]
	v_mad_u64_u32 v[44:45], s[18:19], v31, v5, 0
	v_add_co_u32_e32 v5, vcc, v40, v44
	v_mad_u64_u32 v[42:43], s[18:19], v31, v39, 0
	s_nop 0
	v_addc_co_u32_e32 v40, vcc, v41, v45, vcc
	v_mov_b32_e32 v41, v4
	s_nop 0
	v_addc_co_u32_e32 v43, vcc, 0, v43, vcc
	v_lshl_add_u64 v[40:41], v[40:41], 0, v[42:43]
	v_mul_lo_u32 v5, s57, v40
	v_mul_lo_u32 v39, s56, v41
	v_mad_u64_u32 v[42:43], s[18:19], s56, v40, 0
	v_add3_u32 v5, v43, v39, v5
	v_sub_u32_e32 v39, v31, v5
	v_mov_b32_e32 v43, s57
	v_sub_co_u32_e32 v33, vcc, v33, v42
	v_lshl_add_u64 v[44:45], v[40:41], 0, 1
	s_nop 0
	v_subb_co_u32_e64 v39, s[18:19], v39, v43, vcc
	v_subrev_co_u32_e64 v42, s[18:19], s56, v33
	v_subb_co_u32_e32 v5, vcc, v31, v5, vcc
	s_nop 0
	v_subbrev_co_u32_e64 v39, s[18:19], 0, v39, s[18:19]
	v_cmp_le_u32_e64 s[18:19], s57, v39
	v_cmp_le_u32_e32 vcc, s57, v5
	s_nop 0
	v_cndmask_b32_e64 v43, 0, -1, s[18:19]
	v_cmp_le_u32_e64 s[18:19], s56, v42
	v_cndmask_b32_e64 v31, 0, -1, vcc
	v_cmp_le_u32_e32 vcc, s56, v33
	v_cndmask_b32_e64 v42, 0, -1, s[18:19]
	v_cmp_eq_u32_e64 s[18:19], s57, v39
	v_cndmask_b32_e64 v33, 0, -1, vcc
	v_cmp_eq_u32_e32 vcc, s57, v5
	v_cndmask_b32_e64 v39, v43, v42, s[18:19]
	v_lshl_add_u64 v[42:43], v[40:41], 0, 2
	v_cmp_ne_u32_e64 s[18:19], 0, v39
	v_cndmask_b32_e32 v5, v31, v33, vcc
	v_cmp_ne_u32_e32 vcc, 0, v5
	v_cndmask_b32_e64 v31, v44, v42, s[18:19]
	v_cndmask_b32_e64 v39, v45, v43, s[18:19]
	v_cndmask_b32_e32 v31, v40, v31, vcc
	v_xor_b32_e32 v33, s54, v32
	v_cndmask_b32_e32 v5, v41, v39, vcc
	v_xor_b32_e32 v31, v31, v33
	v_xor_b32_e32 v5, v5, v33
	v_sub_co_u32_e32 v32, vcc, v31, v33
	s_nop 1
	v_subb_co_u32_e32 v33, vcc, v5, v33, vcc
.LBB105_12:                             ;   in Loop: Header=BB105_10 Depth=2
	s_andn2_saveexec_b64 s[18:19], s[52:53]
	s_cbranch_execz .LBB105_14
; %bb.13:                               ;   in Loop: Header=BB105_10 Depth=2
	v_cvt_f32_u32_e32 v5, s22
	s_sub_i32 s52, 0, s22
	v_rcp_iflag_f32_e32 v5, v5
	s_nop 0
	v_mul_f32_e32 v5, 0x4f7ffffe, v5
	v_cvt_u32_f32_e32 v5, v5
	v_mul_lo_u32 v31, s52, v5
	v_mul_hi_u32 v31, v5, v31
	v_add_u32_e32 v5, v5, v31
	v_mul_hi_u32 v5, v30, v5
	v_mul_lo_u32 v31, v5, s22
	v_sub_u32_e32 v31, v30, v31
	v_add_u32_e32 v32, 1, v5
	v_subrev_u32_e32 v33, s22, v31
	v_cmp_le_u32_e32 vcc, s22, v31
	s_nop 1
	v_cndmask_b32_e32 v31, v31, v33, vcc
	v_cndmask_b32_e32 v5, v5, v32, vcc
	v_add_u32_e32 v32, 1, v5
	v_cmp_le_u32_e32 vcc, s22, v31
	v_mov_b32_e32 v33, v4
	s_nop 0
	v_cndmask_b32_e32 v32, v5, v32, vcc
.LBB105_14:                             ;   in Loop: Header=BB105_10 Depth=2
	s_or_b64 exec, exec, s[18:19]
	v_cmp_eq_u64_e32 vcc, s[46:47], v[32:33]
	v_cmp_ne_u64_e64 s[18:19], s[46:47], v[32:33]
	s_and_saveexec_b64 s[52:53], s[18:19]
	s_xor_b64 s[52:53], exec, s[52:53]
; %bb.15:                               ;   in Loop: Header=BB105_10 Depth=2
	v_cmp_lt_i64_e64 s[18:19], v[32:33], v[22:23]
                                        ; implicit-def: $vgpr30_vgpr31
                                        ; implicit-def: $vgpr28_vgpr29
	s_nop 1
	v_cndmask_b32_e64 v23, v23, v33, s[18:19]
	v_cndmask_b32_e64 v22, v22, v32, s[18:19]
; %bb.16:                               ;   in Loop: Header=BB105_10 Depth=2
	s_or_saveexec_b64 s[18:19], s[52:53]
	v_mov_b64_e32 v[32:33], v[20:21]
	s_xor_b64 exec, exec, s[18:19]
	s_cbranch_execz .LBB105_9
; %bb.17:                               ;   in Loop: Header=BB105_10 Depth=2
	global_load_dwordx2 v[32:33], v[24:25], off
	v_subrev_u32_e32 v5, s62, v30
	v_add_lshl_u32 v5, v34, v5, 3
	ds_write_b8 v4, v38 offset:8192
	s_waitcnt vmcnt(0)
	ds_write_b64 v5, v[32:33]
	v_mov_b64_e32 v[32:33], v[28:29]
	s_branch .LBB105_9
.LBB105_18:                             ;   in Loop: Header=BB105_7 Depth=1
	s_or_b64 exec, exec, s[50:51]
.LBB105_19:                             ;   in Loop: Header=BB105_7 Depth=1
	s_or_b64 exec, exec, s[48:49]
	v_mov_b32_dpp v20, v32 row_shr:1 row_mask:0xf bank_mask:0xf
	v_mov_b32_dpp v21, v33 row_shr:1 row_mask:0xf bank_mask:0xf
	v_cmp_lt_i64_e32 vcc, v[20:21], v[32:33]
	s_waitcnt lgkmcnt(0)
	s_barrier
	v_cndmask_b32_e32 v21, v33, v21, vcc
	v_cndmask_b32_e32 v20, v32, v20, vcc
	s_nop 0
	v_mov_b32_dpp v25, v21 row_shr:2 row_mask:0xf bank_mask:0xf
	v_mov_b32_dpp v24, v20 row_shr:2 row_mask:0xf bank_mask:0xf
	v_cmp_lt_i64_e32 vcc, v[24:25], v[20:21]
	s_mov_b64 s[18:19], 0
	s_nop 0
	v_cndmask_b32_e32 v21, v21, v25, vcc
	v_cndmask_b32_e32 v20, v20, v24, vcc
	s_nop 0
	v_mov_b32_dpp v25, v21 row_shr:4 row_mask:0xf bank_mask:0xe
	v_mov_b32_dpp v24, v20 row_shr:4 row_mask:0xf bank_mask:0xe
	v_cmp_lt_i64_e32 vcc, v[24:25], v[20:21]
	s_nop 1
	v_cndmask_b32_e32 v5, v21, v25, vcc
	ds_read_u8 v25, v4 offset:8192
	v_cndmask_b32_e32 v20, v20, v24, vcc
	ds_bpermute_b32 v20, v35, v20
	ds_bpermute_b32 v21, v35, v5
	s_waitcnt lgkmcnt(2)
	v_cmp_eq_u32_e32 vcc, 0, v25
	s_cbranch_vccnz .LBB105_26
; %bb.20:                               ;   in Loop: Header=BB105_7 Depth=1
	s_add_u32 s18, s46, s58
	s_addc_u32 s19, s47, 0
	s_lshl_b64 s[46:47], s[30:31], 3
	s_add_u32 s46, s24, s46
	v_mov_b64_e32 v[24:25], s[18:19]
	s_mul_i32 s18, s61, s31
	s_mul_hi_u32 s19, s61, s30
	s_addc_u32 s47, s25, s47
	s_add_i32 s18, s19, s18
	s_mul_i32 s19, s60, s30
	s_add_i32 s19, s18, s19
	s_mul_i32 s18, s61, s30
	s_lshl_b64 s[18:19], s[18:19], 3
	global_store_dwordx2 v4, v[24:25], s[46:47]
	v_lshl_add_u64 v[24:25], v[6:7], 0, s[18:19]
	v_lshl_add_u64 v[26:27], v[10:11], 0, s[18:19]
	s_and_saveexec_b64 s[18:19], s[34:35]
	s_cbranch_execnz .LBB105_42
; %bb.21:                               ;   in Loop: Header=BB105_7 Depth=1
	s_or_b64 exec, exec, s[18:19]
	s_and_saveexec_b64 s[18:19], s[36:37]
	s_cbranch_execnz .LBB105_43
.LBB105_22:                             ;   in Loop: Header=BB105_7 Depth=1
	s_or_b64 exec, exec, s[18:19]
	s_and_saveexec_b64 s[18:19], s[38:39]
	s_cbranch_execnz .LBB105_44
.LBB105_23:                             ;   in Loop: Header=BB105_7 Depth=1
	s_or_b64 exec, exec, s[18:19]
	s_and_saveexec_b64 s[18:19], s[40:41]
	s_cbranch_execz .LBB105_25
.LBB105_24:                             ;   in Loop: Header=BB105_7 Depth=1
	ds_read_b64 v[28:29], v37 offset:192
	v_lshl_add_u64 v[26:27], v[26:27], 0, s[44:45]
	v_lshl_add_u64 v[24:25], v[16:17], 3, v[24:25]
	v_cndmask_b32_e64 v25, v25, v27, s[0:1]
	v_cndmask_b32_e64 v24, v24, v26, s[0:1]
	s_waitcnt lgkmcnt(0)
	global_store_dwordx2 v[24:25], v[28:29], off
.LBB105_25:                             ;   in Loop: Header=BB105_7 Depth=1
	s_or_b64 exec, exec, s[18:19]
	s_mov_b64 s[18:19], 1
.LBB105_26:                             ;   in Loop: Header=BB105_7 Depth=1
	s_waitcnt lgkmcnt(0)
	s_barrier
	ds_write_b64 v36, v[22:23]
	s_waitcnt lgkmcnt(0)
	s_barrier
	s_and_saveexec_b64 s[46:47], s[2:3]
	s_cbranch_execz .LBB105_28
; %bb.27:                               ;   in Loop: Header=BB105_7 Depth=1
	ds_read2st64_b64 v[22:25], v36 offset1:2
	s_waitcnt lgkmcnt(0)
	v_cmp_lt_i64_e32 vcc, v[24:25], v[22:23]
	s_nop 1
	v_cndmask_b32_e32 v23, v23, v25, vcc
	v_cndmask_b32_e32 v22, v22, v24, vcc
	ds_write_b64 v36, v[22:23]
.LBB105_28:                             ;   in Loop: Header=BB105_7 Depth=1
	s_or_b64 exec, exec, s[46:47]
	s_waitcnt lgkmcnt(0)
	s_barrier
	s_and_saveexec_b64 s[46:47], s[4:5]
	s_cbranch_execz .LBB105_30
; %bb.29:                               ;   in Loop: Header=BB105_7 Depth=1
	ds_read2st64_b64 v[22:25], v36 offset1:1
	s_waitcnt lgkmcnt(0)
	v_cmp_lt_i64_e32 vcc, v[24:25], v[22:23]
	s_nop 1
	v_cndmask_b32_e32 v23, v23, v25, vcc
	v_cndmask_b32_e32 v22, v22, v24, vcc
	ds_write_b64 v36, v[22:23]
.LBB105_30:                             ;   in Loop: Header=BB105_7 Depth=1
	s_or_b64 exec, exec, s[46:47]
	s_waitcnt lgkmcnt(0)
	s_barrier
	s_and_saveexec_b64 s[46:47], s[6:7]
	s_cbranch_execz .LBB105_32
; %bb.31:                               ;   in Loop: Header=BB105_7 Depth=1
	ds_read2_b64 v[22:25], v36 offset1:32
	s_waitcnt lgkmcnt(0)
	v_cmp_lt_i64_e32 vcc, v[24:25], v[22:23]
	s_nop 1
	v_cndmask_b32_e32 v23, v23, v25, vcc
	v_cndmask_b32_e32 v22, v22, v24, vcc
	ds_write_b64 v36, v[22:23]
.LBB105_32:                             ;   in Loop: Header=BB105_7 Depth=1
	s_or_b64 exec, exec, s[46:47]
	s_waitcnt lgkmcnt(0)
	s_barrier
	s_and_saveexec_b64 s[46:47], s[8:9]
	s_cbranch_execz .LBB105_34
; %bb.33:                               ;   in Loop: Header=BB105_7 Depth=1
	ds_read2_b64 v[22:25], v36 offset1:16
	s_waitcnt lgkmcnt(0)
	v_cmp_lt_i64_e32 vcc, v[24:25], v[22:23]
	s_nop 1
	v_cndmask_b32_e32 v23, v23, v25, vcc
	v_cndmask_b32_e32 v22, v22, v24, vcc
	ds_write_b64 v36, v[22:23]
.LBB105_34:                             ;   in Loop: Header=BB105_7 Depth=1
	;; [unrolled: 14-line block ×5, first 2 shown]
	s_or_b64 exec, exec, s[46:47]
	s_waitcnt lgkmcnt(0)
	s_barrier
	s_and_saveexec_b64 s[46:47], s[16:17]
	s_cbranch_execz .LBB105_6
; %bb.41:                               ;   in Loop: Header=BB105_7 Depth=1
	ds_read_b128 v[22:25], v4
	s_waitcnt lgkmcnt(0)
	v_cmp_lt_i64_e32 vcc, v[24:25], v[22:23]
	s_nop 1
	v_cndmask_b32_e32 v23, v23, v25, vcc
	v_cndmask_b32_e32 v22, v22, v24, vcc
	ds_write_b64 v4, v[22:23]
	s_branch .LBB105_6
.LBB105_42:                             ;   in Loop: Header=BB105_7 Depth=1
	ds_read_b64 v[28:29], v37
	v_lshl_add_u64 v[30:31], v[0:1], 3, v[24:25]
	v_cndmask_b32_e64 v31, v31, v27, s[0:1]
	v_cndmask_b32_e64 v30, v30, v26, s[0:1]
	s_waitcnt lgkmcnt(0)
	global_store_dwordx2 v[30:31], v[28:29], off
	s_or_b64 exec, exec, s[18:19]
	s_and_saveexec_b64 s[18:19], s[36:37]
	s_cbranch_execz .LBB105_22
.LBB105_43:                             ;   in Loop: Header=BB105_7 Depth=1
	ds_read_b64 v[28:29], v37 offset:64
	v_lshl_add_u64 v[30:31], v[26:27], 0, 64
	v_lshl_add_u64 v[32:33], v[12:13], 3, v[24:25]
	v_cndmask_b32_e64 v31, v33, v31, s[0:1]
	v_cndmask_b32_e64 v30, v32, v30, s[0:1]
	s_waitcnt lgkmcnt(0)
	global_store_dwordx2 v[30:31], v[28:29], off
	s_or_b64 exec, exec, s[18:19]
	s_and_saveexec_b64 s[18:19], s[38:39]
	s_cbranch_execz .LBB105_23
.LBB105_44:                             ;   in Loop: Header=BB105_7 Depth=1
	ds_read_b64 v[28:29], v37 offset:128
	v_lshl_add_u64 v[30:31], v[26:27], 0, s[42:43]
	v_lshl_add_u64 v[32:33], v[14:15], 3, v[24:25]
	v_cndmask_b32_e64 v31, v33, v31, s[0:1]
	v_cndmask_b32_e64 v30, v32, v30, s[0:1]
	s_waitcnt lgkmcnt(0)
	global_store_dwordx2 v[30:31], v[28:29], off
	s_or_b64 exec, exec, s[18:19]
	s_and_saveexec_b64 s[18:19], s[40:41]
	s_cbranch_execnz .LBB105_24
	s_branch .LBB105_25
.LBB105_45:
	s_endpgm
	.section	.rodata,"a",@progbits
	.p2align	6, 0x0
	.amdhsa_kernel _ZN9rocsparseL38csr2bsr_block_per_row_multipass_kernelILj256ELj32E21rocsparse_complex_numIfEllEEv20rocsparse_direction_T3_S4_S4_S4_S4_21rocsparse_index_base_PKT1_PKT2_PKS4_S5_PS6_PS9_PS4_
		.amdhsa_group_segment_fixed_size 8196
		.amdhsa_private_segment_fixed_size 0
		.amdhsa_kernarg_size 112
		.amdhsa_user_sgpr_count 2
		.amdhsa_user_sgpr_dispatch_ptr 0
		.amdhsa_user_sgpr_queue_ptr 0
		.amdhsa_user_sgpr_kernarg_segment_ptr 1
		.amdhsa_user_sgpr_dispatch_id 0
		.amdhsa_user_sgpr_kernarg_preload_length 0
		.amdhsa_user_sgpr_kernarg_preload_offset 0
		.amdhsa_user_sgpr_private_segment_size 0
		.amdhsa_uses_dynamic_stack 0
		.amdhsa_enable_private_segment 0
		.amdhsa_system_sgpr_workgroup_id_x 1
		.amdhsa_system_sgpr_workgroup_id_y 0
		.amdhsa_system_sgpr_workgroup_id_z 0
		.amdhsa_system_sgpr_workgroup_info 0
		.amdhsa_system_vgpr_workitem_id 0
		.amdhsa_next_free_vgpr 46
		.amdhsa_next_free_sgpr 63
		.amdhsa_accum_offset 48
		.amdhsa_reserve_vcc 1
		.amdhsa_float_round_mode_32 0
		.amdhsa_float_round_mode_16_64 0
		.amdhsa_float_denorm_mode_32 3
		.amdhsa_float_denorm_mode_16_64 3
		.amdhsa_dx10_clamp 1
		.amdhsa_ieee_mode 1
		.amdhsa_fp16_overflow 0
		.amdhsa_tg_split 0
		.amdhsa_exception_fp_ieee_invalid_op 0
		.amdhsa_exception_fp_denorm_src 0
		.amdhsa_exception_fp_ieee_div_zero 0
		.amdhsa_exception_fp_ieee_overflow 0
		.amdhsa_exception_fp_ieee_underflow 0
		.amdhsa_exception_fp_ieee_inexact 0
		.amdhsa_exception_int_div_zero 0
	.end_amdhsa_kernel
	.section	.text._ZN9rocsparseL38csr2bsr_block_per_row_multipass_kernelILj256ELj32E21rocsparse_complex_numIfEllEEv20rocsparse_direction_T3_S4_S4_S4_S4_21rocsparse_index_base_PKT1_PKT2_PKS4_S5_PS6_PS9_PS4_,"axG",@progbits,_ZN9rocsparseL38csr2bsr_block_per_row_multipass_kernelILj256ELj32E21rocsparse_complex_numIfEllEEv20rocsparse_direction_T3_S4_S4_S4_S4_21rocsparse_index_base_PKT1_PKT2_PKS4_S5_PS6_PS9_PS4_,comdat
.Lfunc_end105:
	.size	_ZN9rocsparseL38csr2bsr_block_per_row_multipass_kernelILj256ELj32E21rocsparse_complex_numIfEllEEv20rocsparse_direction_T3_S4_S4_S4_S4_21rocsparse_index_base_PKT1_PKT2_PKS4_S5_PS6_PS9_PS4_, .Lfunc_end105-_ZN9rocsparseL38csr2bsr_block_per_row_multipass_kernelILj256ELj32E21rocsparse_complex_numIfEllEEv20rocsparse_direction_T3_S4_S4_S4_S4_21rocsparse_index_base_PKT1_PKT2_PKS4_S5_PS6_PS9_PS4_
                                        ; -- End function
	.section	.AMDGPU.csdata,"",@progbits
; Kernel info:
; codeLenInByte = 2960
; NumSgprs: 69
; NumVgprs: 46
; NumAgprs: 0
; TotalNumVgprs: 46
; ScratchSize: 0
; MemoryBound: 0
; FloatMode: 240
; IeeeMode: 1
; LDSByteSize: 8196 bytes/workgroup (compile time only)
; SGPRBlocks: 8
; VGPRBlocks: 5
; NumSGPRsForWavesPerEU: 69
; NumVGPRsForWavesPerEU: 46
; AccumOffset: 48
; Occupancy: 7
; WaveLimiterHint : 1
; COMPUTE_PGM_RSRC2:SCRATCH_EN: 0
; COMPUTE_PGM_RSRC2:USER_SGPR: 2
; COMPUTE_PGM_RSRC2:TRAP_HANDLER: 0
; COMPUTE_PGM_RSRC2:TGID_X_EN: 1
; COMPUTE_PGM_RSRC2:TGID_Y_EN: 0
; COMPUTE_PGM_RSRC2:TGID_Z_EN: 0
; COMPUTE_PGM_RSRC2:TIDIG_COMP_CNT: 0
; COMPUTE_PGM_RSRC3_GFX90A:ACCUM_OFFSET: 11
; COMPUTE_PGM_RSRC3_GFX90A:TG_SPLIT: 0
	.section	.text._ZN9rocsparseL38csr2bsr_block_per_row_multipass_kernelILj256ELj64E21rocsparse_complex_numIfEllEEv20rocsparse_direction_T3_S4_S4_S4_S4_21rocsparse_index_base_PKT1_PKT2_PKS4_S5_PS6_PS9_PS4_,"axG",@progbits,_ZN9rocsparseL38csr2bsr_block_per_row_multipass_kernelILj256ELj64E21rocsparse_complex_numIfEllEEv20rocsparse_direction_T3_S4_S4_S4_S4_21rocsparse_index_base_PKT1_PKT2_PKS4_S5_PS6_PS9_PS4_,comdat
	.globl	_ZN9rocsparseL38csr2bsr_block_per_row_multipass_kernelILj256ELj64E21rocsparse_complex_numIfEllEEv20rocsparse_direction_T3_S4_S4_S4_S4_21rocsparse_index_base_PKT1_PKT2_PKS4_S5_PS6_PS9_PS4_ ; -- Begin function _ZN9rocsparseL38csr2bsr_block_per_row_multipass_kernelILj256ELj64E21rocsparse_complex_numIfEllEEv20rocsparse_direction_T3_S4_S4_S4_S4_21rocsparse_index_base_PKT1_PKT2_PKS4_S5_PS6_PS9_PS4_
	.p2align	8
	.type	_ZN9rocsparseL38csr2bsr_block_per_row_multipass_kernelILj256ELj64E21rocsparse_complex_numIfEllEEv20rocsparse_direction_T3_S4_S4_S4_S4_21rocsparse_index_base_PKT1_PKT2_PKS4_S5_PS6_PS9_PS4_,@function
_ZN9rocsparseL38csr2bsr_block_per_row_multipass_kernelILj256ELj64E21rocsparse_complex_numIfEllEEv20rocsparse_direction_T3_S4_S4_S4_S4_21rocsparse_index_base_PKT1_PKT2_PKS4_S5_PS6_PS9_PS4_: ; @_ZN9rocsparseL38csr2bsr_block_per_row_multipass_kernelILj256ELj64E21rocsparse_complex_numIfEllEEv20rocsparse_direction_T3_S4_S4_S4_S4_21rocsparse_index_base_PKT1_PKT2_PKS4_S5_PS6_PS9_PS4_
; %bb.0:
	s_load_dwordx2 s[6:7], s[0:1], 0x8
	s_load_dwordx4 s[20:23], s[0:1], 0x20
	s_load_dword s33, s[0:1], 0x30
	s_load_dwordx2 s[4:5], s[0:1], 0x40
	s_ashr_i32 s3, s2, 31
	v_lshrrev_b32_e32 v10, 2, v0
	v_mov_b32_e32 v11, 0
	s_waitcnt lgkmcnt(0)
	s_mul_i32 s8, s2, s23
	s_mul_i32 s9, s3, s22
	v_mov_b32_e32 v1, s22
	s_add_i32 s10, s8, s9
	v_mad_u64_u32 v[4:5], s[8:9], s2, v1, v[10:11]
	v_add_u32_e32 v5, s10, v5
	v_cmp_gt_i64_e32 vcc, s[6:7], v[4:5]
	v_cmp_gt_i64_e64 s[18:19], s[22:23], v[10:11]
	v_mov_b64_e32 v[2:3], 0
	s_and_b64 s[6:7], s[18:19], vcc
	v_mov_b64_e32 v[44:45], v[2:3]
	s_and_saveexec_b64 s[8:9], s[6:7]
	s_cbranch_execnz .LBB106_3
; %bb.1:
	s_or_b64 exec, exec, s[8:9]
	s_and_saveexec_b64 s[8:9], s[6:7]
	s_cbranch_execnz .LBB106_4
.LBB106_2:
	s_or_b64 exec, exec, s[8:9]
	v_cmp_lt_i64_e64 s[4:5], s[20:21], 1
	s_and_b64 vcc, exec, s[4:5]
	s_cbranch_vccz .LBB106_5
	s_branch .LBB106_69
.LBB106_3:
	v_lshl_add_u64 v[6:7], v[4:5], 3, s[4:5]
	global_load_dwordx2 v[6:7], v[6:7], off
	s_waitcnt vmcnt(0)
	v_subrev_co_u32_e32 v44, vcc, s33, v6
	s_nop 1
	v_subbrev_co_u32_e32 v45, vcc, 0, v7, vcc
	s_or_b64 exec, exec, s[8:9]
	s_and_saveexec_b64 s[8:9], s[6:7]
	s_cbranch_execz .LBB106_2
.LBB106_4:
	v_lshl_add_u64 v[2:3], v[4:5], 3, s[4:5]
	global_load_dwordx2 v[2:3], v[2:3], off offset:8
	s_waitcnt vmcnt(0)
	v_subrev_co_u32_e32 v2, vcc, s33, v2
	s_nop 1
	v_subbrev_co_u32_e32 v3, vcc, 0, v3, vcc
	s_or_b64 exec, exec, s[8:9]
	v_cmp_lt_i64_e64 s[4:5], s[20:21], 1
	s_and_b64 vcc, exec, s[4:5]
	s_cbranch_vccnz .LBB106_69
.LBB106_5:
	s_load_dwordx2 s[24:25], s[0:1], 0x68
	s_load_dwordx4 s[4:7], s[0:1], 0x58
	s_load_dword s70, s[0:1], 0x50
	s_mul_i32 s8, s22, s23
	s_mul_hi_u32 s9, s22, s22
	s_add_i32 s9, s9, s8
	s_add_i32 s72, s9, s8
	s_lshl_b64 s[2:3], s[2:3], 3
	s_waitcnt lgkmcnt(0)
	s_add_u32 s2, s6, s2
	s_addc_u32 s3, s7, s3
	s_load_dwordx2 s[6:7], s[2:3], 0x0
	s_load_dwordx2 s[26:27], s[0:1], 0x48
	;; [unrolled: 1-line block ×3, first 2 shown]
	s_load_dword s8, s[0:1], 0x0
	v_mad_u64_u32 v[12:13], s[2:3], v10, s22, 0
	v_mov_b32_e32 v14, v13
	v_lshlrev_b32_e32 v6, 3, v10
	v_mov_b32_e32 v4, 0
	s_waitcnt lgkmcnt(0)
	s_sub_u32 s30, s6, s70
	v_lshlrev_b32_e32 v58, 6, v10
	v_mad_u64_u32 v[10:11], s[2:3], v10, s23, v[14:15]
	v_mov_b32_e32 v7, v4
	v_and_b32_e32 v8, 3, v0
	s_subb_u32 s31, s7, 0
	v_mbcnt_lo_u32_b32 v1, -1, 0
	v_mov_b32_e32 v13, v10
	s_movk_i32 s2, 0x80
	v_lshl_add_u64 v[6:7], s[4:5], 0, v[6:7]
	v_mbcnt_hi_u32_b32 v1, -1, v1
	s_cmp_eq_u32 s8, 0
	v_lshl_add_u64 v[10:11], v[12:13], 3, s[4:5]
	v_lshlrev_b32_e32 v60, 3, v0
	v_cmp_gt_u32_e64 s[2:3], s2, v0
	v_cmp_gt_u32_e64 s[4:5], 64, v0
	;; [unrolled: 1-line block ×7, first 2 shown]
	v_cmp_eq_u32_e64 s[16:17], 0, v0
	v_or_b32_e32 v0, v58, v8
	v_lshl_or_b32 v59, v1, 2, 12
	v_lshlrev_b32_e32 v12, 3, v8
	v_mov_b32_e32 v13, v4
	v_lshlrev_b32_e32 v61, 3, v0
	v_mad_u64_u32 v[0:1], s[36:37], v8, s22, 0
	v_lshl_add_u64 v[10:11], v[10:11], 0, v[12:13]
	v_mov_b32_e32 v12, v1
	v_mad_u64_u32 v[12:13], s[36:37], v8, s23, v[12:13]
	v_or_b32_e32 v14, 4, v8
	v_mov_b32_e32 v9, v4
	v_mov_b32_e32 v1, v12
	v_mad_u64_u32 v[12:13], s[38:39], v14, s22, 0
	v_cmp_gt_i64_e32 vcc, s[22:23], v[8:9]
	v_mov_b32_e32 v15, v4
	v_mov_b32_e32 v16, v13
	s_cselect_b64 s[0:1], -1, 0
	s_and_b64 s[34:35], s[18:19], vcc
	v_cmp_gt_i64_e32 vcc, s[22:23], v[14:15]
	v_mad_u64_u32 v[14:15], s[38:39], v14, s23, v[16:17]
	v_or_b32_e32 v16, 8, v8
	v_mov_b32_e32 v13, v14
	v_mad_u64_u32 v[14:15], s[40:41], v16, s22, 0
	v_mov_b32_e32 v17, v4
	v_mov_b32_e32 v18, v15
	s_and_b64 s[36:37], s[18:19], vcc
	v_cmp_gt_i64_e32 vcc, s[22:23], v[16:17]
	v_mad_u64_u32 v[16:17], s[40:41], v16, s23, v[18:19]
	v_or_b32_e32 v18, 12, v8
	v_mov_b32_e32 v15, v16
	v_mad_u64_u32 v[16:17], s[42:43], v18, s22, 0
	v_mov_b32_e32 v19, v4
	v_mov_b32_e32 v20, v17
	s_and_b64 s[38:39], s[18:19], vcc
	v_cmp_gt_i64_e32 vcc, s[22:23], v[18:19]
	v_mad_u64_u32 v[18:19], s[42:43], v18, s23, v[20:21]
	v_or_b32_e32 v20, 16, v8
	v_mov_b32_e32 v17, v18
	v_mad_u64_u32 v[18:19], s[44:45], v20, s22, 0
	v_mov_b32_e32 v21, v4
	v_mov_b32_e32 v22, v19
	s_and_b64 s[40:41], s[18:19], vcc
	v_cmp_gt_i64_e32 vcc, s[22:23], v[20:21]
	v_mad_u64_u32 v[20:21], s[44:45], v20, s23, v[22:23]
	v_or_b32_e32 v22, 20, v8
	v_mov_b32_e32 v19, v20
	v_mad_u64_u32 v[20:21], s[46:47], v22, s22, 0
	v_mov_b32_e32 v23, v4
	v_mov_b32_e32 v24, v21
	s_and_b64 s[42:43], s[18:19], vcc
	v_cmp_gt_i64_e32 vcc, s[22:23], v[22:23]
	v_mad_u64_u32 v[22:23], s[46:47], v22, s23, v[24:25]
	v_or_b32_e32 v24, 24, v8
	v_mov_b32_e32 v21, v22
	v_mad_u64_u32 v[22:23], s[48:49], v24, s22, 0
	v_mov_b32_e32 v25, v4
	v_mov_b32_e32 v26, v23
	s_and_b64 s[44:45], s[18:19], vcc
	v_cmp_gt_i64_e32 vcc, s[22:23], v[24:25]
	v_mad_u64_u32 v[24:25], s[48:49], v24, s23, v[26:27]
	v_or_b32_e32 v26, 28, v8
	v_mov_b32_e32 v23, v24
	v_mad_u64_u32 v[24:25], s[50:51], v26, s22, 0
	v_mov_b32_e32 v27, v4
	v_mov_b32_e32 v28, v25
	s_and_b64 s[46:47], s[18:19], vcc
	v_cmp_gt_i64_e32 vcc, s[22:23], v[26:27]
	v_mad_u64_u32 v[26:27], s[50:51], v26, s23, v[28:29]
	v_or_b32_e32 v28, 32, v8
	v_mov_b32_e32 v25, v26
	v_mad_u64_u32 v[26:27], s[52:53], v28, s22, 0
	v_mov_b32_e32 v29, v4
	v_mov_b32_e32 v30, v27
	s_and_b64 s[48:49], s[18:19], vcc
	v_cmp_gt_i64_e32 vcc, s[22:23], v[28:29]
	v_mad_u64_u32 v[28:29], s[52:53], v28, s23, v[30:31]
	v_or_b32_e32 v30, 36, v8
	v_mov_b32_e32 v27, v28
	v_mad_u64_u32 v[28:29], s[54:55], v30, s22, 0
	v_mov_b32_e32 v31, v4
	v_mov_b32_e32 v32, v29
	s_and_b64 s[50:51], s[18:19], vcc
	v_cmp_gt_i64_e32 vcc, s[22:23], v[30:31]
	v_mad_u64_u32 v[30:31], s[54:55], v30, s23, v[32:33]
	v_or_b32_e32 v32, 40, v8
	v_mov_b32_e32 v29, v30
	v_mad_u64_u32 v[30:31], s[56:57], v32, s22, 0
	v_mov_b32_e32 v33, v4
	v_mov_b32_e32 v34, v31
	s_and_b64 s[52:53], s[18:19], vcc
	v_cmp_gt_i64_e32 vcc, s[22:23], v[32:33]
	v_mad_u64_u32 v[32:33], s[56:57], v32, s23, v[34:35]
	v_or_b32_e32 v34, 44, v8
	v_mov_b32_e32 v31, v32
	v_mad_u64_u32 v[32:33], s[58:59], v34, s22, 0
	v_mov_b32_e32 v35, v4
	v_mov_b32_e32 v36, v33
	s_and_b64 s[54:55], s[18:19], vcc
	v_cmp_gt_i64_e32 vcc, s[22:23], v[34:35]
	v_mad_u64_u32 v[34:35], s[58:59], v34, s23, v[36:37]
	v_or_b32_e32 v36, 48, v8
	v_mov_b32_e32 v33, v34
	v_mad_u64_u32 v[34:35], s[60:61], v36, s22, 0
	v_mov_b32_e32 v37, v4
	v_mov_b32_e32 v38, v35
	s_and_b64 s[56:57], s[18:19], vcc
	v_cmp_gt_i64_e32 vcc, s[22:23], v[36:37]
	v_mad_u64_u32 v[36:37], s[60:61], v36, s23, v[38:39]
	v_or_b32_e32 v38, 52, v8
	v_cvt_f32_u32_e32 v5, s22
	v_mov_b32_e32 v35, v36
	v_mad_u64_u32 v[36:37], s[62:63], v38, s22, 0
	v_mov_b32_e32 v39, v4
	v_mov_b32_e32 v40, v37
	s_and_b64 s[58:59], s[18:19], vcc
	v_cmp_gt_i64_e32 vcc, s[22:23], v[38:39]
	v_mad_u64_u32 v[38:39], s[62:63], v38, s23, v[40:41]
	v_or_b32_e32 v40, 56, v8
	v_mov_b32_e32 v37, v38
	v_mad_u64_u32 v[38:39], s[64:65], v40, s22, 0
	v_rcp_iflag_f32_e32 v5, v5
	v_mov_b32_e32 v41, v4
	v_mov_b32_e32 v42, v39
	s_and_b64 s[60:61], s[18:19], vcc
	v_cmp_gt_i64_e32 vcc, s[22:23], v[40:41]
	v_mad_u64_u32 v[40:41], s[64:65], v40, s23, v[42:43]
	v_or_b32_e32 v42, 60, v8
	v_mov_b32_e32 v43, v4
	s_and_b64 s[62:63], s[18:19], vcc
	v_cmp_gt_i64_e32 vcc, s[22:23], v[42:43]
	v_mov_b32_e32 v39, v40
	s_and_b64 s[64:65], s[18:19], vcc
	v_mad_u64_u32 v[40:41], s[18:19], v42, s22, 0
	v_mul_f32_e32 v5, 0x4f7ffffe, v5
	v_mov_b32_e32 v46, v41
	v_cvt_u32_f32_e32 v62, v5
	s_mov_b32 s71, 0
	v_mad_u64_u32 v[42:43], s[18:19], v42, s23, v[46:47]
	s_mov_b32 s18, s71
	s_mov_b32 s19, s71
	s_mul_i32 s73, s22, s22
	v_mov_b32_e32 v41, v42
	s_mov_b64 s[92:93], 0
	v_mov_b64_e32 v[42:43], s[18:19]
	s_mov_b64 s[76:77], 0x100
	s_mov_b64 s[78:79], 0x120
	s_mov_b64 s[80:81], 0x140
	s_mov_b64 s[82:83], 0x160
	s_mov_b64 s[84:85], 0x180
	s_mov_b64 s[86:87], 0x1a0
	s_mov_b64 s[88:89], 0x1c0
	s_mov_b64 s[90:91], 0x1e0
	v_mov_b32_e32 v63, 1
	s_branch .LBB106_7
.LBB106_6:                              ;   in Loop: Header=BB106_7 Depth=1
	s_or_b64 exec, exec, s[66:67]
	s_waitcnt lgkmcnt(0)
	s_barrier
	ds_read_b64 v[46:47], v4
	s_add_u32 s30, s18, s30
	s_addc_u32 s31, s19, s31
	s_waitcnt lgkmcnt(0)
	s_barrier
	v_cmp_gt_i64_e32 vcc, s[20:21], v[46:47]
	v_readfirstlane_b32 s92, v46
	v_readfirstlane_b32 s93, v47
	s_cbranch_vccz .LBB106_69
.LBB106_7:                              ; =>This Loop Header: Depth=1
                                        ;     Child Loop BB106_10 Depth 2
	v_lshl_add_u64 v[44:45], v[44:45], 0, v[8:9]
	v_cmp_lt_i64_e32 vcc, v[44:45], v[2:3]
	v_mov_b64_e32 v[46:47], s[20:21]
	v_mov_b64_e32 v[56:57], v[2:3]
	ds_write_b8 v4, v4 offset:32768
	ds_write2_b64 v61, v[42:43], v[42:43] offset1:4
	ds_write2_b64 v61, v[42:43], v[42:43] offset0:8 offset1:12
	ds_write2_b64 v61, v[42:43], v[42:43] offset0:16 offset1:20
	ds_write2_b64 v61, v[42:43], v[42:43] offset0:24 offset1:28
	ds_write2_b64 v61, v[42:43], v[42:43] offset0:32 offset1:36
	ds_write2_b64 v61, v[42:43], v[42:43] offset0:40 offset1:44
	ds_write2_b64 v61, v[42:43], v[42:43] offset0:48 offset1:52
	ds_write2_b64 v61, v[42:43], v[42:43] offset0:56 offset1:60
	s_waitcnt lgkmcnt(0)
	s_barrier
	s_and_saveexec_b64 s[94:95], vcc
	s_cbranch_execz .LBB106_19
; %bb.8:                                ;   in Loop: Header=BB106_7 Depth=1
	v_lshlrev_b64 v[46:47], 3, v[44:45]
	s_mul_i32 s74, s92, s22
	v_lshl_add_u64 v[48:49], s[28:29], 0, v[46:47]
	v_lshl_add_u64 v[50:51], s[26:27], 0, v[46:47]
	s_mov_b64 s[96:97], 0
	v_mov_b64_e32 v[46:47], s[20:21]
	v_mov_b64_e32 v[52:53], v[2:3]
	s_branch .LBB106_10
.LBB106_9:                              ;   in Loop: Header=BB106_10 Depth=2
	s_or_b64 exec, exec, s[18:19]
	v_lshl_add_u64 v[44:45], v[44:45], 0, 4
	v_cmp_ge_i64_e64 s[18:19], v[44:45], v[2:3]
	s_xor_b64 s[66:67], vcc, -1
	s_or_b64 s[18:19], s[66:67], s[18:19]
	s_and_b64 s[18:19], exec, s[18:19]
	v_lshl_add_u64 v[48:49], v[48:49], 0, 32
	v_lshl_add_u64 v[50:51], v[50:51], 0, 32
	s_or_b64 s[96:97], s[18:19], s[96:97]
	v_mov_b64_e32 v[52:53], v[56:57]
	s_andn2_b64 exec, exec, s[96:97]
	s_cbranch_execz .LBB106_18
.LBB106_10:                             ;   Parent Loop BB106_7 Depth=1
                                        ; =>  This Inner Loop Header: Depth=2
	global_load_dwordx2 v[54:55], v[50:51], off
	v_mov_b32_e32 v5, s71
                                        ; implicit-def: $vgpr56_vgpr57
	s_waitcnt vmcnt(0)
	v_subrev_co_u32_e32 v54, vcc, s33, v54
	s_nop 1
	v_subb_co_u32_e32 v55, vcc, v55, v5, vcc
	v_or_b32_e32 v5, s23, v55
	v_cmp_ne_u64_e32 vcc, 0, v[4:5]
	s_and_saveexec_b64 s[18:19], vcc
	s_xor_b64 s[98:99], exec, s[18:19]
	s_cbranch_execz .LBB106_12
; %bb.11:                               ;   in Loop: Header=BB106_10 Depth=2
	s_ashr_i32 s66, s23, 31
	s_add_u32 s18, s22, s66
	s_mov_b32 s67, s66
	s_addc_u32 s19, s23, s66
	s_xor_b64 s[68:69], s[18:19], s[66:67]
	v_cvt_f32_u32_e32 v5, s68
	v_cvt_f32_u32_e32 v56, s69
	s_sub_u32 s18, 0, s68
	s_subb_u32 s19, 0, s69
	v_mov_b32_e32 v65, v4
	v_fmac_f32_e32 v5, 0x4f800000, v56
	v_rcp_f32_e32 v5, v5
	s_nop 0
	v_mul_f32_e32 v5, 0x5f7ffffc, v5
	v_mul_f32_e32 v56, 0x2f800000, v5
	v_trunc_f32_e32 v56, v56
	v_fmac_f32_e32 v5, 0xcf800000, v56
	v_cvt_u32_f32_e32 v66, v56
	v_cvt_u32_f32_e32 v5, v5
	v_mul_lo_u32 v56, s18, v66
	v_mul_hi_u32 v64, s18, v5
	v_mul_lo_u32 v57, s19, v5
	v_add_u32_e32 v56, v64, v56
	v_mul_lo_u32 v67, s18, v5
	v_add_u32_e32 v68, v56, v57
	v_mul_hi_u32 v57, v5, v68
	v_mul_lo_u32 v56, v5, v68
	v_mul_hi_u32 v64, v5, v67
	v_lshl_add_u64 v[56:57], v[64:65], 0, v[56:57]
	v_mul_hi_u32 v65, v66, v67
	v_mul_lo_u32 v67, v66, v67
	v_add_co_u32_e32 v56, vcc, v56, v67
	v_mul_hi_u32 v64, v66, v68
	s_nop 0
	v_addc_co_u32_e32 v56, vcc, v57, v65, vcc
	v_mov_b32_e32 v57, v4
	s_nop 0
	v_addc_co_u32_e32 v65, vcc, 0, v64, vcc
	v_mul_lo_u32 v64, v66, v68
	v_lshl_add_u64 v[56:57], v[56:57], 0, v[64:65]
	v_add_co_u32_e32 v5, vcc, v5, v56
	v_mul_lo_u32 v64, s18, v5
	s_nop 0
	v_addc_co_u32_e32 v66, vcc, v66, v57, vcc
	v_mul_lo_u32 v56, s18, v66
	v_mul_hi_u32 v57, s18, v5
	v_add_u32_e32 v56, v57, v56
	v_mul_lo_u32 v57, s19, v5
	v_add_u32_e32 v67, v56, v57
	v_mul_hi_u32 v69, v66, v64
	v_mul_lo_u32 v70, v66, v64
	v_mul_hi_u32 v57, v5, v67
	v_mul_lo_u32 v56, v5, v67
	v_mul_hi_u32 v64, v5, v64
	v_mov_b32_e32 v65, v4
	v_lshl_add_u64 v[56:57], v[64:65], 0, v[56:57]
	v_add_co_u32_e32 v56, vcc, v56, v70
	v_mul_hi_u32 v68, v66, v67
	s_nop 0
	v_addc_co_u32_e32 v56, vcc, v57, v69, vcc
	v_mul_lo_u32 v64, v66, v67
	s_nop 0
	v_addc_co_u32_e32 v65, vcc, 0, v68, vcc
	v_mov_b32_e32 v57, v4
	v_lshl_add_u64 v[56:57], v[56:57], 0, v[64:65]
	v_add_co_u32_e32 v5, vcc, v5, v56
	v_ashrrev_i32_e32 v56, 31, v55
	s_nop 0
	v_addc_co_u32_e32 v68, vcc, v66, v57, vcc
	v_mov_b32_e32 v57, v56
	v_lshl_add_u64 v[64:65], v[54:55], 0, v[56:57]
	v_xor_b32_e32 v57, v64, v56
	v_xor_b32_e32 v55, v65, v56
	v_mad_u64_u32 v[64:65], s[18:19], v57, v68, 0
	v_mul_hi_u32 v66, v57, v5
	v_mov_b32_e32 v67, v4
	v_lshl_add_u64 v[64:65], v[66:67], 0, v[64:65]
	v_mad_u64_u32 v[66:67], s[18:19], v55, v68, 0
	v_mad_u64_u32 v[68:69], s[18:19], v55, v5, 0
	v_add_co_u32_e32 v5, vcc, v64, v68
	s_nop 1
	v_addc_co_u32_e32 v64, vcc, v65, v69, vcc
	v_mov_b32_e32 v65, v4
	s_nop 0
	v_addc_co_u32_e32 v67, vcc, 0, v67, vcc
	v_lshl_add_u64 v[64:65], v[64:65], 0, v[66:67]
	v_mul_lo_u32 v5, s69, v64
	v_mul_lo_u32 v68, s68, v65
	v_mad_u64_u32 v[66:67], s[18:19], s68, v64, 0
	v_add3_u32 v5, v67, v68, v5
	v_sub_u32_e32 v67, v55, v5
	v_mov_b32_e32 v68, s69
	v_sub_co_u32_e32 v57, vcc, v57, v66
	s_nop 1
	v_subb_co_u32_e64 v66, s[18:19], v67, v68, vcc
	v_subrev_co_u32_e64 v67, s[18:19], s68, v57
	v_subb_co_u32_e32 v5, vcc, v55, v5, vcc
	s_nop 0
	v_subbrev_co_u32_e64 v66, s[18:19], 0, v66, s[18:19]
	v_cmp_le_u32_e64 s[18:19], s69, v66
	v_cmp_le_u32_e32 vcc, s69, v5
	s_nop 0
	v_cndmask_b32_e64 v68, 0, -1, s[18:19]
	v_cmp_le_u32_e64 s[18:19], s68, v67
	v_cndmask_b32_e64 v55, 0, -1, vcc
	v_cmp_le_u32_e32 vcc, s68, v57
	v_cndmask_b32_e64 v67, 0, -1, s[18:19]
	v_cmp_eq_u32_e64 s[18:19], s69, v66
	v_cndmask_b32_e64 v57, 0, -1, vcc
	v_cmp_eq_u32_e32 vcc, s69, v5
	v_cndmask_b32_e64 v70, v68, v67, s[18:19]
	v_lshl_add_u64 v[66:67], v[64:65], 0, 2
	v_lshl_add_u64 v[68:69], v[64:65], 0, 1
	v_cmp_ne_u32_e64 s[18:19], 0, v70
	v_cndmask_b32_e32 v5, v55, v57, vcc
	v_cmp_ne_u32_e32 vcc, 0, v5
	v_cndmask_b32_e64 v55, v68, v66, s[18:19]
	v_cndmask_b32_e64 v67, v69, v67, s[18:19]
	v_cndmask_b32_e32 v55, v64, v55, vcc
	v_xor_b32_e32 v57, s66, v56
	v_cndmask_b32_e32 v5, v65, v67, vcc
	v_xor_b32_e32 v55, v55, v57
	v_xor_b32_e32 v5, v5, v57
	v_sub_co_u32_e32 v56, vcc, v55, v57
	s_nop 1
	v_subb_co_u32_e32 v57, vcc, v5, v57, vcc
.LBB106_12:                             ;   in Loop: Header=BB106_10 Depth=2
	s_andn2_saveexec_b64 s[18:19], s[98:99]
	s_cbranch_execz .LBB106_14
; %bb.13:                               ;   in Loop: Header=BB106_10 Depth=2
	s_sub_i32 s66, 0, s22
	v_mul_lo_u32 v5, s66, v62
	v_mul_hi_u32 v5, v62, v5
	v_add_u32_e32 v5, v62, v5
	v_mul_hi_u32 v5, v54, v5
	v_mul_lo_u32 v55, v5, s22
	v_sub_u32_e32 v55, v54, v55
	v_subrev_u32_e32 v56, s22, v55
	v_cmp_le_u32_e32 vcc, s22, v55
	v_mov_b32_e32 v57, v4
	s_nop 0
	v_cndmask_b32_e32 v55, v55, v56, vcc
	v_add_u32_e32 v56, 1, v5
	v_cndmask_b32_e32 v5, v5, v56, vcc
	v_add_u32_e32 v56, 1, v5
	v_cmp_le_u32_e32 vcc, s22, v55
	s_nop 1
	v_cndmask_b32_e32 v56, v5, v56, vcc
.LBB106_14:                             ;   in Loop: Header=BB106_10 Depth=2
	s_or_b64 exec, exec, s[18:19]
	v_cmp_eq_u64_e32 vcc, s[92:93], v[56:57]
	v_cmp_ne_u64_e64 s[18:19], s[92:93], v[56:57]
	s_and_saveexec_b64 s[66:67], s[18:19]
	s_xor_b64 s[66:67], exec, s[66:67]
; %bb.15:                               ;   in Loop: Header=BB106_10 Depth=2
	v_cmp_lt_i64_e64 s[18:19], v[56:57], v[46:47]
                                        ; implicit-def: $vgpr54_vgpr55
                                        ; implicit-def: $vgpr52_vgpr53
	s_nop 1
	v_cndmask_b32_e64 v47, v47, v57, s[18:19]
	v_cndmask_b32_e64 v46, v46, v56, s[18:19]
; %bb.16:                               ;   in Loop: Header=BB106_10 Depth=2
	s_or_saveexec_b64 s[18:19], s[66:67]
	v_mov_b64_e32 v[56:57], v[44:45]
	s_xor_b64 exec, exec, s[18:19]
	s_cbranch_execz .LBB106_9
; %bb.17:                               ;   in Loop: Header=BB106_10 Depth=2
	v_subrev_u32_e32 v5, s74, v54
	global_load_dwordx2 v[54:55], v[48:49], off
	v_add_lshl_u32 v5, v58, v5, 3
	v_mov_b64_e32 v[56:57], v[52:53]
	ds_write_b8 v4, v63 offset:32768
	s_waitcnt vmcnt(0)
	ds_write_b64 v5, v[54:55]
	s_branch .LBB106_9
.LBB106_18:                             ;   in Loop: Header=BB106_7 Depth=1
	s_or_b64 exec, exec, s[96:97]
.LBB106_19:                             ;   in Loop: Header=BB106_7 Depth=1
	s_or_b64 exec, exec, s[94:95]
	v_mov_b32_dpp v44, v56 row_shr:1 row_mask:0xf bank_mask:0xf
	v_mov_b32_dpp v45, v57 row_shr:1 row_mask:0xf bank_mask:0xf
	v_cmp_lt_i64_e32 vcc, v[44:45], v[56:57]
	s_waitcnt lgkmcnt(0)
	s_barrier
	v_cndmask_b32_e32 v45, v57, v45, vcc
	v_cndmask_b32_e32 v44, v56, v44, vcc
	s_nop 0
	v_mov_b32_dpp v49, v45 row_shr:2 row_mask:0xf bank_mask:0xf
	v_mov_b32_dpp v48, v44 row_shr:2 row_mask:0xf bank_mask:0xf
	v_cmp_lt_i64_e32 vcc, v[48:49], v[44:45]
	s_mov_b64 s[18:19], 0
	s_nop 0
	v_cndmask_b32_e32 v5, v45, v49, vcc
	ds_read_u8 v49, v4 offset:32768
	v_cndmask_b32_e32 v44, v44, v48, vcc
	ds_bpermute_b32 v44, v59, v44
	ds_bpermute_b32 v45, v59, v5
	s_waitcnt lgkmcnt(2)
	v_cmp_eq_u32_e32 vcc, 0, v49
	s_cbranch_vccnz .LBB106_38
; %bb.20:                               ;   in Loop: Header=BB106_7 Depth=1
	s_add_u32 s18, s92, s70
	s_addc_u32 s19, s93, 0
	s_lshl_b64 s[66:67], s[30:31], 3
	s_add_u32 s66, s24, s66
	v_mov_b64_e32 v[48:49], s[18:19]
	s_mul_i32 s18, s73, s31
	s_mul_hi_u32 s19, s73, s30
	s_addc_u32 s67, s25, s67
	s_add_i32 s18, s19, s18
	s_mul_i32 s19, s72, s30
	s_add_i32 s19, s18, s19
	s_mul_i32 s18, s73, s30
	s_lshl_b64 s[18:19], s[18:19], 3
	global_store_dwordx2 v4, v[48:49], s[66:67]
	v_lshl_add_u64 v[48:49], v[6:7], 0, s[18:19]
	v_lshl_add_u64 v[50:51], v[10:11], 0, s[18:19]
	s_and_saveexec_b64 s[18:19], s[34:35]
	s_cbranch_execnz .LBB106_54
; %bb.21:                               ;   in Loop: Header=BB106_7 Depth=1
	s_or_b64 exec, exec, s[18:19]
	s_and_saveexec_b64 s[18:19], s[36:37]
	s_cbranch_execnz .LBB106_55
.LBB106_22:                             ;   in Loop: Header=BB106_7 Depth=1
	s_or_b64 exec, exec, s[18:19]
	s_and_saveexec_b64 s[18:19], s[38:39]
	s_cbranch_execnz .LBB106_56
.LBB106_23:                             ;   in Loop: Header=BB106_7 Depth=1
	s_or_b64 exec, exec, s[18:19]
	s_and_saveexec_b64 s[18:19], s[40:41]
	s_cbranch_execnz .LBB106_57
.LBB106_24:                             ;   in Loop: Header=BB106_7 Depth=1
	s_or_b64 exec, exec, s[18:19]
	s_and_saveexec_b64 s[18:19], s[42:43]
	s_cbranch_execnz .LBB106_58
.LBB106_25:                             ;   in Loop: Header=BB106_7 Depth=1
	s_or_b64 exec, exec, s[18:19]
	s_and_saveexec_b64 s[18:19], s[44:45]
	s_cbranch_execnz .LBB106_59
.LBB106_26:                             ;   in Loop: Header=BB106_7 Depth=1
	s_or_b64 exec, exec, s[18:19]
	s_and_saveexec_b64 s[18:19], s[46:47]
	s_cbranch_execnz .LBB106_60
.LBB106_27:                             ;   in Loop: Header=BB106_7 Depth=1
	s_or_b64 exec, exec, s[18:19]
	s_and_saveexec_b64 s[18:19], s[48:49]
	s_cbranch_execnz .LBB106_61
.LBB106_28:                             ;   in Loop: Header=BB106_7 Depth=1
	s_or_b64 exec, exec, s[18:19]
	s_and_saveexec_b64 s[18:19], s[50:51]
	s_cbranch_execnz .LBB106_62
.LBB106_29:                             ;   in Loop: Header=BB106_7 Depth=1
	s_or_b64 exec, exec, s[18:19]
	s_and_saveexec_b64 s[18:19], s[52:53]
	s_cbranch_execnz .LBB106_63
.LBB106_30:                             ;   in Loop: Header=BB106_7 Depth=1
	s_or_b64 exec, exec, s[18:19]
	s_and_saveexec_b64 s[18:19], s[54:55]
	s_cbranch_execnz .LBB106_64
.LBB106_31:                             ;   in Loop: Header=BB106_7 Depth=1
	s_or_b64 exec, exec, s[18:19]
	s_and_saveexec_b64 s[18:19], s[56:57]
	s_cbranch_execnz .LBB106_65
.LBB106_32:                             ;   in Loop: Header=BB106_7 Depth=1
	s_or_b64 exec, exec, s[18:19]
	s_and_saveexec_b64 s[18:19], s[58:59]
	s_cbranch_execnz .LBB106_66
.LBB106_33:                             ;   in Loop: Header=BB106_7 Depth=1
	s_or_b64 exec, exec, s[18:19]
	s_and_saveexec_b64 s[18:19], s[60:61]
	s_cbranch_execnz .LBB106_67
.LBB106_34:                             ;   in Loop: Header=BB106_7 Depth=1
	s_or_b64 exec, exec, s[18:19]
	s_and_saveexec_b64 s[18:19], s[62:63]
	s_cbranch_execnz .LBB106_68
.LBB106_35:                             ;   in Loop: Header=BB106_7 Depth=1
	s_or_b64 exec, exec, s[18:19]
	s_and_saveexec_b64 s[18:19], s[64:65]
	s_cbranch_execz .LBB106_37
.LBB106_36:                             ;   in Loop: Header=BB106_7 Depth=1
	ds_read_b64 v[52:53], v61 offset:480
	v_lshl_add_u64 v[50:51], v[50:51], 0, s[90:91]
	v_lshl_add_u64 v[48:49], v[40:41], 3, v[48:49]
	v_cndmask_b32_e64 v49, v49, v51, s[0:1]
	v_cndmask_b32_e64 v48, v48, v50, s[0:1]
	s_waitcnt lgkmcnt(0)
	global_store_dwordx2 v[48:49], v[52:53], off
.LBB106_37:                             ;   in Loop: Header=BB106_7 Depth=1
	s_or_b64 exec, exec, s[18:19]
	s_mov_b64 s[18:19], 1
.LBB106_38:                             ;   in Loop: Header=BB106_7 Depth=1
	s_waitcnt lgkmcnt(0)
	s_barrier
	ds_write_b64 v60, v[46:47]
	s_waitcnt lgkmcnt(0)
	s_barrier
	s_and_saveexec_b64 s[66:67], s[2:3]
	s_cbranch_execz .LBB106_40
; %bb.39:                               ;   in Loop: Header=BB106_7 Depth=1
	ds_read2st64_b64 v[46:49], v60 offset1:2
	s_waitcnt lgkmcnt(0)
	v_cmp_lt_i64_e32 vcc, v[48:49], v[46:47]
	s_nop 1
	v_cndmask_b32_e32 v47, v47, v49, vcc
	v_cndmask_b32_e32 v46, v46, v48, vcc
	ds_write_b64 v60, v[46:47]
.LBB106_40:                             ;   in Loop: Header=BB106_7 Depth=1
	s_or_b64 exec, exec, s[66:67]
	s_waitcnt lgkmcnt(0)
	s_barrier
	s_and_saveexec_b64 s[66:67], s[4:5]
	s_cbranch_execz .LBB106_42
; %bb.41:                               ;   in Loop: Header=BB106_7 Depth=1
	ds_read2st64_b64 v[46:49], v60 offset1:1
	s_waitcnt lgkmcnt(0)
	v_cmp_lt_i64_e32 vcc, v[48:49], v[46:47]
	s_nop 1
	v_cndmask_b32_e32 v47, v47, v49, vcc
	v_cndmask_b32_e32 v46, v46, v48, vcc
	ds_write_b64 v60, v[46:47]
.LBB106_42:                             ;   in Loop: Header=BB106_7 Depth=1
	s_or_b64 exec, exec, s[66:67]
	s_waitcnt lgkmcnt(0)
	s_barrier
	s_and_saveexec_b64 s[66:67], s[6:7]
	s_cbranch_execz .LBB106_44
; %bb.43:                               ;   in Loop: Header=BB106_7 Depth=1
	ds_read2_b64 v[46:49], v60 offset1:32
	s_waitcnt lgkmcnt(0)
	v_cmp_lt_i64_e32 vcc, v[48:49], v[46:47]
	s_nop 1
	v_cndmask_b32_e32 v47, v47, v49, vcc
	v_cndmask_b32_e32 v46, v46, v48, vcc
	ds_write_b64 v60, v[46:47]
.LBB106_44:                             ;   in Loop: Header=BB106_7 Depth=1
	s_or_b64 exec, exec, s[66:67]
	s_waitcnt lgkmcnt(0)
	s_barrier
	s_and_saveexec_b64 s[66:67], s[8:9]
	s_cbranch_execz .LBB106_46
; %bb.45:                               ;   in Loop: Header=BB106_7 Depth=1
	ds_read2_b64 v[46:49], v60 offset1:16
	s_waitcnt lgkmcnt(0)
	v_cmp_lt_i64_e32 vcc, v[48:49], v[46:47]
	s_nop 1
	v_cndmask_b32_e32 v47, v47, v49, vcc
	v_cndmask_b32_e32 v46, v46, v48, vcc
	ds_write_b64 v60, v[46:47]
.LBB106_46:                             ;   in Loop: Header=BB106_7 Depth=1
	;; [unrolled: 14-line block ×5, first 2 shown]
	s_or_b64 exec, exec, s[66:67]
	s_waitcnt lgkmcnt(0)
	s_barrier
	s_and_saveexec_b64 s[66:67], s[16:17]
	s_cbranch_execz .LBB106_6
; %bb.53:                               ;   in Loop: Header=BB106_7 Depth=1
	ds_read_b128 v[46:49], v4
	s_waitcnt lgkmcnt(0)
	v_cmp_lt_i64_e32 vcc, v[48:49], v[46:47]
	s_nop 1
	v_cndmask_b32_e32 v47, v47, v49, vcc
	v_cndmask_b32_e32 v46, v46, v48, vcc
	ds_write_b64 v4, v[46:47]
	s_branch .LBB106_6
.LBB106_54:                             ;   in Loop: Header=BB106_7 Depth=1
	ds_read_b64 v[52:53], v61
	v_lshl_add_u64 v[54:55], v[0:1], 3, v[48:49]
	v_cndmask_b32_e64 v55, v55, v51, s[0:1]
	v_cndmask_b32_e64 v54, v54, v50, s[0:1]
	s_waitcnt lgkmcnt(0)
	global_store_dwordx2 v[54:55], v[52:53], off
	s_or_b64 exec, exec, s[18:19]
	s_and_saveexec_b64 s[18:19], s[36:37]
	s_cbranch_execz .LBB106_22
.LBB106_55:                             ;   in Loop: Header=BB106_7 Depth=1
	ds_read_b64 v[52:53], v61 offset:32
	v_lshl_add_u64 v[54:55], v[50:51], 0, 32
	v_lshl_add_u64 v[56:57], v[12:13], 3, v[48:49]
	v_cndmask_b32_e64 v55, v57, v55, s[0:1]
	v_cndmask_b32_e64 v54, v56, v54, s[0:1]
	s_waitcnt lgkmcnt(0)
	global_store_dwordx2 v[54:55], v[52:53], off
	s_or_b64 exec, exec, s[18:19]
	s_and_saveexec_b64 s[18:19], s[38:39]
	s_cbranch_execz .LBB106_23
.LBB106_56:                             ;   in Loop: Header=BB106_7 Depth=1
	ds_read_b64 v[52:53], v61 offset:64
	v_lshl_add_u64 v[54:55], v[50:51], 0, 64
	v_lshl_add_u64 v[56:57], v[14:15], 3, v[48:49]
	v_cndmask_b32_e64 v55, v57, v55, s[0:1]
	v_cndmask_b32_e64 v54, v56, v54, s[0:1]
	s_waitcnt lgkmcnt(0)
	global_store_dwordx2 v[54:55], v[52:53], off
	s_or_b64 exec, exec, s[18:19]
	s_and_saveexec_b64 s[18:19], s[40:41]
	s_cbranch_execz .LBB106_24
.LBB106_57:                             ;   in Loop: Header=BB106_7 Depth=1
	ds_read_b64 v[52:53], v61 offset:96
	s_mov_b64 s[66:67], 0x60
	v_lshl_add_u64 v[54:55], v[50:51], 0, s[66:67]
	v_lshl_add_u64 v[56:57], v[16:17], 3, v[48:49]
	v_cndmask_b32_e64 v55, v57, v55, s[0:1]
	v_cndmask_b32_e64 v54, v56, v54, s[0:1]
	s_waitcnt lgkmcnt(0)
	global_store_dwordx2 v[54:55], v[52:53], off
	s_or_b64 exec, exec, s[18:19]
	s_and_saveexec_b64 s[18:19], s[42:43]
	s_cbranch_execz .LBB106_25
.LBB106_58:                             ;   in Loop: Header=BB106_7 Depth=1
	ds_read_b64 v[52:53], v61 offset:128
	s_mov_b64 s[66:67], 0x80
	v_lshl_add_u64 v[54:55], v[50:51], 0, s[66:67]
	v_lshl_add_u64 v[56:57], v[18:19], 3, v[48:49]
	v_cndmask_b32_e64 v55, v57, v55, s[0:1]
	v_cndmask_b32_e64 v54, v56, v54, s[0:1]
	s_waitcnt lgkmcnt(0)
	global_store_dwordx2 v[54:55], v[52:53], off
	s_or_b64 exec, exec, s[18:19]
	s_and_saveexec_b64 s[18:19], s[44:45]
	s_cbranch_execz .LBB106_26
.LBB106_59:                             ;   in Loop: Header=BB106_7 Depth=1
	ds_read_b64 v[52:53], v61 offset:160
	s_mov_b64 s[66:67], 0xa0
	v_lshl_add_u64 v[54:55], v[50:51], 0, s[66:67]
	v_lshl_add_u64 v[56:57], v[20:21], 3, v[48:49]
	v_cndmask_b32_e64 v55, v57, v55, s[0:1]
	v_cndmask_b32_e64 v54, v56, v54, s[0:1]
	s_waitcnt lgkmcnt(0)
	global_store_dwordx2 v[54:55], v[52:53], off
	s_or_b64 exec, exec, s[18:19]
	s_and_saveexec_b64 s[18:19], s[46:47]
	s_cbranch_execz .LBB106_27
.LBB106_60:                             ;   in Loop: Header=BB106_7 Depth=1
	ds_read_b64 v[52:53], v61 offset:192
	s_mov_b64 s[66:67], 0xc0
	v_lshl_add_u64 v[54:55], v[50:51], 0, s[66:67]
	v_lshl_add_u64 v[56:57], v[22:23], 3, v[48:49]
	v_cndmask_b32_e64 v55, v57, v55, s[0:1]
	v_cndmask_b32_e64 v54, v56, v54, s[0:1]
	s_waitcnt lgkmcnt(0)
	global_store_dwordx2 v[54:55], v[52:53], off
	s_or_b64 exec, exec, s[18:19]
	s_and_saveexec_b64 s[18:19], s[48:49]
	s_cbranch_execz .LBB106_28
.LBB106_61:                             ;   in Loop: Header=BB106_7 Depth=1
	ds_read_b64 v[52:53], v61 offset:224
	s_mov_b64 s[66:67], 0xe0
	v_lshl_add_u64 v[54:55], v[50:51], 0, s[66:67]
	v_lshl_add_u64 v[56:57], v[24:25], 3, v[48:49]
	v_cndmask_b32_e64 v55, v57, v55, s[0:1]
	v_cndmask_b32_e64 v54, v56, v54, s[0:1]
	s_waitcnt lgkmcnt(0)
	global_store_dwordx2 v[54:55], v[52:53], off
	s_or_b64 exec, exec, s[18:19]
	s_and_saveexec_b64 s[18:19], s[50:51]
	s_cbranch_execz .LBB106_29
.LBB106_62:                             ;   in Loop: Header=BB106_7 Depth=1
	ds_read_b64 v[52:53], v61 offset:256
	v_lshl_add_u64 v[54:55], v[50:51], 0, s[76:77]
	v_lshl_add_u64 v[56:57], v[26:27], 3, v[48:49]
	v_cndmask_b32_e64 v55, v57, v55, s[0:1]
	v_cndmask_b32_e64 v54, v56, v54, s[0:1]
	s_waitcnt lgkmcnt(0)
	global_store_dwordx2 v[54:55], v[52:53], off
	s_or_b64 exec, exec, s[18:19]
	s_and_saveexec_b64 s[18:19], s[52:53]
	s_cbranch_execz .LBB106_30
.LBB106_63:                             ;   in Loop: Header=BB106_7 Depth=1
	ds_read_b64 v[52:53], v61 offset:288
	v_lshl_add_u64 v[54:55], v[50:51], 0, s[78:79]
	v_lshl_add_u64 v[56:57], v[28:29], 3, v[48:49]
	v_cndmask_b32_e64 v55, v57, v55, s[0:1]
	v_cndmask_b32_e64 v54, v56, v54, s[0:1]
	s_waitcnt lgkmcnt(0)
	global_store_dwordx2 v[54:55], v[52:53], off
	s_or_b64 exec, exec, s[18:19]
	s_and_saveexec_b64 s[18:19], s[54:55]
	s_cbranch_execz .LBB106_31
.LBB106_64:                             ;   in Loop: Header=BB106_7 Depth=1
	ds_read_b64 v[52:53], v61 offset:320
	v_lshl_add_u64 v[54:55], v[50:51], 0, s[80:81]
	v_lshl_add_u64 v[56:57], v[30:31], 3, v[48:49]
	v_cndmask_b32_e64 v55, v57, v55, s[0:1]
	v_cndmask_b32_e64 v54, v56, v54, s[0:1]
	s_waitcnt lgkmcnt(0)
	global_store_dwordx2 v[54:55], v[52:53], off
	s_or_b64 exec, exec, s[18:19]
	s_and_saveexec_b64 s[18:19], s[56:57]
	s_cbranch_execz .LBB106_32
.LBB106_65:                             ;   in Loop: Header=BB106_7 Depth=1
	ds_read_b64 v[52:53], v61 offset:352
	v_lshl_add_u64 v[54:55], v[50:51], 0, s[82:83]
	v_lshl_add_u64 v[56:57], v[32:33], 3, v[48:49]
	v_cndmask_b32_e64 v55, v57, v55, s[0:1]
	v_cndmask_b32_e64 v54, v56, v54, s[0:1]
	s_waitcnt lgkmcnt(0)
	global_store_dwordx2 v[54:55], v[52:53], off
	s_or_b64 exec, exec, s[18:19]
	s_and_saveexec_b64 s[18:19], s[58:59]
	s_cbranch_execz .LBB106_33
.LBB106_66:                             ;   in Loop: Header=BB106_7 Depth=1
	ds_read_b64 v[52:53], v61 offset:384
	v_lshl_add_u64 v[54:55], v[50:51], 0, s[84:85]
	v_lshl_add_u64 v[56:57], v[34:35], 3, v[48:49]
	v_cndmask_b32_e64 v55, v57, v55, s[0:1]
	v_cndmask_b32_e64 v54, v56, v54, s[0:1]
	s_waitcnt lgkmcnt(0)
	global_store_dwordx2 v[54:55], v[52:53], off
	s_or_b64 exec, exec, s[18:19]
	s_and_saveexec_b64 s[18:19], s[60:61]
	s_cbranch_execz .LBB106_34
.LBB106_67:                             ;   in Loop: Header=BB106_7 Depth=1
	ds_read_b64 v[52:53], v61 offset:416
	v_lshl_add_u64 v[54:55], v[50:51], 0, s[86:87]
	v_lshl_add_u64 v[56:57], v[36:37], 3, v[48:49]
	v_cndmask_b32_e64 v55, v57, v55, s[0:1]
	v_cndmask_b32_e64 v54, v56, v54, s[0:1]
	s_waitcnt lgkmcnt(0)
	global_store_dwordx2 v[54:55], v[52:53], off
	s_or_b64 exec, exec, s[18:19]
	s_and_saveexec_b64 s[18:19], s[62:63]
	s_cbranch_execz .LBB106_35
.LBB106_68:                             ;   in Loop: Header=BB106_7 Depth=1
	ds_read_b64 v[52:53], v61 offset:448
	v_lshl_add_u64 v[54:55], v[50:51], 0, s[88:89]
	v_lshl_add_u64 v[56:57], v[38:39], 3, v[48:49]
	v_cndmask_b32_e64 v55, v57, v55, s[0:1]
	v_cndmask_b32_e64 v54, v56, v54, s[0:1]
	s_waitcnt lgkmcnt(0)
	global_store_dwordx2 v[54:55], v[52:53], off
	s_or_b64 exec, exec, s[18:19]
	s_and_saveexec_b64 s[18:19], s[64:65]
	s_cbranch_execnz .LBB106_36
	s_branch .LBB106_37
.LBB106_69:
	s_endpgm
	.section	.rodata,"a",@progbits
	.p2align	6, 0x0
	.amdhsa_kernel _ZN9rocsparseL38csr2bsr_block_per_row_multipass_kernelILj256ELj64E21rocsparse_complex_numIfEllEEv20rocsparse_direction_T3_S4_S4_S4_S4_21rocsparse_index_base_PKT1_PKT2_PKS4_S5_PS6_PS9_PS4_
		.amdhsa_group_segment_fixed_size 32772
		.amdhsa_private_segment_fixed_size 0
		.amdhsa_kernarg_size 112
		.amdhsa_user_sgpr_count 2
		.amdhsa_user_sgpr_dispatch_ptr 0
		.amdhsa_user_sgpr_queue_ptr 0
		.amdhsa_user_sgpr_kernarg_segment_ptr 1
		.amdhsa_user_sgpr_dispatch_id 0
		.amdhsa_user_sgpr_kernarg_preload_length 0
		.amdhsa_user_sgpr_kernarg_preload_offset 0
		.amdhsa_user_sgpr_private_segment_size 0
		.amdhsa_uses_dynamic_stack 0
		.amdhsa_enable_private_segment 0
		.amdhsa_system_sgpr_workgroup_id_x 1
		.amdhsa_system_sgpr_workgroup_id_y 0
		.amdhsa_system_sgpr_workgroup_id_z 0
		.amdhsa_system_sgpr_workgroup_info 0
		.amdhsa_system_vgpr_workitem_id 0
		.amdhsa_next_free_vgpr 71
		.amdhsa_next_free_sgpr 100
		.amdhsa_accum_offset 72
		.amdhsa_reserve_vcc 1
		.amdhsa_float_round_mode_32 0
		.amdhsa_float_round_mode_16_64 0
		.amdhsa_float_denorm_mode_32 3
		.amdhsa_float_denorm_mode_16_64 3
		.amdhsa_dx10_clamp 1
		.amdhsa_ieee_mode 1
		.amdhsa_fp16_overflow 0
		.amdhsa_tg_split 0
		.amdhsa_exception_fp_ieee_invalid_op 0
		.amdhsa_exception_fp_denorm_src 0
		.amdhsa_exception_fp_ieee_div_zero 0
		.amdhsa_exception_fp_ieee_overflow 0
		.amdhsa_exception_fp_ieee_underflow 0
		.amdhsa_exception_fp_ieee_inexact 0
		.amdhsa_exception_int_div_zero 0
	.end_amdhsa_kernel
	.section	.text._ZN9rocsparseL38csr2bsr_block_per_row_multipass_kernelILj256ELj64E21rocsparse_complex_numIfEllEEv20rocsparse_direction_T3_S4_S4_S4_S4_21rocsparse_index_base_PKT1_PKT2_PKS4_S5_PS6_PS9_PS4_,"axG",@progbits,_ZN9rocsparseL38csr2bsr_block_per_row_multipass_kernelILj256ELj64E21rocsparse_complex_numIfEllEEv20rocsparse_direction_T3_S4_S4_S4_S4_21rocsparse_index_base_PKT1_PKT2_PKS4_S5_PS6_PS9_PS4_,comdat
.Lfunc_end106:
	.size	_ZN9rocsparseL38csr2bsr_block_per_row_multipass_kernelILj256ELj64E21rocsparse_complex_numIfEllEEv20rocsparse_direction_T3_S4_S4_S4_S4_21rocsparse_index_base_PKT1_PKT2_PKS4_S5_PS6_PS9_PS4_, .Lfunc_end106-_ZN9rocsparseL38csr2bsr_block_per_row_multipass_kernelILj256ELj64E21rocsparse_complex_numIfEllEEv20rocsparse_direction_T3_S4_S4_S4_S4_21rocsparse_index_base_PKT1_PKT2_PKS4_S5_PS6_PS9_PS4_
                                        ; -- End function
	.section	.AMDGPU.csdata,"",@progbits
; Kernel info:
; codeLenInByte = 4448
; NumSgprs: 106
; NumVgprs: 71
; NumAgprs: 0
; TotalNumVgprs: 71
; ScratchSize: 0
; MemoryBound: 0
; FloatMode: 240
; IeeeMode: 1
; LDSByteSize: 32772 bytes/workgroup (compile time only)
; SGPRBlocks: 13
; VGPRBlocks: 8
; NumSGPRsForWavesPerEU: 106
; NumVGPRsForWavesPerEU: 71
; AccumOffset: 72
; Occupancy: 1
; WaveLimiterHint : 1
; COMPUTE_PGM_RSRC2:SCRATCH_EN: 0
; COMPUTE_PGM_RSRC2:USER_SGPR: 2
; COMPUTE_PGM_RSRC2:TRAP_HANDLER: 0
; COMPUTE_PGM_RSRC2:TGID_X_EN: 1
; COMPUTE_PGM_RSRC2:TGID_Y_EN: 0
; COMPUTE_PGM_RSRC2:TGID_Z_EN: 0
; COMPUTE_PGM_RSRC2:TIDIG_COMP_CNT: 0
; COMPUTE_PGM_RSRC3_GFX90A:ACCUM_OFFSET: 17
; COMPUTE_PGM_RSRC3_GFX90A:TG_SPLIT: 0
	.section	.text._ZN9rocsparseL21csr2bsr_65_inf_kernelILj32E21rocsparse_complex_numIfEllEEv20rocsparse_direction_T2_S4_S4_S4_S4_S4_21rocsparse_index_base_PKT0_PKT1_PKS4_S5_PS6_PS9_PS4_SF_SG_SE_,"axG",@progbits,_ZN9rocsparseL21csr2bsr_65_inf_kernelILj32E21rocsparse_complex_numIfEllEEv20rocsparse_direction_T2_S4_S4_S4_S4_S4_21rocsparse_index_base_PKT0_PKT1_PKS4_S5_PS6_PS9_PS4_SF_SG_SE_,comdat
	.globl	_ZN9rocsparseL21csr2bsr_65_inf_kernelILj32E21rocsparse_complex_numIfEllEEv20rocsparse_direction_T2_S4_S4_S4_S4_S4_21rocsparse_index_base_PKT0_PKT1_PKS4_S5_PS6_PS9_PS4_SF_SG_SE_ ; -- Begin function _ZN9rocsparseL21csr2bsr_65_inf_kernelILj32E21rocsparse_complex_numIfEllEEv20rocsparse_direction_T2_S4_S4_S4_S4_S4_21rocsparse_index_base_PKT0_PKT1_PKS4_S5_PS6_PS9_PS4_SF_SG_SE_
	.p2align	8
	.type	_ZN9rocsparseL21csr2bsr_65_inf_kernelILj32E21rocsparse_complex_numIfEllEEv20rocsparse_direction_T2_S4_S4_S4_S4_S4_21rocsparse_index_base_PKT0_PKT1_PKS4_S5_PS6_PS9_PS4_SF_SG_SE_,@function
_ZN9rocsparseL21csr2bsr_65_inf_kernelILj32E21rocsparse_complex_numIfEllEEv20rocsparse_direction_T2_S4_S4_S4_S4_S4_21rocsparse_index_base_PKT0_PKT1_PKS4_S5_PS6_PS9_PS4_SF_SG_SE_: ; @_ZN9rocsparseL21csr2bsr_65_inf_kernelILj32E21rocsparse_complex_numIfEllEEv20rocsparse_direction_T2_S4_S4_S4_S4_S4_21rocsparse_index_base_PKT0_PKT1_PKS4_S5_PS6_PS9_PS4_SF_SG_SE_
; %bb.0:
	s_load_dwordx2 s[4:5], s[0:1], 0x18
	s_load_dwordx4 s[8:11], s[0:1], 0x8
	s_mov_b32 s3, 0
	s_mov_b64 s[6:7], 0
	s_waitcnt lgkmcnt(0)
	v_mov_b32_e32 v2, s4
	v_mov_b32_e32 v3, s5
	s_load_dwordx2 s[4:5], s[0:1], 0x78
	s_load_dword s16, s[0:1], 0x58
	v_cmp_ge_i64_e32 vcc, s[2:3], v[2:3]
	s_cbranch_vccnz .LBB107_2
; %bb.1:
	s_load_dwordx2 s[6:7], s[0:1], 0x68
	s_lshl_b64 s[12:13], s[2:3], 3
	s_waitcnt lgkmcnt(0)
	s_add_u32 s6, s6, s12
	s_addc_u32 s7, s7, s13
	s_load_dwordx2 s[6:7], s[6:7], 0x0
	s_waitcnt lgkmcnt(0)
	s_sub_u32 s6, s6, s16
	s_subb_u32 s7, s7, 0
.LBB107_2:
	s_load_dwordx4 s[12:15], s[0:1], 0x28
	s_load_dword s33, s[0:1], 0x38
	v_mov_b32_e32 v1, 0
	s_waitcnt lgkmcnt(0)
	s_mul_i32 s3, s2, s15
	s_mul_hi_u32 s17, s2, s14
	s_mul_i32 s18, s2, s14
	s_add_i32 s19, s17, s3
	s_lshl_b64 s[18:19], s[18:19], 9
	s_add_u32 s4, s4, s18
	s_addc_u32 s5, s5, s19
	v_mad_u64_u32 v[2:3], s[18:19], v0, s14, 0
	v_mov_b32_e32 v4, v3
	v_mad_u64_u32 v[4:5], s[18:19], v0, s15, v[4:5]
	v_mov_b32_e32 v3, v4
	v_lshlrev_b64 v[8:9], 3, v[2:3]
	s_lshl_b64 s[18:19], s[14:15], 8
	v_lshl_add_u64 v[2:3], s[4:5], 0, v[8:9]
	s_add_u32 s4, s4, s18
	s_addc_u32 s5, s5, s19
	v_lshl_add_u64 v[4:5], s[4:5], 0, v[8:9]
	v_cmp_lt_i64_e64 s[4:5], s[14:15], 1
	v_cmp_gt_i64_e64 s[36:37], s[14:15], 0
	s_and_b64 vcc, exec, s[4:5]
	s_cbranch_vccnz .LBB107_7
; %bb.3:
	s_load_dwordx2 s[4:5], s[0:1], 0x48
	v_mov_b32_e32 v6, s12
	s_mul_i32 s17, s2, s13
	s_mul_hi_u32 s3, s2, s12
	v_mad_u64_u32 v[6:7], s[20:21], s2, v6, v[0:1]
	s_add_i32 s19, s3, s17
	s_mov_b32 s3, 0
	v_add_u32_e32 v7, s17, v7
	s_waitcnt lgkmcnt(0)
	v_lshl_add_u64 v[6:7], v[6:7], 3, s[4:5]
	s_mov_b32 s4, s3
	s_mov_b32 s5, s3
	s_mul_i32 s18, s2, s12
	v_lshl_add_u64 v[6:7], v[6:7], 0, 8
	v_mov_b64_e32 v[10:11], s[4:5]
	s_mov_b64 s[20:21], 0x100
	v_mov_b64_e32 v[12:13], v[4:5]
	v_mov_b64_e32 v[14:15], v[2:3]
	;; [unrolled: 1-line block ×3, first 2 shown]
	s_mov_b64 s[22:23], s[14:15]
	s_branch .LBB107_5
.LBB107_4:                              ;   in Loop: Header=BB107_5 Depth=1
	s_or_b64 exec, exec, s[4:5]
	s_add_u32 s22, s22, -1
	s_addc_u32 s23, s23, -1
	v_lshl_add_u64 v[16:17], v[16:17], 0, 32
	v_lshl_add_u64 v[14:15], v[14:15], 0, 8
	v_lshl_add_u64 v[6:7], v[6:7], 0, s[20:21]
	s_cmp_eq_u64 s[22:23], 0
	v_lshl_add_u64 v[12:13], v[12:13], 0, 8
	s_cbranch_scc1 .LBB107_7
.LBB107_5:                              ; =>This Inner Loop Header: Depth=1
	v_lshl_add_u64 v[18:19], s[18:19], 0, v[16:17]
	v_cmp_gt_i64_e32 vcc, s[8:9], v[18:19]
	v_cmp_gt_i64_e64 s[4:5], s[12:13], v[16:17]
	s_and_b64 s[24:25], vcc, s[4:5]
	global_store_dwordx2 v[14:15], v[10:11], off
	global_store_dwordx2 v[12:13], v[10:11], off
	s_and_saveexec_b64 s[4:5], s[24:25]
	s_cbranch_execz .LBB107_4
; %bb.6:                                ;   in Loop: Header=BB107_5 Depth=1
	global_load_dwordx4 v[18:21], v[6:7], off offset:-8
	v_mov_b32_e32 v22, s3
	s_waitcnt vmcnt(0)
	v_subrev_co_u32_e32 v18, vcc, s33, v18
	s_nop 1
	v_subb_co_u32_e32 v19, vcc, v19, v22, vcc
	v_subrev_co_u32_e32 v20, vcc, s33, v20
	s_nop 1
	v_subb_co_u32_e32 v21, vcc, v21, v22, vcc
	global_store_dwordx2 v[14:15], v[18:19], off
	global_store_dwordx2 v[12:13], v[20:21], off
	s_branch .LBB107_4
.LBB107_7:
	v_cmp_lt_i64_e64 s[4:5], s[10:11], 1
	s_and_b64 vcc, exec, s[4:5]
	s_cbranch_vccnz .LBB107_53
; %bb.8:
	s_load_dwordx4 s[20:23], s[0:1], 0x80
	s_load_dwordx2 s[4:5], s[0:1], 0x70
	s_lshl_b64 s[8:9], s[14:15], 5
	s_mul_i32 s3, s9, s2
	s_mul_hi_u32 s9, s8, s2
	s_add_i32 s3, s9, s3
	s_mul_i32 s2, s8, s2
	s_lshl_b64 s[2:3], s[2:3], 3
	s_waitcnt lgkmcnt(0)
	s_add_u32 s8, s20, s2
	s_addc_u32 s9, s21, s3
	v_lshl_add_u64 v[6:7], s[8:9], 0, v[8:9]
	s_add_u32 s2, s22, s2
	s_load_dwordx2 s[8:9], s[0:1], 0x60
	s_load_dwordx2 s[18:19], s[0:1], 0x50
	;; [unrolled: 1-line block ×3, first 2 shown]
	s_load_dword s24, s[0:1], 0x0
	s_addc_u32 s3, s23, s3
	v_lshl_add_u64 v[8:9], s[2:3], 0, v[8:9]
	s_lshl_b64 s[2:3], s[6:7], 3
	s_add_u32 s22, s4, s2
	s_addc_u32 s23, s5, s3
	v_mbcnt_lo_u32_b32 v10, -1, 0
	v_mbcnt_hi_u32_b32 v10, -1, v10
	v_mov_b32_e32 v11, 0x7c
	s_waitcnt lgkmcnt(0)
	s_cmp_lg_u32 s24, 0
	s_mov_b32 s46, 0
	v_lshl_or_b32 v36, v10, 2, v11
	s_cselect_b64 s[24:25], -1, 0
	s_add_u32 s26, s6, -1
	v_mov_b64_e32 v[16:17], 0
	v_cndmask_b32_e64 v10, 0, 1, s[36:37]
	v_cmp_eq_u32_e64 s[0:1], 31, v0
	s_mov_b32 s17, s46
	s_addc_u32 s27, s7, -1
	s_lshl_b64 s[28:29], s[12:13], 3
	s_lshl_b64 s[30:31], s[12:13], 8
	s_mov_b64 s[34:35], 0
	v_cmp_ne_u32_e64 s[2:3], 1, v10
	v_mov_b32_e32 v10, 0
	v_mov_b64_e32 v[14:15], v[16:17]
	v_mov_b64_e32 v[12:13], v[16:17]
	s_branch .LBB107_10
.LBB107_9:                              ;   in Loop: Header=BB107_10 Depth=1
	s_waitcnt lgkmcnt(2)
	v_lshl_add_u64 v[16:17], v[16:17], 0, 1
	v_cmp_le_i64_e32 vcc, s[10:11], v[16:17]
	s_or_b64 s[34:35], vcc, s[34:35]
	s_andn2_b64 exec, exec, s[34:35]
	s_cbranch_execz .LBB107_53
.LBB107_10:                             ; =>This Loop Header: Depth=1
                                        ;     Child Loop BB107_14 Depth 2
                                        ;       Child Loop BB107_17 Depth 3
                                        ;     Child Loop BB107_34 Depth 2
	s_and_b64 vcc, exec, s[2:3]
	v_mov_b64_e32 v[18:19], s[10:11]
	s_cbranch_vccnz .LBB107_23
; %bb.11:                               ;   in Loop: Header=BB107_10 Depth=1
	s_mov_b64 s[4:5], 0
	v_mov_b64_e32 v[18:19], s[10:11]
	s_branch .LBB107_14
.LBB107_12:                             ;   in Loop: Header=BB107_14 Depth=2
	s_or_b64 exec, exec, s[36:37]
.LBB107_13:                             ;   in Loop: Header=BB107_14 Depth=2
	s_or_b64 exec, exec, s[6:7]
	s_add_u32 s4, s4, 1
	s_addc_u32 s5, s5, 0
	s_cmp_eq_u64 s[4:5], s[14:15]
	s_cbranch_scc1 .LBB107_23
.LBB107_14:                             ;   Parent Loop BB107_10 Depth=1
                                        ; =>  This Loop Header: Depth=2
                                        ;       Child Loop BB107_17 Depth 3
	s_lshl_b64 s[6:7], s[4:5], 3
	v_lshl_add_u64 v[20:21], v[2:3], 0, s[6:7]
	v_lshl_add_u64 v[22:23], v[4:5], 0, s[6:7]
	global_load_dwordx2 v[32:33], v[20:21], off
	global_load_dwordx2 v[30:31], v[22:23], off
	v_lshl_add_u64 v[22:23], v[8:9], 0, s[6:7]
	v_mov_b32_e32 v11, v10
	v_lshl_add_u64 v[24:25], v[6:7], 0, s[6:7]
	v_mov_b64_e32 v[26:27], s[10:11]
	global_store_dwordx2 v[22:23], v[10:11], off
	global_store_dwordx2 v[24:25], v[26:27], off
	s_waitcnt vmcnt(2)
	v_cmp_lt_i64_e32 vcc, v[32:33], v[30:31]
	s_and_saveexec_b64 s[6:7], vcc
	s_cbranch_execz .LBB107_13
; %bb.15:                               ;   in Loop: Header=BB107_14 Depth=2
	v_lshl_add_u64 v[34:35], v[32:33], 3, s[18:19]
	s_mov_b64 s[36:37], 0
                                        ; implicit-def: $sgpr38_sgpr39
                                        ; implicit-def: $sgpr42_sgpr43
                                        ; implicit-def: $sgpr40_sgpr41
	s_branch .LBB107_17
.LBB107_16:                             ;   in Loop: Header=BB107_17 Depth=3
	s_or_b64 exec, exec, s[44:45]
	s_and_b64 s[44:45], exec, s[42:43]
	s_or_b64 s[36:37], s[44:45], s[36:37]
	s_andn2_b64 s[38:39], s[38:39], exec
	s_and_b64 s[44:45], s[40:41], exec
	s_or_b64 s[38:39], s[38:39], s[44:45]
	s_andn2_b64 exec, exec, s[36:37]
	s_cbranch_execz .LBB107_19
.LBB107_17:                             ;   Parent Loop BB107_10 Depth=1
                                        ;     Parent Loop BB107_14 Depth=2
                                        ; =>    This Inner Loop Header: Depth=3
	global_load_dwordx2 v[28:29], v[34:35], off
	v_mov_b32_e32 v11, s46
	v_mov_b64_e32 v[26:27], v[32:33]
	s_or_b64 s[40:41], s[40:41], exec
	s_or_b64 s[42:43], s[42:43], exec
                                        ; implicit-def: $vgpr32_vgpr33
	s_waitcnt vmcnt(0)
	v_subrev_co_u32_e32 v28, vcc, s33, v28
	s_nop 1
	v_subb_co_u32_e32 v29, vcc, v29, v11, vcc
	v_cmp_lt_i64_e32 vcc, v[28:29], v[16:17]
	s_and_saveexec_b64 s[44:45], vcc
	s_cbranch_execz .LBB107_16
; %bb.18:                               ;   in Loop: Header=BB107_17 Depth=3
	v_lshl_add_u64 v[32:33], v[26:27], 0, 1
	v_cmp_ge_i64_e32 vcc, v[32:33], v[30:31]
	s_andn2_b64 s[42:43], s[42:43], exec
	s_and_b64 s[48:49], vcc, exec
	v_lshl_add_u64 v[34:35], v[34:35], 0, 8
	s_andn2_b64 s[40:41], s[40:41], exec
	s_or_b64 s[42:43], s[42:43], s[48:49]
	s_branch .LBB107_16
.LBB107_19:                             ;   in Loop: Header=BB107_14 Depth=2
	s_or_b64 exec, exec, s[36:37]
	s_xor_b64 s[36:37], s[38:39], -1
	v_lshl_add_u64 v[30:31], v[26:27], 3, s[20:21]
	s_and_saveexec_b64 s[38:39], s[36:37]
	s_xor_b64 s[36:37], exec, s[38:39]
	s_cbranch_execz .LBB107_21
; %bb.20:                               ;   in Loop: Header=BB107_14 Depth=2
	global_load_dwordx2 v[20:21], v[30:31], off
                                        ; implicit-def: $vgpr30_vgpr31
	s_waitcnt vmcnt(0)
	global_store_dwordx2 v[22:23], v[20:21], off
	global_store_dwordx2 v[24:25], v[28:29], off
                                        ; implicit-def: $vgpr22_vgpr23
                                        ; implicit-def: $vgpr24_vgpr25
                                        ; implicit-def: $vgpr20_vgpr21
.LBB107_21:                             ;   in Loop: Header=BB107_14 Depth=2
	s_andn2_saveexec_b64 s[36:37], s[36:37]
	s_cbranch_execz .LBB107_12
; %bb.22:                               ;   in Loop: Header=BB107_14 Depth=2
	global_load_dwordx2 v[30:31], v[30:31], off
	v_cmp_lt_i64_e32 vcc, v[28:29], v[18:19]
	global_store_dwordx2 v[24:25], v[28:29], off
	s_waitcnt vmcnt(1)
	global_store_dwordx2 v[22:23], v[30:31], off
	global_store_dwordx2 v[20:21], v[26:27], off
	v_cndmask_b32_e32 v19, v19, v29, vcc
	v_cndmask_b32_e32 v18, v18, v28, vcc
	s_branch .LBB107_12
.LBB107_23:                             ;   in Loop: Header=BB107_10 Depth=1
	s_nop 0
	v_mov_b32_dpp v16, v18 row_shr:1 row_mask:0xf bank_mask:0xf
	v_mov_b32_dpp v17, v19 row_shr:1 row_mask:0xf bank_mask:0xf
	v_cmp_lt_i64_e32 vcc, v[16:17], v[18:19]
	s_nop 1
	v_cndmask_b32_e32 v17, v19, v17, vcc
	v_cndmask_b32_e32 v16, v18, v16, vcc
	s_nop 0
	v_mov_b32_dpp v19, v17 row_shr:2 row_mask:0xf bank_mask:0xf
	v_mov_b32_dpp v18, v16 row_shr:2 row_mask:0xf bank_mask:0xf
	v_cmp_lt_i64_e32 vcc, v[18:19], v[16:17]
	s_nop 1
	v_cndmask_b32_e32 v17, v17, v19, vcc
	v_cndmask_b32_e32 v16, v16, v18, vcc
	;; [unrolled: 7-line block ×4, first 2 shown]
	s_nop 0
	v_mov_b32_dpp v19, v17 row_bcast:15 row_mask:0xa bank_mask:0xf
	v_mov_b32_dpp v18, v16 row_bcast:15 row_mask:0xa bank_mask:0xf
	v_cmp_lt_i64_e32 vcc, v[18:19], v[16:17]
	s_nop 1
	v_cndmask_b32_e32 v17, v17, v19, vcc
	v_cndmask_b32_e32 v16, v16, v18, vcc
	v_cmp_gt_i64_e32 vcc, s[10:11], v[16:17]
	s_and_b64 s[4:5], s[0:1], vcc
	s_and_saveexec_b64 s[6:7], s[4:5]
	s_cbranch_execz .LBB107_29
; %bb.24:                               ;   in Loop: Header=BB107_10 Depth=1
	v_or_b32_e32 v11, s13, v17
	v_cmp_ne_u64_e32 vcc, 0, v[10:11]
                                        ; implicit-def: $vgpr18_vgpr19
	s_and_saveexec_b64 s[4:5], vcc
	s_xor_b64 s[36:37], exec, s[4:5]
	s_cbranch_execnz .LBB107_51
; %bb.25:                               ;   in Loop: Header=BB107_10 Depth=1
	s_andn2_saveexec_b64 s[4:5], s[36:37]
	s_cbranch_execnz .LBB107_52
.LBB107_26:                             ;   in Loop: Header=BB107_10 Depth=1
	s_or_b64 exec, exec, s[4:5]
	v_cmp_ge_i64_e32 vcc, v[18:19], v[14:15]
	s_and_saveexec_b64 s[4:5], vcc
	s_cbranch_execz .LBB107_28
.LBB107_27:                             ;   in Loop: Header=BB107_10 Depth=1
	v_lshl_add_u64 v[14:15], v[18:19], 0, s[16:17]
	s_waitcnt lgkmcnt(0)
	v_lshl_add_u64 v[20:21], v[12:13], 3, s[22:23]
	global_store_dwordx2 v[20:21], v[14:15], off
	v_lshl_add_u64 v[12:13], v[12:13], 0, 1
	v_lshl_add_u64 v[14:15], v[18:19], 0, 1
.LBB107_28:                             ;   in Loop: Header=BB107_10 Depth=1
	s_or_b64 exec, exec, s[4:5]
.LBB107_29:                             ;   in Loop: Header=BB107_10 Depth=1
	s_or_b64 exec, exec, s[6:7]
	ds_bpermute_b32 v16, v36, v16
	ds_bpermute_b32 v17, v36, v17
	s_waitcnt lgkmcnt(3)
	ds_bpermute_b32 v12, v36, v12
	s_waitcnt lgkmcnt(3)
	ds_bpermute_b32 v13, v36, v13
	s_and_b64 vcc, exec, s[2:3]
	s_cbranch_vccnz .LBB107_9
; %bb.30:                               ;   in Loop: Header=BB107_10 Depth=1
	s_waitcnt lgkmcnt(0)
	v_lshl_add_u64 v[18:19], s[26:27], 0, v[12:13]
	v_mov_b32_e32 v11, v13
	v_mul_lo_u32 v22, v19, s12
	v_mul_lo_u32 v23, v18, s13
	v_mad_u64_u32 v[18:19], s[4:5], v18, s12, 0
	v_mov_b32_e32 v20, v12
	v_mov_b32_e32 v21, v10
	v_add3_u32 v19, v19, v23, v22
	v_lshl_add_u64 v[22:23], s[26:27], 0, v[10:11]
	v_lshl_add_u64 v[20:21], v[22:23], 0, v[20:21]
	v_mul_lo_u32 v11, s12, v21
	v_mul_lo_u32 v22, s13, v20
	v_mad_u64_u32 v[20:21], s[4:5], s12, v20, v[0:1]
	v_add3_u32 v11, v22, v21, v11
	v_mov_b64_e32 v[22:23], s[8:9]
	v_mul_lo_u32 v11, s28, v11
	v_mul_lo_u32 v24, s29, v20
	v_mad_u64_u32 v[20:21], s[4:5], s28, v20, v[22:23]
	v_add3_u32 v21, v24, v21, v11
	s_mov_b64 s[36:37], 0
	v_mov_b64_e32 v[22:23], v[6:7]
	s_mov_b64 s[38:39], s[14:15]
	v_mov_b64_e32 v[24:25], v[8:9]
	s_branch .LBB107_34
.LBB107_31:                             ;   in Loop: Header=BB107_34 Depth=2
	s_or_b64 exec, exec, s[4:5]
	v_lshl_add_u64 v[28:29], v[28:29], 3, v[20:21]
.LBB107_32:                             ;   in Loop: Header=BB107_34 Depth=2
	global_load_dwordx2 v[26:27], v[24:25], off
	s_waitcnt vmcnt(0)
	global_store_dwordx2 v[28:29], v[26:27], off
.LBB107_33:                             ;   in Loop: Header=BB107_34 Depth=2
	s_or_b64 exec, exec, s[40:41]
	s_add_u32 s36, s36, 1
	s_addc_u32 s37, s37, 0
	s_add_u32 s38, s38, -1
	s_addc_u32 s39, s39, -1
	v_lshl_add_u64 v[24:25], v[24:25], 0, 8
	v_lshl_add_u64 v[20:21], v[20:21], 0, s[30:31]
	s_cmp_eq_u64 s[38:39], 0
	v_lshl_add_u64 v[22:23], v[22:23], 0, 8
	s_cbranch_scc1 .LBB107_9
.LBB107_34:                             ;   Parent Loop BB107_10 Depth=1
                                        ; =>  This Inner Loop Header: Depth=2
	global_load_dwordx2 v[26:27], v[22:23], off
	s_waitcnt vmcnt(0)
	v_cmp_gt_i64_e32 vcc, s[10:11], v[26:27]
	s_and_saveexec_b64 s[40:41], vcc
	s_cbranch_execz .LBB107_33
; %bb.35:                               ;   in Loop: Header=BB107_34 Depth=2
	v_or_b32_e32 v32, s13, v27
	v_mov_b32_e32 v11, v32
	v_cmp_ne_u64_e32 vcc, 0, v[10:11]
                                        ; implicit-def: $vgpr28_vgpr29
	s_and_saveexec_b64 s[4:5], vcc
	s_xor_b64 s[6:7], exec, s[4:5]
	s_cbranch_execz .LBB107_37
; %bb.36:                               ;   in Loop: Header=BB107_34 Depth=2
	s_ashr_i32 s42, s13, 31
	s_add_u32 s4, s12, s42
	s_mov_b32 s43, s42
	s_addc_u32 s5, s13, s42
	s_xor_b64 s[44:45], s[4:5], s[42:43]
	v_cvt_f32_u32_e32 v11, s44
	v_cvt_f32_u32_e32 v28, s45
	s_sub_u32 s4, 0, s44
	s_subb_u32 s5, 0, s45
	v_mov_b32_e32 v31, v10
	v_fmac_f32_e32 v11, 0x4f800000, v28
	v_rcp_f32_e32 v11, v11
	s_nop 0
	v_mul_f32_e32 v11, 0x5f7ffffc, v11
	v_mul_f32_e32 v28, 0x2f800000, v11
	v_trunc_f32_e32 v28, v28
	v_fmac_f32_e32 v11, 0xcf800000, v28
	v_cvt_u32_f32_e32 v33, v28
	v_cvt_u32_f32_e32 v11, v11
	v_mul_lo_u32 v28, s4, v33
	v_mul_hi_u32 v30, s4, v11
	v_mul_lo_u32 v29, s5, v11
	v_add_u32_e32 v28, v30, v28
	v_mul_lo_u32 v34, s4, v11
	v_add_u32_e32 v35, v28, v29
	v_mul_hi_u32 v29, v11, v35
	v_mul_lo_u32 v28, v11, v35
	v_mul_hi_u32 v30, v11, v34
	v_lshl_add_u64 v[28:29], v[30:31], 0, v[28:29]
	v_mul_hi_u32 v31, v33, v34
	v_mul_lo_u32 v34, v33, v34
	v_add_co_u32_e32 v28, vcc, v28, v34
	v_mul_hi_u32 v30, v33, v35
	s_nop 0
	v_addc_co_u32_e32 v28, vcc, v29, v31, vcc
	v_mov_b32_e32 v29, v10
	s_nop 0
	v_addc_co_u32_e32 v31, vcc, 0, v30, vcc
	v_mul_lo_u32 v30, v33, v35
	v_lshl_add_u64 v[28:29], v[28:29], 0, v[30:31]
	v_add_co_u32_e32 v11, vcc, v11, v28
	v_mul_lo_u32 v30, s4, v11
	s_nop 0
	v_addc_co_u32_e32 v33, vcc, v33, v29, vcc
	v_mul_lo_u32 v28, s4, v33
	v_mul_hi_u32 v29, s4, v11
	v_add_u32_e32 v28, v29, v28
	v_mul_lo_u32 v29, s5, v11
	v_add_u32_e32 v34, v28, v29
	v_mul_hi_u32 v37, v33, v30
	v_mul_lo_u32 v38, v33, v30
	v_mul_hi_u32 v29, v11, v34
	v_mul_lo_u32 v28, v11, v34
	v_mul_hi_u32 v30, v11, v30
	v_mov_b32_e32 v31, v10
	v_lshl_add_u64 v[28:29], v[30:31], 0, v[28:29]
	v_add_co_u32_e32 v28, vcc, v28, v38
	v_mul_hi_u32 v35, v33, v34
	s_nop 0
	v_addc_co_u32_e32 v28, vcc, v29, v37, vcc
	v_mul_lo_u32 v30, v33, v34
	s_nop 0
	v_addc_co_u32_e32 v31, vcc, 0, v35, vcc
	v_mov_b32_e32 v29, v10
	v_lshl_add_u64 v[28:29], v[28:29], 0, v[30:31]
	v_add_co_u32_e32 v11, vcc, v11, v28
	v_ashrrev_i32_e32 v28, 31, v27
	s_nop 0
	v_addc_co_u32_e32 v33, vcc, v33, v29, vcc
	v_mov_b32_e32 v29, v28
	v_lshl_add_u64 v[30:31], v[26:27], 0, v[28:29]
	v_xor_b32_e32 v37, v30, v28
	v_xor_b32_e32 v29, v31, v28
	v_mad_u64_u32 v[30:31], s[4:5], v37, v33, 0
	v_mul_hi_u32 v34, v37, v11
	v_mov_b32_e32 v35, v10
	v_lshl_add_u64 v[30:31], v[34:35], 0, v[30:31]
	v_mad_u64_u32 v[38:39], s[4:5], v29, v11, 0
	v_add_co_u32_e32 v11, vcc, v30, v38
	v_mad_u64_u32 v[34:35], s[4:5], v29, v33, 0
	s_nop 0
	v_addc_co_u32_e32 v30, vcc, v31, v39, vcc
	v_mov_b32_e32 v31, v10
	s_nop 0
	v_addc_co_u32_e32 v35, vcc, 0, v35, vcc
	v_lshl_add_u64 v[30:31], v[30:31], 0, v[34:35]
	v_mul_lo_u32 v11, s45, v30
	v_mul_lo_u32 v33, s44, v31
	v_mad_u64_u32 v[34:35], s[4:5], s44, v30, 0
	v_add3_u32 v11, v35, v33, v11
	v_sub_u32_e32 v33, v29, v11
	v_mov_b32_e32 v35, s45
	v_sub_co_u32_e32 v37, vcc, v37, v34
	v_lshl_add_u64 v[38:39], v[30:31], 0, 1
	s_nop 0
	v_subb_co_u32_e64 v33, s[4:5], v33, v35, vcc
	v_subrev_co_u32_e64 v34, s[4:5], s44, v37
	v_subb_co_u32_e32 v11, vcc, v29, v11, vcc
	s_nop 0
	v_subbrev_co_u32_e64 v33, s[4:5], 0, v33, s[4:5]
	v_cmp_le_u32_e64 s[4:5], s45, v33
	v_cmp_le_u32_e32 vcc, s45, v11
	s_nop 0
	v_cndmask_b32_e64 v35, 0, -1, s[4:5]
	v_cmp_le_u32_e64 s[4:5], s44, v34
	v_cndmask_b32_e64 v29, 0, -1, vcc
	v_cmp_le_u32_e32 vcc, s44, v37
	v_cndmask_b32_e64 v34, 0, -1, s[4:5]
	v_cmp_eq_u32_e64 s[4:5], s45, v33
	s_nop 1
	v_cndmask_b32_e64 v33, v35, v34, s[4:5]
	v_lshl_add_u64 v[34:35], v[30:31], 0, 2
	v_cmp_ne_u32_e64 s[4:5], 0, v33
	s_nop 1
	v_cndmask_b32_e64 v33, v39, v35, s[4:5]
	v_cndmask_b32_e64 v35, 0, -1, vcc
	v_cmp_eq_u32_e32 vcc, s45, v11
	s_nop 1
	v_cndmask_b32_e32 v11, v29, v35, vcc
	v_cmp_ne_u32_e32 vcc, 0, v11
	v_cndmask_b32_e64 v29, v38, v34, s[4:5]
	s_nop 0
	v_cndmask_b32_e32 v29, v30, v29, vcc
	v_xor_b32_e32 v30, s42, v28
	v_cndmask_b32_e32 v11, v31, v33, vcc
	v_xor_b32_e32 v28, v29, v30
	v_xor_b32_e32 v11, v11, v30
	v_sub_co_u32_e32 v28, vcc, v28, v30
	s_nop 1
	v_subb_co_u32_e32 v29, vcc, v11, v30, vcc
.LBB107_37:                             ;   in Loop: Header=BB107_34 Depth=2
	s_andn2_saveexec_b64 s[4:5], s[6:7]
	s_cbranch_execz .LBB107_39
; %bb.38:                               ;   in Loop: Header=BB107_34 Depth=2
	v_cvt_f32_u32_e32 v11, s12
	s_sub_i32 s6, 0, s12
	v_rcp_iflag_f32_e32 v11, v11
	s_nop 0
	v_mul_f32_e32 v11, 0x4f7ffffe, v11
	v_cvt_u32_f32_e32 v11, v11
	v_mul_lo_u32 v28, s6, v11
	v_mul_hi_u32 v28, v11, v28
	v_add_u32_e32 v11, v11, v28
	v_mul_hi_u32 v11, v26, v11
	v_mul_lo_u32 v28, v11, s12
	v_sub_u32_e32 v28, v26, v28
	v_add_u32_e32 v29, 1, v11
	v_subrev_u32_e32 v30, s12, v28
	v_cmp_le_u32_e32 vcc, s12, v28
	s_nop 1
	v_cndmask_b32_e32 v28, v28, v30, vcc
	v_cndmask_b32_e32 v11, v11, v29, vcc
	v_add_u32_e32 v29, 1, v11
	v_cmp_le_u32_e32 vcc, s12, v28
	s_nop 1
	v_cndmask_b32_e32 v28, v11, v29, vcc
	v_mov_b32_e32 v29, v10
.LBB107_39:                             ;   in Loop: Header=BB107_34 Depth=2
	s_or_b64 exec, exec, s[4:5]
	v_or_b32_e32 v11, s13, v17
	v_cmp_ne_u64_e32 vcc, 0, v[10:11]
                                        ; implicit-def: $vgpr30_vgpr31
	s_and_saveexec_b64 s[4:5], vcc
	s_xor_b64 s[6:7], exec, s[4:5]
	s_cbranch_execnz .LBB107_42
; %bb.40:                               ;   in Loop: Header=BB107_34 Depth=2
	s_andn2_saveexec_b64 s[4:5], s[6:7]
	s_cbranch_execnz .LBB107_43
.LBB107_41:                             ;   in Loop: Header=BB107_34 Depth=2
	s_or_b64 exec, exec, s[4:5]
	v_cmp_eq_u64_e32 vcc, v[28:29], v[30:31]
	s_and_b64 exec, exec, vcc
	s_cbranch_execz .LBB107_33
	s_branch .LBB107_44
.LBB107_42:                             ;   in Loop: Header=BB107_34 Depth=2
	s_ashr_i32 s42, s13, 31
	s_add_u32 s4, s12, s42
	s_mov_b32 s43, s42
	s_addc_u32 s5, s13, s42
	s_xor_b64 s[44:45], s[4:5], s[42:43]
	v_cvt_f32_u32_e32 v11, s44
	v_cvt_f32_u32_e32 v30, s45
	s_sub_u32 s4, 0, s44
	s_subb_u32 s5, 0, s45
	v_mov_b32_e32 v35, v10
	v_fmac_f32_e32 v11, 0x4f800000, v30
	v_rcp_f32_e32 v11, v11
	s_nop 0
	v_mul_f32_e32 v11, 0x5f7ffffc, v11
	v_mul_f32_e32 v30, 0x2f800000, v11
	v_trunc_f32_e32 v30, v30
	v_fmac_f32_e32 v11, 0xcf800000, v30
	v_cvt_u32_f32_e32 v33, v30
	v_cvt_u32_f32_e32 v11, v11
	v_mul_lo_u32 v30, s4, v33
	v_mul_hi_u32 v34, s4, v11
	v_mul_lo_u32 v31, s5, v11
	v_add_u32_e32 v30, v34, v30
	v_mul_lo_u32 v37, s4, v11
	v_add_u32_e32 v38, v30, v31
	v_mul_hi_u32 v31, v11, v38
	v_mul_lo_u32 v30, v11, v38
	v_mul_hi_u32 v34, v11, v37
	v_lshl_add_u64 v[30:31], v[34:35], 0, v[30:31]
	v_mul_hi_u32 v35, v33, v37
	v_mul_lo_u32 v37, v33, v37
	v_add_co_u32_e32 v30, vcc, v30, v37
	v_mul_hi_u32 v34, v33, v38
	s_nop 0
	v_addc_co_u32_e32 v30, vcc, v31, v35, vcc
	v_mov_b32_e32 v31, v10
	s_nop 0
	v_addc_co_u32_e32 v35, vcc, 0, v34, vcc
	v_mul_lo_u32 v34, v33, v38
	v_lshl_add_u64 v[30:31], v[30:31], 0, v[34:35]
	v_add_co_u32_e32 v11, vcc, v11, v30
	v_mul_lo_u32 v34, s4, v11
	s_nop 0
	v_addc_co_u32_e32 v33, vcc, v33, v31, vcc
	v_mul_lo_u32 v30, s4, v33
	v_mul_hi_u32 v31, s4, v11
	v_add_u32_e32 v30, v31, v30
	v_mul_lo_u32 v31, s5, v11
	v_add_u32_e32 v37, v30, v31
	v_mul_hi_u32 v39, v33, v34
	v_mul_lo_u32 v40, v33, v34
	v_mul_hi_u32 v31, v11, v37
	v_mul_lo_u32 v30, v11, v37
	v_mul_hi_u32 v34, v11, v34
	v_mov_b32_e32 v35, v10
	v_lshl_add_u64 v[30:31], v[34:35], 0, v[30:31]
	v_add_co_u32_e32 v30, vcc, v30, v40
	v_mul_hi_u32 v38, v33, v37
	s_nop 0
	v_addc_co_u32_e32 v30, vcc, v31, v39, vcc
	v_mul_lo_u32 v34, v33, v37
	s_nop 0
	v_addc_co_u32_e32 v35, vcc, 0, v38, vcc
	v_mov_b32_e32 v31, v10
	v_lshl_add_u64 v[30:31], v[30:31], 0, v[34:35]
	v_add_co_u32_e32 v11, vcc, v11, v30
	v_ashrrev_i32_e32 v30, 31, v17
	s_nop 0
	v_addc_co_u32_e32 v33, vcc, v33, v31, vcc
	v_mov_b32_e32 v31, v30
	v_lshl_add_u64 v[34:35], v[16:17], 0, v[30:31]
	v_xor_b32_e32 v37, v34, v30
	v_xor_b32_e32 v31, v35, v30
	v_mad_u64_u32 v[34:35], s[4:5], v37, v33, 0
	v_mul_hi_u32 v38, v37, v11
	v_mov_b32_e32 v39, v10
	v_lshl_add_u64 v[34:35], v[38:39], 0, v[34:35]
	v_mad_u64_u32 v[40:41], s[4:5], v31, v11, 0
	v_add_co_u32_e32 v11, vcc, v34, v40
	v_mad_u64_u32 v[38:39], s[4:5], v31, v33, 0
	s_nop 0
	v_addc_co_u32_e32 v34, vcc, v35, v41, vcc
	v_mov_b32_e32 v35, v10
	s_nop 0
	v_addc_co_u32_e32 v39, vcc, 0, v39, vcc
	v_lshl_add_u64 v[34:35], v[34:35], 0, v[38:39]
	v_mul_lo_u32 v11, s45, v34
	v_mul_lo_u32 v33, s44, v35
	v_mad_u64_u32 v[38:39], s[4:5], s44, v34, 0
	v_add3_u32 v11, v39, v33, v11
	v_sub_u32_e32 v33, v31, v11
	v_mov_b32_e32 v39, s45
	v_sub_co_u32_e32 v37, vcc, v37, v38
	v_lshl_add_u64 v[40:41], v[34:35], 0, 1
	s_nop 0
	v_subb_co_u32_e64 v33, s[4:5], v33, v39, vcc
	v_subrev_co_u32_e64 v38, s[4:5], s44, v37
	v_subb_co_u32_e32 v11, vcc, v31, v11, vcc
	s_nop 0
	v_subbrev_co_u32_e64 v33, s[4:5], 0, v33, s[4:5]
	v_cmp_le_u32_e64 s[4:5], s45, v33
	v_cmp_le_u32_e32 vcc, s45, v11
	s_nop 0
	v_cndmask_b32_e64 v39, 0, -1, s[4:5]
	v_cmp_le_u32_e64 s[4:5], s44, v38
	v_cndmask_b32_e64 v31, 0, -1, vcc
	v_cmp_le_u32_e32 vcc, s44, v37
	v_cndmask_b32_e64 v38, 0, -1, s[4:5]
	v_cmp_eq_u32_e64 s[4:5], s45, v33
	v_cndmask_b32_e64 v37, 0, -1, vcc
	v_cmp_eq_u32_e32 vcc, s45, v11
	v_cndmask_b32_e64 v33, v39, v38, s[4:5]
	v_lshl_add_u64 v[38:39], v[34:35], 0, 2
	v_cmp_ne_u32_e64 s[4:5], 0, v33
	v_cndmask_b32_e32 v11, v31, v37, vcc
	v_cmp_ne_u32_e32 vcc, 0, v11
	v_cndmask_b32_e64 v33, v41, v39, s[4:5]
	v_cndmask_b32_e64 v31, v40, v38, s[4:5]
	v_cndmask_b32_e32 v11, v35, v33, vcc
	v_cndmask_b32_e32 v31, v34, v31, vcc
	v_xor_b32_e32 v33, s42, v30
	v_xor_b32_e32 v30, v31, v33
	;; [unrolled: 1-line block ×3, first 2 shown]
	v_sub_co_u32_e32 v30, vcc, v30, v33
	s_nop 1
	v_subb_co_u32_e32 v31, vcc, v11, v33, vcc
	s_andn2_saveexec_b64 s[4:5], s[6:7]
	s_cbranch_execz .LBB107_41
.LBB107_43:                             ;   in Loop: Header=BB107_34 Depth=2
	v_cvt_f32_u32_e32 v11, s12
	s_sub_i32 s6, 0, s12
	v_rcp_iflag_f32_e32 v11, v11
	s_nop 0
	v_mul_f32_e32 v11, 0x4f7ffffe, v11
	v_cvt_u32_f32_e32 v11, v11
	v_mul_lo_u32 v30, s6, v11
	v_mul_hi_u32 v30, v11, v30
	v_add_u32_e32 v11, v11, v30
	v_mul_hi_u32 v11, v16, v11
	v_mul_lo_u32 v30, v11, s12
	v_sub_u32_e32 v30, v16, v30
	v_add_u32_e32 v31, 1, v11
	v_subrev_u32_e32 v33, s12, v30
	v_cmp_le_u32_e32 vcc, s12, v30
	s_nop 1
	v_cndmask_b32_e32 v30, v30, v33, vcc
	v_cndmask_b32_e32 v11, v11, v31, vcc
	v_add_u32_e32 v31, 1, v11
	v_cmp_le_u32_e32 vcc, s12, v30
	s_nop 1
	v_cndmask_b32_e32 v30, v11, v31, vcc
	v_mov_b32_e32 v31, v10
	s_or_b64 exec, exec, s[4:5]
	v_cmp_eq_u64_e32 vcc, v[28:29], v[30:31]
	s_and_b64 exec, exec, vcc
	s_cbranch_execz .LBB107_33
.LBB107_44:                             ;   in Loop: Header=BB107_34 Depth=2
	s_and_b64 vcc, exec, s[24:25]
	s_cbranch_vccz .LBB107_46
; %bb.45:                               ;   in Loop: Header=BB107_34 Depth=2
	v_mul_lo_u32 v11, v29, s12
	v_mul_lo_u32 v30, v28, s13
	v_mad_u64_u32 v[28:29], s[4:5], v28, s12, 0
	v_add3_u32 v11, v29, v30, v11
	v_sub_co_u32_e32 v28, vcc, v26, v28
	v_mov_b32_e32 v31, v10
	s_nop 0
	v_subb_co_u32_e32 v29, vcc, v27, v11, vcc
	v_lshl_add_u64 v[28:29], v[28:29], 0, v[18:19]
	v_mul_lo_u32 v11, v29, s12
	v_mul_lo_u32 v30, v28, s13
	v_mad_u64_u32 v[28:29], s[4:5], v28, s12, 0
	s_lshl_b64 s[4:5], s[36:37], 8
	s_add_u32 s4, s4, s8
	v_add3_u32 v29, v29, v30, v11
	s_addc_u32 s5, s5, s9
	v_lshl_add_u64 v[28:29], v[28:29], 3, s[4:5]
	v_lshlrev_b32_e32 v30, 3, v0
	v_lshl_add_u64 v[28:29], v[28:29], 0, v[30:31]
	s_cbranch_execnz .LBB107_32
	s_branch .LBB107_47
.LBB107_46:                             ;   in Loop: Header=BB107_34 Depth=2
                                        ; implicit-def: $vgpr28_vgpr29
.LBB107_47:                             ;   in Loop: Header=BB107_34 Depth=2
	v_mov_b32_e32 v11, v32
	v_cmp_ne_u64_e32 vcc, 0, v[10:11]
                                        ; implicit-def: $vgpr28_vgpr29
	s_and_saveexec_b64 s[4:5], vcc
	s_xor_b64 s[42:43], exec, s[4:5]
	s_cbranch_execz .LBB107_49
; %bb.48:                               ;   in Loop: Header=BB107_34 Depth=2
	s_ashr_i32 s4, s13, 31
	s_add_u32 s6, s12, s4
	s_mov_b32 s5, s4
	s_addc_u32 s7, s13, s4
	s_xor_b64 s[44:45], s[6:7], s[4:5]
	v_cvt_f32_u32_e32 v11, s44
	v_cvt_f32_u32_e32 v28, s45
	s_sub_u32 s4, 0, s44
	s_subb_u32 s5, 0, s45
	v_mov_b32_e32 v31, v10
	v_fmac_f32_e32 v11, 0x4f800000, v28
	v_rcp_f32_e32 v11, v11
	s_nop 0
	v_mul_f32_e32 v11, 0x5f7ffffc, v11
	v_mul_f32_e32 v28, 0x2f800000, v11
	v_trunc_f32_e32 v28, v28
	v_fmac_f32_e32 v11, 0xcf800000, v28
	v_cvt_u32_f32_e32 v32, v28
	v_cvt_u32_f32_e32 v11, v11
	v_mul_lo_u32 v28, s4, v32
	v_mul_hi_u32 v30, s4, v11
	v_mul_lo_u32 v29, s5, v11
	v_add_u32_e32 v28, v30, v28
	v_mul_lo_u32 v33, s4, v11
	v_add_u32_e32 v34, v28, v29
	v_mul_hi_u32 v29, v11, v34
	v_mul_lo_u32 v28, v11, v34
	v_mul_hi_u32 v30, v11, v33
	v_lshl_add_u64 v[28:29], v[30:31], 0, v[28:29]
	v_mul_hi_u32 v31, v32, v33
	v_mul_lo_u32 v33, v32, v33
	v_add_co_u32_e32 v28, vcc, v28, v33
	v_mul_hi_u32 v30, v32, v34
	s_nop 0
	v_addc_co_u32_e32 v28, vcc, v29, v31, vcc
	v_mov_b32_e32 v29, v10
	s_nop 0
	v_addc_co_u32_e32 v31, vcc, 0, v30, vcc
	v_mul_lo_u32 v30, v32, v34
	v_lshl_add_u64 v[28:29], v[28:29], 0, v[30:31]
	v_add_co_u32_e32 v11, vcc, v11, v28
	v_mul_lo_u32 v30, s4, v11
	s_nop 0
	v_addc_co_u32_e32 v32, vcc, v32, v29, vcc
	v_mul_lo_u32 v28, s4, v32
	v_mul_hi_u32 v29, s4, v11
	v_add_u32_e32 v28, v29, v28
	v_mul_lo_u32 v29, s5, v11
	v_add_u32_e32 v33, v28, v29
	v_mul_hi_u32 v35, v32, v30
	v_mul_lo_u32 v37, v32, v30
	v_mul_hi_u32 v29, v11, v33
	v_mul_lo_u32 v28, v11, v33
	v_mul_hi_u32 v30, v11, v30
	v_mov_b32_e32 v31, v10
	v_lshl_add_u64 v[28:29], v[30:31], 0, v[28:29]
	v_add_co_u32_e32 v28, vcc, v28, v37
	v_mul_hi_u32 v34, v32, v33
	s_nop 0
	v_addc_co_u32_e32 v28, vcc, v29, v35, vcc
	v_mul_lo_u32 v30, v32, v33
	s_nop 0
	v_addc_co_u32_e32 v31, vcc, 0, v34, vcc
	v_mov_b32_e32 v29, v10
	v_lshl_add_u64 v[28:29], v[28:29], 0, v[30:31]
	v_ashrrev_i32_e32 v30, 31, v27
	v_mov_b32_e32 v31, v30
	v_add_co_u32_e32 v11, vcc, v11, v28
	v_lshl_add_u64 v[26:27], v[26:27], 0, v[30:31]
	s_nop 0
	v_addc_co_u32_e32 v32, vcc, v32, v29, vcc
	v_xor_b32_e32 v34, v26, v30
	v_xor_b32_e32 v31, v27, v30
	v_mad_u64_u32 v[26:27], s[4:5], v34, v32, 0
	v_mul_hi_u32 v28, v34, v11
	v_mov_b32_e32 v29, v10
	v_lshl_add_u64 v[26:27], v[28:29], 0, v[26:27]
	v_mad_u64_u32 v[28:29], s[4:5], v31, v32, 0
	v_mad_u64_u32 v[32:33], s[4:5], v31, v11, 0
	v_add_co_u32_e32 v11, vcc, v26, v32
	s_nop 1
	v_addc_co_u32_e32 v26, vcc, v27, v33, vcc
	v_mov_b32_e32 v27, v10
	s_nop 0
	v_addc_co_u32_e32 v29, vcc, 0, v29, vcc
	v_lshl_add_u64 v[26:27], v[26:27], 0, v[28:29]
	v_mul_lo_u32 v11, s45, v26
	v_mul_lo_u32 v28, s44, v27
	v_mad_u64_u32 v[26:27], s[4:5], s44, v26, 0
	v_add3_u32 v11, v27, v28, v11
	v_sub_u32_e32 v27, v31, v11
	v_mov_b32_e32 v28, s45
	v_sub_co_u32_e32 v26, vcc, v34, v26
	s_nop 1
	v_subb_co_u32_e64 v27, s[4:5], v27, v28, vcc
	v_subrev_co_u32_e64 v29, s[4:5], s44, v26
	v_subb_co_u32_e32 v11, vcc, v31, v11, vcc
	s_nop 0
	v_subbrev_co_u32_e64 v32, s[6:7], 0, v27, s[4:5]
	v_cmp_le_u32_e64 s[6:7], s45, v32
	v_subb_co_u32_e64 v27, s[4:5], v27, v28, s[4:5]
	s_nop 0
	v_cndmask_b32_e64 v33, 0, -1, s[6:7]
	v_cmp_le_u32_e64 s[6:7], s44, v29
	v_subrev_co_u32_e64 v28, s[4:5], s44, v29
	s_nop 0
	v_cndmask_b32_e64 v34, 0, -1, s[6:7]
	v_cmp_eq_u32_e64 s[6:7], s45, v32
	v_subbrev_co_u32_e64 v27, s[4:5], 0, v27, s[4:5]
	s_nop 0
	v_cndmask_b32_e64 v33, v33, v34, s[6:7]
	v_cmp_le_u32_e32 vcc, s45, v11
	v_cmp_ne_u32_e64 s[4:5], 0, v33
	s_nop 0
	v_cndmask_b32_e64 v31, 0, -1, vcc
	v_cmp_le_u32_e32 vcc, s44, v26
	v_cndmask_b32_e64 v27, v32, v27, s[4:5]
	s_nop 0
	v_cndmask_b32_e64 v32, 0, -1, vcc
	v_cmp_eq_u32_e32 vcc, s45, v11
	s_nop 1
	v_cndmask_b32_e32 v31, v31, v32, vcc
	v_cmp_ne_u32_e32 vcc, 0, v31
	s_nop 1
	v_cndmask_b32_e32 v11, v11, v27, vcc
	v_cndmask_b32_e64 v27, v29, v28, s[4:5]
	v_cndmask_b32_e32 v26, v26, v27, vcc
	v_xor_b32_e32 v26, v26, v30
	v_xor_b32_e32 v11, v11, v30
	v_sub_co_u32_e32 v28, vcc, v26, v30
                                        ; implicit-def: $vgpr26_vgpr27
	s_nop 1
	v_subb_co_u32_e32 v29, vcc, v11, v30, vcc
.LBB107_49:                             ;   in Loop: Header=BB107_34 Depth=2
	s_andn2_saveexec_b64 s[4:5], s[42:43]
	s_cbranch_execz .LBB107_31
; %bb.50:                               ;   in Loop: Header=BB107_34 Depth=2
	v_cvt_f32_u32_e32 v11, s12
	s_sub_i32 s6, 0, s12
	v_mov_b32_e32 v29, v10
	v_rcp_iflag_f32_e32 v11, v11
	s_nop 0
	v_mul_f32_e32 v11, 0x4f7ffffe, v11
	v_cvt_u32_f32_e32 v11, v11
	v_mul_lo_u32 v27, s6, v11
	v_mul_hi_u32 v27, v11, v27
	v_add_u32_e32 v11, v11, v27
	v_mul_hi_u32 v11, v26, v11
	v_mul_lo_u32 v11, v11, s12
	v_sub_u32_e32 v11, v26, v11
	v_subrev_u32_e32 v26, s12, v11
	v_cmp_le_u32_e32 vcc, s12, v11
	s_nop 1
	v_cndmask_b32_e32 v11, v11, v26, vcc
	v_subrev_u32_e32 v26, s12, v11
	v_cmp_le_u32_e32 vcc, s12, v11
	s_nop 1
	v_cndmask_b32_e32 v28, v11, v26, vcc
	s_branch .LBB107_31
.LBB107_51:                             ;   in Loop: Header=BB107_10 Depth=1
	s_ashr_i32 s38, s13, 31
	s_add_u32 s4, s12, s38
	s_mov_b32 s39, s38
	s_addc_u32 s5, s13, s38
	s_xor_b64 s[40:41], s[4:5], s[38:39]
	v_cvt_f32_u32_e32 v11, s40
	v_cvt_f32_u32_e32 v18, s41
	s_sub_u32 s4, 0, s40
	s_subb_u32 s5, 0, s41
	v_mov_b32_e32 v21, v10
	v_fmac_f32_e32 v11, 0x4f800000, v18
	v_rcp_f32_e32 v11, v11
	s_nop 0
	v_mul_f32_e32 v11, 0x5f7ffffc, v11
	v_mul_f32_e32 v18, 0x2f800000, v11
	v_trunc_f32_e32 v18, v18
	v_fmac_f32_e32 v11, 0xcf800000, v18
	v_cvt_u32_f32_e32 v22, v18
	v_cvt_u32_f32_e32 v11, v11
	v_mul_lo_u32 v18, s4, v22
	v_mul_hi_u32 v20, s4, v11
	v_mul_lo_u32 v19, s5, v11
	v_add_u32_e32 v18, v20, v18
	v_mul_lo_u32 v23, s4, v11
	v_add_u32_e32 v24, v18, v19
	v_mul_hi_u32 v19, v11, v24
	v_mul_lo_u32 v18, v11, v24
	v_mul_hi_u32 v20, v11, v23
	v_lshl_add_u64 v[18:19], v[20:21], 0, v[18:19]
	v_mul_hi_u32 v21, v22, v23
	v_mul_lo_u32 v23, v22, v23
	v_add_co_u32_e32 v18, vcc, v18, v23
	v_mul_hi_u32 v20, v22, v24
	s_nop 0
	v_addc_co_u32_e32 v18, vcc, v19, v21, vcc
	v_mov_b32_e32 v19, v10
	s_nop 0
	v_addc_co_u32_e32 v21, vcc, 0, v20, vcc
	v_mul_lo_u32 v20, v22, v24
	v_lshl_add_u64 v[18:19], v[18:19], 0, v[20:21]
	v_add_co_u32_e32 v11, vcc, v11, v18
	v_mul_lo_u32 v20, s4, v11
	s_nop 0
	v_addc_co_u32_e32 v22, vcc, v22, v19, vcc
	v_mul_lo_u32 v18, s4, v22
	v_mul_hi_u32 v19, s4, v11
	v_add_u32_e32 v18, v19, v18
	v_mul_lo_u32 v19, s5, v11
	v_add_u32_e32 v23, v18, v19
	v_mul_hi_u32 v25, v22, v20
	v_mul_lo_u32 v26, v22, v20
	v_mul_hi_u32 v19, v11, v23
	v_mul_lo_u32 v18, v11, v23
	v_mul_hi_u32 v20, v11, v20
	v_mov_b32_e32 v21, v10
	v_lshl_add_u64 v[18:19], v[20:21], 0, v[18:19]
	v_add_co_u32_e32 v18, vcc, v18, v26
	v_mul_hi_u32 v24, v22, v23
	s_nop 0
	v_addc_co_u32_e32 v18, vcc, v19, v25, vcc
	v_mul_lo_u32 v20, v22, v23
	s_nop 0
	v_addc_co_u32_e32 v21, vcc, 0, v24, vcc
	v_mov_b32_e32 v19, v10
	v_lshl_add_u64 v[18:19], v[18:19], 0, v[20:21]
	v_add_co_u32_e32 v11, vcc, v11, v18
	v_ashrrev_i32_e32 v18, 31, v17
	s_nop 0
	v_addc_co_u32_e32 v24, vcc, v22, v19, vcc
	v_mov_b32_e32 v19, v18
	v_lshl_add_u64 v[20:21], v[16:17], 0, v[18:19]
	v_xor_b32_e32 v26, v20, v18
	v_xor_b32_e32 v19, v21, v18
	v_mad_u64_u32 v[20:21], s[4:5], v26, v24, 0
	v_mul_hi_u32 v22, v26, v11
	v_mov_b32_e32 v23, v10
	v_lshl_add_u64 v[20:21], v[22:23], 0, v[20:21]
	v_mad_u64_u32 v[22:23], s[4:5], v19, v24, 0
	v_mad_u64_u32 v[24:25], s[4:5], v19, v11, 0
	v_add_co_u32_e32 v11, vcc, v20, v24
	s_nop 1
	v_addc_co_u32_e32 v20, vcc, v21, v25, vcc
	v_mov_b32_e32 v21, v10
	s_nop 0
	v_addc_co_u32_e32 v23, vcc, 0, v23, vcc
	v_lshl_add_u64 v[20:21], v[20:21], 0, v[22:23]
	v_mul_lo_u32 v11, s41, v20
	v_mul_lo_u32 v24, s40, v21
	v_mad_u64_u32 v[22:23], s[4:5], s40, v20, 0
	v_add3_u32 v11, v23, v24, v11
	v_sub_u32_e32 v23, v19, v11
	v_mov_b32_e32 v24, s41
	v_sub_co_u32_e32 v26, vcc, v26, v22
	s_nop 1
	v_subb_co_u32_e64 v22, s[4:5], v23, v24, vcc
	v_subrev_co_u32_e64 v23, s[4:5], s40, v26
	v_subb_co_u32_e32 v11, vcc, v19, v11, vcc
	s_nop 0
	v_subbrev_co_u32_e64 v22, s[4:5], 0, v22, s[4:5]
	v_cmp_le_u32_e64 s[4:5], s41, v22
	v_cmp_le_u32_e32 vcc, s41, v11
	s_nop 0
	v_cndmask_b32_e64 v24, 0, -1, s[4:5]
	v_cmp_le_u32_e64 s[4:5], s40, v23
	v_cndmask_b32_e64 v19, 0, -1, vcc
	v_cmp_le_u32_e32 vcc, s40, v26
	v_cndmask_b32_e64 v23, 0, -1, s[4:5]
	v_cmp_eq_u32_e64 s[4:5], s41, v22
	s_nop 1
	v_cndmask_b32_e64 v27, v24, v23, s[4:5]
	v_lshl_add_u64 v[22:23], v[20:21], 0, 2
	v_lshl_add_u64 v[24:25], v[20:21], 0, 1
	v_cmp_ne_u32_e64 s[4:5], 0, v27
	s_nop 1
	v_cndmask_b32_e64 v23, v25, v23, s[4:5]
	v_cndmask_b32_e64 v25, 0, -1, vcc
	v_cmp_eq_u32_e32 vcc, s41, v11
	s_nop 1
	v_cndmask_b32_e32 v11, v19, v25, vcc
	v_cmp_ne_u32_e32 vcc, 0, v11
	v_cndmask_b32_e64 v19, v24, v22, s[4:5]
	s_nop 0
	v_cndmask_b32_e32 v19, v20, v19, vcc
	v_xor_b32_e32 v20, s38, v18
	v_cndmask_b32_e32 v11, v21, v23, vcc
	v_xor_b32_e32 v18, v19, v20
	v_xor_b32_e32 v11, v11, v20
	v_sub_co_u32_e32 v18, vcc, v18, v20
	s_nop 1
	v_subb_co_u32_e32 v19, vcc, v11, v20, vcc
	s_andn2_saveexec_b64 s[4:5], s[36:37]
	s_cbranch_execz .LBB107_26
.LBB107_52:                             ;   in Loop: Header=BB107_10 Depth=1
	v_cvt_f32_u32_e32 v11, s12
	s_sub_i32 s36, 0, s12
	v_rcp_iflag_f32_e32 v11, v11
	s_nop 0
	v_mul_f32_e32 v11, 0x4f7ffffe, v11
	v_cvt_u32_f32_e32 v11, v11
	v_mul_lo_u32 v18, s36, v11
	v_mul_hi_u32 v18, v11, v18
	v_add_u32_e32 v11, v11, v18
	v_mul_hi_u32 v11, v16, v11
	v_mul_lo_u32 v18, v11, s12
	v_sub_u32_e32 v18, v16, v18
	v_add_u32_e32 v19, 1, v11
	v_subrev_u32_e32 v20, s12, v18
	v_cmp_le_u32_e32 vcc, s12, v18
	s_nop 1
	v_cndmask_b32_e32 v18, v18, v20, vcc
	v_cndmask_b32_e32 v11, v11, v19, vcc
	v_add_u32_e32 v19, 1, v11
	v_cmp_le_u32_e32 vcc, s12, v18
	s_nop 1
	v_cndmask_b32_e32 v18, v11, v19, vcc
	v_mov_b32_e32 v19, v10
	s_or_b64 exec, exec, s[4:5]
	v_cmp_ge_i64_e32 vcc, v[18:19], v[14:15]
	s_and_saveexec_b64 s[4:5], vcc
	s_cbranch_execnz .LBB107_27
	s_branch .LBB107_28
.LBB107_53:
	s_endpgm
	.section	.rodata,"a",@progbits
	.p2align	6, 0x0
	.amdhsa_kernel _ZN9rocsparseL21csr2bsr_65_inf_kernelILj32E21rocsparse_complex_numIfEllEEv20rocsparse_direction_T2_S4_S4_S4_S4_S4_21rocsparse_index_base_PKT0_PKT1_PKS4_S5_PS6_PS9_PS4_SF_SG_SE_
		.amdhsa_group_segment_fixed_size 0
		.amdhsa_private_segment_fixed_size 0
		.amdhsa_kernarg_size 144
		.amdhsa_user_sgpr_count 2
		.amdhsa_user_sgpr_dispatch_ptr 0
		.amdhsa_user_sgpr_queue_ptr 0
		.amdhsa_user_sgpr_kernarg_segment_ptr 1
		.amdhsa_user_sgpr_dispatch_id 0
		.amdhsa_user_sgpr_kernarg_preload_length 0
		.amdhsa_user_sgpr_kernarg_preload_offset 0
		.amdhsa_user_sgpr_private_segment_size 0
		.amdhsa_uses_dynamic_stack 0
		.amdhsa_enable_private_segment 0
		.amdhsa_system_sgpr_workgroup_id_x 1
		.amdhsa_system_sgpr_workgroup_id_y 0
		.amdhsa_system_sgpr_workgroup_id_z 0
		.amdhsa_system_sgpr_workgroup_info 0
		.amdhsa_system_vgpr_workitem_id 0
		.amdhsa_next_free_vgpr 42
		.amdhsa_next_free_sgpr 50
		.amdhsa_accum_offset 44
		.amdhsa_reserve_vcc 1
		.amdhsa_float_round_mode_32 0
		.amdhsa_float_round_mode_16_64 0
		.amdhsa_float_denorm_mode_32 3
		.amdhsa_float_denorm_mode_16_64 3
		.amdhsa_dx10_clamp 1
		.amdhsa_ieee_mode 1
		.amdhsa_fp16_overflow 0
		.amdhsa_tg_split 0
		.amdhsa_exception_fp_ieee_invalid_op 0
		.amdhsa_exception_fp_denorm_src 0
		.amdhsa_exception_fp_ieee_div_zero 0
		.amdhsa_exception_fp_ieee_overflow 0
		.amdhsa_exception_fp_ieee_underflow 0
		.amdhsa_exception_fp_ieee_inexact 0
		.amdhsa_exception_int_div_zero 0
	.end_amdhsa_kernel
	.section	.text._ZN9rocsparseL21csr2bsr_65_inf_kernelILj32E21rocsparse_complex_numIfEllEEv20rocsparse_direction_T2_S4_S4_S4_S4_S4_21rocsparse_index_base_PKT0_PKT1_PKS4_S5_PS6_PS9_PS4_SF_SG_SE_,"axG",@progbits,_ZN9rocsparseL21csr2bsr_65_inf_kernelILj32E21rocsparse_complex_numIfEllEEv20rocsparse_direction_T2_S4_S4_S4_S4_S4_21rocsparse_index_base_PKT0_PKT1_PKS4_S5_PS6_PS9_PS4_SF_SG_SE_,comdat
.Lfunc_end107:
	.size	_ZN9rocsparseL21csr2bsr_65_inf_kernelILj32E21rocsparse_complex_numIfEllEEv20rocsparse_direction_T2_S4_S4_S4_S4_S4_21rocsparse_index_base_PKT0_PKT1_PKS4_S5_PS6_PS9_PS4_SF_SG_SE_, .Lfunc_end107-_ZN9rocsparseL21csr2bsr_65_inf_kernelILj32E21rocsparse_complex_numIfEllEEv20rocsparse_direction_T2_S4_S4_S4_S4_S4_21rocsparse_index_base_PKT0_PKT1_PKS4_S5_PS6_PS9_PS4_SF_SG_SE_
                                        ; -- End function
	.section	.AMDGPU.csdata,"",@progbits
; Kernel info:
; codeLenInByte = 5524
; NumSgprs: 56
; NumVgprs: 42
; NumAgprs: 0
; TotalNumVgprs: 42
; ScratchSize: 0
; MemoryBound: 1
; FloatMode: 240
; IeeeMode: 1
; LDSByteSize: 0 bytes/workgroup (compile time only)
; SGPRBlocks: 6
; VGPRBlocks: 5
; NumSGPRsForWavesPerEU: 56
; NumVGPRsForWavesPerEU: 42
; AccumOffset: 44
; Occupancy: 8
; WaveLimiterHint : 1
; COMPUTE_PGM_RSRC2:SCRATCH_EN: 0
; COMPUTE_PGM_RSRC2:USER_SGPR: 2
; COMPUTE_PGM_RSRC2:TRAP_HANDLER: 0
; COMPUTE_PGM_RSRC2:TGID_X_EN: 1
; COMPUTE_PGM_RSRC2:TGID_Y_EN: 0
; COMPUTE_PGM_RSRC2:TGID_Z_EN: 0
; COMPUTE_PGM_RSRC2:TIDIG_COMP_CNT: 0
; COMPUTE_PGM_RSRC3_GFX90A:ACCUM_OFFSET: 10
; COMPUTE_PGM_RSRC3_GFX90A:TG_SPLIT: 0
	.section	.text._ZN9rocsparseL35csr2bsr_block_dim_equals_one_kernelILj256EdiiEEvT2_S1_S1_S1_21rocsparse_index_base_PKT0_PKT1_PKS1_S2_PS3_PS6_PS1_,"axG",@progbits,_ZN9rocsparseL35csr2bsr_block_dim_equals_one_kernelILj256EdiiEEvT2_S1_S1_S1_21rocsparse_index_base_PKT0_PKT1_PKS1_S2_PS3_PS6_PS1_,comdat
	.globl	_ZN9rocsparseL35csr2bsr_block_dim_equals_one_kernelILj256EdiiEEvT2_S1_S1_S1_21rocsparse_index_base_PKT0_PKT1_PKS1_S2_PS3_PS6_PS1_ ; -- Begin function _ZN9rocsparseL35csr2bsr_block_dim_equals_one_kernelILj256EdiiEEvT2_S1_S1_S1_21rocsparse_index_base_PKT0_PKT1_PKS1_S2_PS3_PS6_PS1_
	.p2align	8
	.type	_ZN9rocsparseL35csr2bsr_block_dim_equals_one_kernelILj256EdiiEEvT2_S1_S1_S1_21rocsparse_index_base_PKT0_PKT1_PKS1_S2_PS3_PS6_PS1_,@function
_ZN9rocsparseL35csr2bsr_block_dim_equals_one_kernelILj256EdiiEEvT2_S1_S1_S1_21rocsparse_index_base_PKT0_PKT1_PKS1_S2_PS3_PS6_PS1_: ; @_ZN9rocsparseL35csr2bsr_block_dim_equals_one_kernelILj256EdiiEEvT2_S1_S1_S1_21rocsparse_index_base_PKT0_PKT1_PKS1_S2_PS3_PS6_PS1_
; %bb.0:
	s_load_dword s8, s[0:1], 0x0
	s_load_dwordx4 s[4:7], s[0:1], 0x18
	v_lshl_or_b32 v0, s2, 8, v0
	s_waitcnt lgkmcnt(0)
	s_ashr_i32 s9, s8, 31
	s_lshl_b64 s[8:9], s[8:9], 2
	s_add_u32 s8, s6, s8
	s_addc_u32 s9, s7, s9
	s_load_dword s3, s[8:9], 0x0
	s_load_dword s10, s[6:7], 0x0
	s_waitcnt lgkmcnt(0)
	s_sub_i32 s10, s3, s10
	v_cmp_gt_i32_e32 vcc, s10, v0
	s_and_saveexec_b64 s[2:3], vcc
	s_cbranch_execz .LBB108_3
; %bb.1:
	s_load_dword s11, s[0:1], 0x30
	s_load_dwordx2 s[2:3], s[0:1], 0x38
	s_load_dword s12, s[0:1], 0x10
	s_load_dword s13, s[0:1], 0x50
	s_load_dwordx2 s[6:7], s[0:1], 0x28
	s_load_dwordx2 s[8:9], s[0:1], 0x48
	s_mov_b64 s[0:1], 0
	s_waitcnt lgkmcnt(0)
	s_sub_i32 s11, s11, s12
	s_lshl_b32 s12, s13, 8
.LBB108_2:                              ; =>This Inner Loop Header: Depth=1
	v_ashrrev_i32_e32 v1, 31, v0
	v_lshlrev_b64 v[2:3], 2, v[0:1]
	v_lshl_add_u64 v[4:5], s[6:7], 0, v[2:3]
	global_load_dword v8, v[4:5], off
	v_lshlrev_b64 v[4:5], 3, v[0:1]
	v_lshl_add_u64 v[6:7], s[4:5], 0, v[4:5]
	global_load_dwordx2 v[6:7], v[6:7], off
	v_add_u32_e32 v0, s12, v0
	v_cmp_le_i32_e32 vcc, s10, v0
	v_lshl_add_u64 v[2:3], s[8:9], 0, v[2:3]
	s_or_b64 s[0:1], vcc, s[0:1]
	v_lshl_add_u64 v[4:5], s[2:3], 0, v[4:5]
	s_waitcnt vmcnt(1)
	v_add_u32_e32 v1, s11, v8
	global_store_dword v[2:3], v1, off
	s_waitcnt vmcnt(1)
	global_store_dwordx2 v[4:5], v[6:7], off
	s_andn2_b64 exec, exec, s[0:1]
	s_cbranch_execnz .LBB108_2
.LBB108_3:
	s_endpgm
	.section	.rodata,"a",@progbits
	.p2align	6, 0x0
	.amdhsa_kernel _ZN9rocsparseL35csr2bsr_block_dim_equals_one_kernelILj256EdiiEEvT2_S1_S1_S1_21rocsparse_index_base_PKT0_PKT1_PKS1_S2_PS3_PS6_PS1_
		.amdhsa_group_segment_fixed_size 0
		.amdhsa_private_segment_fixed_size 0
		.amdhsa_kernarg_size 336
		.amdhsa_user_sgpr_count 2
		.amdhsa_user_sgpr_dispatch_ptr 0
		.amdhsa_user_sgpr_queue_ptr 0
		.amdhsa_user_sgpr_kernarg_segment_ptr 1
		.amdhsa_user_sgpr_dispatch_id 0
		.amdhsa_user_sgpr_kernarg_preload_length 0
		.amdhsa_user_sgpr_kernarg_preload_offset 0
		.amdhsa_user_sgpr_private_segment_size 0
		.amdhsa_uses_dynamic_stack 0
		.amdhsa_enable_private_segment 0
		.amdhsa_system_sgpr_workgroup_id_x 1
		.amdhsa_system_sgpr_workgroup_id_y 0
		.amdhsa_system_sgpr_workgroup_id_z 0
		.amdhsa_system_sgpr_workgroup_info 0
		.amdhsa_system_vgpr_workitem_id 0
		.amdhsa_next_free_vgpr 9
		.amdhsa_next_free_sgpr 14
		.amdhsa_accum_offset 12
		.amdhsa_reserve_vcc 1
		.amdhsa_float_round_mode_32 0
		.amdhsa_float_round_mode_16_64 0
		.amdhsa_float_denorm_mode_32 3
		.amdhsa_float_denorm_mode_16_64 3
		.amdhsa_dx10_clamp 1
		.amdhsa_ieee_mode 1
		.amdhsa_fp16_overflow 0
		.amdhsa_tg_split 0
		.amdhsa_exception_fp_ieee_invalid_op 0
		.amdhsa_exception_fp_denorm_src 0
		.amdhsa_exception_fp_ieee_div_zero 0
		.amdhsa_exception_fp_ieee_overflow 0
		.amdhsa_exception_fp_ieee_underflow 0
		.amdhsa_exception_fp_ieee_inexact 0
		.amdhsa_exception_int_div_zero 0
	.end_amdhsa_kernel
	.section	.text._ZN9rocsparseL35csr2bsr_block_dim_equals_one_kernelILj256EdiiEEvT2_S1_S1_S1_21rocsparse_index_base_PKT0_PKT1_PKS1_S2_PS3_PS6_PS1_,"axG",@progbits,_ZN9rocsparseL35csr2bsr_block_dim_equals_one_kernelILj256EdiiEEvT2_S1_S1_S1_21rocsparse_index_base_PKT0_PKT1_PKS1_S2_PS3_PS6_PS1_,comdat
.Lfunc_end108:
	.size	_ZN9rocsparseL35csr2bsr_block_dim_equals_one_kernelILj256EdiiEEvT2_S1_S1_S1_21rocsparse_index_base_PKT0_PKT1_PKS1_S2_PS3_PS6_PS1_, .Lfunc_end108-_ZN9rocsparseL35csr2bsr_block_dim_equals_one_kernelILj256EdiiEEvT2_S1_S1_S1_21rocsparse_index_base_PKT0_PKT1_PKS1_S2_PS3_PS6_PS1_
                                        ; -- End function
	.section	.AMDGPU.csdata,"",@progbits
; Kernel info:
; codeLenInByte = 264
; NumSgprs: 20
; NumVgprs: 9
; NumAgprs: 0
; TotalNumVgprs: 9
; ScratchSize: 0
; MemoryBound: 0
; FloatMode: 240
; IeeeMode: 1
; LDSByteSize: 0 bytes/workgroup (compile time only)
; SGPRBlocks: 2
; VGPRBlocks: 1
; NumSGPRsForWavesPerEU: 20
; NumVGPRsForWavesPerEU: 9
; AccumOffset: 12
; Occupancy: 8
; WaveLimiterHint : 0
; COMPUTE_PGM_RSRC2:SCRATCH_EN: 0
; COMPUTE_PGM_RSRC2:USER_SGPR: 2
; COMPUTE_PGM_RSRC2:TRAP_HANDLER: 0
; COMPUTE_PGM_RSRC2:TGID_X_EN: 1
; COMPUTE_PGM_RSRC2:TGID_Y_EN: 0
; COMPUTE_PGM_RSRC2:TGID_Z_EN: 0
; COMPUTE_PGM_RSRC2:TIDIG_COMP_CNT: 0
; COMPUTE_PGM_RSRC3_GFX90A:ACCUM_OFFSET: 2
; COMPUTE_PGM_RSRC3_GFX90A:TG_SPLIT: 0
	.section	.text._ZN9rocsparseL42csr2bsr_wavefront_per_row_multipass_kernelILj256ELj16ELj4EdiiEEv20rocsparse_direction_T4_S2_S2_S2_S2_21rocsparse_index_base_PKT2_PKT3_PKS2_S3_PS4_PS7_PS2_,"axG",@progbits,_ZN9rocsparseL42csr2bsr_wavefront_per_row_multipass_kernelILj256ELj16ELj4EdiiEEv20rocsparse_direction_T4_S2_S2_S2_S2_21rocsparse_index_base_PKT2_PKT3_PKS2_S3_PS4_PS7_PS2_,comdat
	.globl	_ZN9rocsparseL42csr2bsr_wavefront_per_row_multipass_kernelILj256ELj16ELj4EdiiEEv20rocsparse_direction_T4_S2_S2_S2_S2_21rocsparse_index_base_PKT2_PKT3_PKS2_S3_PS4_PS7_PS2_ ; -- Begin function _ZN9rocsparseL42csr2bsr_wavefront_per_row_multipass_kernelILj256ELj16ELj4EdiiEEv20rocsparse_direction_T4_S2_S2_S2_S2_21rocsparse_index_base_PKT2_PKT3_PKS2_S3_PS4_PS7_PS2_
	.p2align	8
	.type	_ZN9rocsparseL42csr2bsr_wavefront_per_row_multipass_kernelILj256ELj16ELj4EdiiEEv20rocsparse_direction_T4_S2_S2_S2_S2_21rocsparse_index_base_PKT2_PKT3_PKS2_S3_PS4_PS7_PS2_,@function
_ZN9rocsparseL42csr2bsr_wavefront_per_row_multipass_kernelILj256ELj16ELj4EdiiEEv20rocsparse_direction_T4_S2_S2_S2_S2_21rocsparse_index_base_PKT2_PKT3_PKS2_S3_PS4_PS7_PS2_: ; @_ZN9rocsparseL42csr2bsr_wavefront_per_row_multipass_kernelILj256ELj16ELj4EdiiEEv20rocsparse_direction_T4_S2_S2_S2_S2_21rocsparse_index_base_PKT2_PKT3_PKS2_S3_PS4_PS7_PS2_
; %bb.0:
	s_load_dwordx2 s[14:15], s[0:1], 0x0
	s_load_dwordx4 s[4:7], s[0:1], 0xc
	s_load_dwordx2 s[8:9], s[0:1], 0x28
	v_lshrrev_b32_e32 v8, 4, v0
	v_bfe_u32 v4, v0, 2, 2
	v_lshl_or_b32 v6, s2, 4, v8
	s_waitcnt lgkmcnt(0)
	v_mad_u64_u32 v[2:3], s[2:3], v6, s6, v[4:5]
	v_cmp_gt_i32_e64 s[2:3], s15, v2
	v_cmp_gt_i32_e32 vcc, s6, v4
	s_and_b64 s[2:3], vcc, s[2:3]
	v_mov_b32_e32 v9, 0
	v_mov_b32_e32 v17, 0
	s_and_saveexec_b64 s[10:11], s[2:3]
	s_cbranch_execz .LBB109_2
; %bb.1:
	v_ashrrev_i32_e32 v3, 31, v2
	v_lshl_add_u64 v[10:11], v[2:3], 2, s[8:9]
	global_load_dword v1, v[10:11], off
	s_waitcnt vmcnt(0)
	v_subrev_u32_e32 v17, s7, v1
.LBB109_2:
	s_or_b64 exec, exec, s[10:11]
	s_and_saveexec_b64 s[10:11], s[2:3]
	s_cbranch_execz .LBB109_4
; %bb.3:
	v_ashrrev_i32_e32 v3, 31, v2
	v_lshl_add_u64 v[2:3], v[2:3], 2, s[8:9]
	global_load_dword v1, v[2:3], off offset:4
	s_waitcnt vmcnt(0)
	v_subrev_u32_e32 v9, s7, v1
.LBB109_4:
	s_or_b64 exec, exec, s[10:11]
	s_load_dword s20, s[0:1], 0x38
	v_cmp_gt_i32_e64 s[2:3], s4, v6
	v_mov_b32_e32 v2, 0
	s_and_saveexec_b64 s[8:9], s[2:3]
	s_cbranch_execz .LBB109_6
; %bb.5:
	s_load_dwordx2 s[2:3], s[0:1], 0x48
	v_ashrrev_i32_e32 v7, 31, v6
	s_waitcnt lgkmcnt(0)
	v_lshl_add_u64 v[2:3], v[6:7], 2, s[2:3]
	global_load_dword v1, v[2:3], off
	s_waitcnt vmcnt(0)
	v_subrev_u32_e32 v2, s20, v1
.LBB109_6:
	s_or_b64 exec, exec, s[8:9]
	s_cmp_lt_i32 s5, 1
	s_cbranch_scc1 .LBB109_21
; %bb.7:
	v_and_b32_e32 v10, 3, v0
	s_load_dwordx2 s[2:3], s[0:1], 0x20
	s_load_dwordx2 s[8:9], s[0:1], 0x50
	;; [unrolled: 1-line block ×4, first 2 shown]
	v_cmp_gt_u32_e64 s[0:1], s6, v10
	s_and_b64 s[12:13], vcc, s[0:1]
	s_cmp_eq_u32 s14, 0
	s_cselect_b64 vcc, -1, 0
	s_abs_i32 s4, s6
	v_cvt_f32_u32_e32 v3, s4
	v_and_b32_e32 v0, 0xf0, v0
	v_lshl_or_b32 v11, v4, 2, v0
	v_or_b32_e32 v0, v11, v10
	v_lshlrev_b32_e32 v12, 3, v0
	v_mov_b32_e32 v0, 0
	v_rcp_iflag_f32_e32 v3, v3
	v_mbcnt_lo_u32_b32 v1, -1, 0
	v_mul_lo_u32 v6, v10, s6
	v_mov_b32_e32 v7, v0
	v_mbcnt_hi_u32_b32 v1, -1, v1
	s_waitcnt lgkmcnt(0)
	v_lshl_add_u64 v[6:7], v[6:7], 3, s[16:17]
	v_lshlrev_b32_e32 v14, 3, v4
	v_mov_b32_e32 v15, v0
	v_mul_lo_u32 v4, v4, s6
	v_mov_b32_e32 v5, v0
	v_lshl_add_u64 v[6:7], v[6:7], 0, v[14:15]
	v_lshl_add_u64 v[4:5], v[4:5], 3, s[16:17]
	v_lshlrev_b32_e32 v14, 3, v10
	v_lshlrev_b32_e32 v1, 2, v1
	v_lshl_add_u64 v[4:5], v[4:5], 0, v[14:15]
	v_or_b32_e32 v13, 12, v1
	v_or_b32_e32 v14, 60, v1
	v_mul_f32_e32 v1, 0x4f7ffffe, v3
	v_cvt_u32_f32_e32 v1, v1
	s_sub_i32 s0, 0, s4
	s_mul_hi_u32 s21, s6, s6
	s_mul_i32 s22, s6, s6
	v_mul_lo_u32 v3, s0, v1
	v_mul_hi_u32 v3, v1, v3
	v_cndmask_b32_e32 v5, v7, v5, vcc
	v_cndmask_b32_e32 v4, v6, v4, vcc
	s_ashr_i32 s23, s6, 31
	v_add_u32_e32 v15, v1, v3
	s_mov_b64 s[14:15], 0
	v_mov_b32_e32 v1, v0
	v_mov_b32_e32 v16, 1
	;; [unrolled: 1-line block ×3, first 2 shown]
	s_branch .LBB109_10
.LBB109_8:                              ;   in Loop: Header=BB109_10 Depth=1
	s_or_b64 exec, exec, s[16:17]
	v_mov_b32_e32 v6, 1
.LBB109_9:                              ;   in Loop: Header=BB109_10 Depth=1
	s_or_b64 exec, exec, s[0:1]
	v_mov_b32_dpp v3, v18 row_shr:1 row_mask:0xf bank_mask:0xf
	v_min_i32_e32 v3, v3, v18
	v_add_u32_e32 v2, v6, v2
	s_waitcnt lgkmcnt(0)
	v_mov_b32_dpp v7, v3 row_shr:2 row_mask:0xf bank_mask:0xf
	v_min_i32_e32 v3, v7, v3
	s_nop 1
	v_mov_b32_dpp v7, v3 row_shr:4 row_mask:0xf bank_mask:0xe
	v_min_i32_e32 v3, v7, v3
	s_nop 1
	v_mov_b32_dpp v7, v3 row_shr:8 row_mask:0xf bank_mask:0xc
	v_min_i32_e32 v3, v7, v3
	ds_bpermute_b32 v3, v14, v3
	s_waitcnt lgkmcnt(0)
	v_cmp_le_i32_e32 vcc, s5, v3
	s_or_b64 s[14:15], vcc, s[14:15]
	s_andn2_b64 exec, exec, s[14:15]
	s_cbranch_execz .LBB109_21
.LBB109_10:                             ; =>This Loop Header: Depth=1
                                        ;     Child Loop BB109_13 Depth 2
	v_add_u32_e32 v6, v17, v10
	v_cmp_lt_i32_e32 vcc, v6, v9
	v_mov_b32_e32 v18, s5
	v_mov_b32_e32 v19, v9
	ds_write_b8 v8, v0 offset:2048
	ds_write_b64 v12, v[0:1]
	s_waitcnt lgkmcnt(0)
	s_and_saveexec_b64 s[16:17], vcc
	s_cbranch_execz .LBB109_18
; %bb.11:                               ;   in Loop: Header=BB109_10 Depth=1
	v_mul_lo_u32 v17, v3, s6
	s_mov_b64 s[18:19], 0
	v_mov_b32_e32 v18, s5
	v_mov_b32_e32 v19, v9
	s_branch .LBB109_13
.LBB109_12:                             ;   in Loop: Header=BB109_13 Depth=2
	s_or_b64 exec, exec, s[0:1]
	v_add_u32_e32 v6, 4, v6
	v_cmp_ge_i32_e64 s[0:1], v6, v9
	s_xor_b64 s[24:25], vcc, -1
	s_or_b64 s[0:1], s[24:25], s[0:1]
	s_and_b64 s[0:1], exec, s[0:1]
	s_or_b64 s[18:19], s[0:1], s[18:19]
	s_andn2_b64 exec, exec, s[18:19]
	s_cbranch_execz .LBB109_17
.LBB109_13:                             ;   Parent Loop BB109_10 Depth=1
                                        ; =>  This Inner Loop Header: Depth=2
	v_ashrrev_i32_e32 v7, 31, v6
	v_lshl_add_u64 v[20:21], v[6:7], 2, s[10:11]
	global_load_dword v20, v[20:21], off
	s_waitcnt vmcnt(0)
	v_subrev_u32_e32 v20, s7, v20
	v_sub_u32_e32 v22, 0, v20
	v_max_i32_e32 v22, v20, v22
	v_mul_hi_u32 v23, v22, v15
	v_mul_lo_u32 v24, v23, s4
	v_sub_u32_e32 v22, v22, v24
	v_add_u32_e32 v25, 1, v23
	v_cmp_le_u32_e32 vcc, s4, v22
	v_subrev_u32_e32 v24, s4, v22
	v_ashrrev_i32_e32 v21, 31, v20
	v_cndmask_b32_e32 v23, v23, v25, vcc
	v_cndmask_b32_e32 v22, v22, v24, vcc
	v_add_u32_e32 v24, 1, v23
	v_cmp_le_u32_e32 vcc, s4, v22
	v_xor_b32_e32 v21, s23, v21
	s_nop 0
	v_cndmask_b32_e32 v22, v23, v24, vcc
	v_xor_b32_e32 v22, v22, v21
	v_sub_u32_e32 v22, v22, v21
	v_cmp_eq_u32_e32 vcc, v22, v3
	v_cmp_ne_u32_e64 s[0:1], v22, v3
	v_mov_b32_e32 v21, v19
	s_and_saveexec_b64 s[24:25], s[0:1]
	s_xor_b64 s[0:1], exec, s[24:25]
; %bb.14:                               ;   in Loop: Header=BB109_13 Depth=2
	v_min_i32_e32 v18, v22, v18
                                        ; implicit-def: $vgpr20
                                        ; implicit-def: $vgpr21
; %bb.15:                               ;   in Loop: Header=BB109_13 Depth=2
	s_or_saveexec_b64 s[0:1], s[0:1]
	v_mov_b32_e32 v19, v6
	s_xor_b64 exec, exec, s[0:1]
	s_cbranch_execz .LBB109_12
; %bb.16:                               ;   in Loop: Header=BB109_13 Depth=2
	v_lshl_add_u64 v[22:23], v[6:7], 3, s[2:3]
	global_load_dwordx2 v[22:23], v[22:23], off
	v_sub_u32_e32 v7, v20, v17
	v_add_lshl_u32 v7, v7, v11, 3
	v_mov_b32_e32 v19, v21
	ds_write_b8 v8, v16 offset:2048
	s_waitcnt vmcnt(0)
	ds_write_b64 v7, v[22:23]
	s_branch .LBB109_12
.LBB109_17:                             ;   in Loop: Header=BB109_10 Depth=1
	s_or_b64 exec, exec, s[18:19]
.LBB109_18:                             ;   in Loop: Header=BB109_10 Depth=1
	s_or_b64 exec, exec, s[16:17]
	v_mov_b32_dpp v6, v19 row_shr:1 row_mask:0xf bank_mask:0xf
	v_min_i32_e32 v6, v6, v19
	s_waitcnt lgkmcnt(0)
	ds_read_u8 v7, v8 offset:2048
	v_mov_b32_dpp v17, v6 row_shr:2 row_mask:0xf bank_mask:0xf
	v_min_i32_e32 v6, v17, v6
	ds_bpermute_b32 v17, v13, v6
	s_waitcnt lgkmcnt(1)
	v_and_b32_e32 v6, 1, v7
	v_cmp_eq_u32_e32 vcc, 1, v6
	v_mov_b32_e32 v6, 0
	s_and_saveexec_b64 s[0:1], vcc
	s_cbranch_execz .LBB109_9
; %bb.19:                               ;   in Loop: Header=BB109_10 Depth=1
	v_add_u32_e32 v19, s20, v3
	v_ashrrev_i32_e32 v3, 31, v2
	v_lshl_add_u64 v[6:7], v[2:3], 2, s[8:9]
	global_store_dword v[6:7], v19, off
	s_and_saveexec_b64 s[16:17], s[12:13]
	s_cbranch_execz .LBB109_8
; %bb.20:                               ;   in Loop: Header=BB109_10 Depth=1
	ds_read_b64 v[6:7], v12
	v_mul_lo_u32 v19, s21, v2
	v_mul_lo_u32 v3, s22, v3
	v_mad_u64_u32 v[20:21], s[18:19], s22, v2, 0
	v_add3_u32 v21, v21, v3, v19
	v_lshl_add_u64 v[20:21], v[20:21], 3, v[4:5]
	s_waitcnt lgkmcnt(0)
	global_store_dwordx2 v[20:21], v[6:7], off
	s_branch .LBB109_8
.LBB109_21:
	s_endpgm
	.section	.rodata,"a",@progbits
	.p2align	6, 0x0
	.amdhsa_kernel _ZN9rocsparseL42csr2bsr_wavefront_per_row_multipass_kernelILj256ELj16ELj4EdiiEEv20rocsparse_direction_T4_S2_S2_S2_S2_21rocsparse_index_base_PKT2_PKT3_PKS2_S3_PS4_PS7_PS2_
		.amdhsa_group_segment_fixed_size 2064
		.amdhsa_private_segment_fixed_size 0
		.amdhsa_kernarg_size 88
		.amdhsa_user_sgpr_count 2
		.amdhsa_user_sgpr_dispatch_ptr 0
		.amdhsa_user_sgpr_queue_ptr 0
		.amdhsa_user_sgpr_kernarg_segment_ptr 1
		.amdhsa_user_sgpr_dispatch_id 0
		.amdhsa_user_sgpr_kernarg_preload_length 0
		.amdhsa_user_sgpr_kernarg_preload_offset 0
		.amdhsa_user_sgpr_private_segment_size 0
		.amdhsa_uses_dynamic_stack 0
		.amdhsa_enable_private_segment 0
		.amdhsa_system_sgpr_workgroup_id_x 1
		.amdhsa_system_sgpr_workgroup_id_y 0
		.amdhsa_system_sgpr_workgroup_id_z 0
		.amdhsa_system_sgpr_workgroup_info 0
		.amdhsa_system_vgpr_workitem_id 0
		.amdhsa_next_free_vgpr 26
		.amdhsa_next_free_sgpr 26
		.amdhsa_accum_offset 28
		.amdhsa_reserve_vcc 1
		.amdhsa_float_round_mode_32 0
		.amdhsa_float_round_mode_16_64 0
		.amdhsa_float_denorm_mode_32 3
		.amdhsa_float_denorm_mode_16_64 3
		.amdhsa_dx10_clamp 1
		.amdhsa_ieee_mode 1
		.amdhsa_fp16_overflow 0
		.amdhsa_tg_split 0
		.amdhsa_exception_fp_ieee_invalid_op 0
		.amdhsa_exception_fp_denorm_src 0
		.amdhsa_exception_fp_ieee_div_zero 0
		.amdhsa_exception_fp_ieee_overflow 0
		.amdhsa_exception_fp_ieee_underflow 0
		.amdhsa_exception_fp_ieee_inexact 0
		.amdhsa_exception_int_div_zero 0
	.end_amdhsa_kernel
	.section	.text._ZN9rocsparseL42csr2bsr_wavefront_per_row_multipass_kernelILj256ELj16ELj4EdiiEEv20rocsparse_direction_T4_S2_S2_S2_S2_21rocsparse_index_base_PKT2_PKT3_PKS2_S3_PS4_PS7_PS2_,"axG",@progbits,_ZN9rocsparseL42csr2bsr_wavefront_per_row_multipass_kernelILj256ELj16ELj4EdiiEEv20rocsparse_direction_T4_S2_S2_S2_S2_21rocsparse_index_base_PKT2_PKT3_PKS2_S3_PS4_PS7_PS2_,comdat
.Lfunc_end109:
	.size	_ZN9rocsparseL42csr2bsr_wavefront_per_row_multipass_kernelILj256ELj16ELj4EdiiEEv20rocsparse_direction_T4_S2_S2_S2_S2_21rocsparse_index_base_PKT2_PKT3_PKS2_S3_PS4_PS7_PS2_, .Lfunc_end109-_ZN9rocsparseL42csr2bsr_wavefront_per_row_multipass_kernelILj256ELj16ELj4EdiiEEv20rocsparse_direction_T4_S2_S2_S2_S2_21rocsparse_index_base_PKT2_PKT3_PKS2_S3_PS4_PS7_PS2_
                                        ; -- End function
	.section	.AMDGPU.csdata,"",@progbits
; Kernel info:
; codeLenInByte = 1108
; NumSgprs: 32
; NumVgprs: 26
; NumAgprs: 0
; TotalNumVgprs: 26
; ScratchSize: 0
; MemoryBound: 0
; FloatMode: 240
; IeeeMode: 1
; LDSByteSize: 2064 bytes/workgroup (compile time only)
; SGPRBlocks: 3
; VGPRBlocks: 3
; NumSGPRsForWavesPerEU: 32
; NumVGPRsForWavesPerEU: 26
; AccumOffset: 28
; Occupancy: 8
; WaveLimiterHint : 0
; COMPUTE_PGM_RSRC2:SCRATCH_EN: 0
; COMPUTE_PGM_RSRC2:USER_SGPR: 2
; COMPUTE_PGM_RSRC2:TRAP_HANDLER: 0
; COMPUTE_PGM_RSRC2:TGID_X_EN: 1
; COMPUTE_PGM_RSRC2:TGID_Y_EN: 0
; COMPUTE_PGM_RSRC2:TGID_Z_EN: 0
; COMPUTE_PGM_RSRC2:TIDIG_COMP_CNT: 0
; COMPUTE_PGM_RSRC3_GFX90A:ACCUM_OFFSET: 6
; COMPUTE_PGM_RSRC3_GFX90A:TG_SPLIT: 0
	.section	.text._ZN9rocsparseL42csr2bsr_wavefront_per_row_multipass_kernelILj256ELj64ELj8EdiiEEv20rocsparse_direction_T4_S2_S2_S2_S2_21rocsparse_index_base_PKT2_PKT3_PKS2_S3_PS4_PS7_PS2_,"axG",@progbits,_ZN9rocsparseL42csr2bsr_wavefront_per_row_multipass_kernelILj256ELj64ELj8EdiiEEv20rocsparse_direction_T4_S2_S2_S2_S2_21rocsparse_index_base_PKT2_PKT3_PKS2_S3_PS4_PS7_PS2_,comdat
	.globl	_ZN9rocsparseL42csr2bsr_wavefront_per_row_multipass_kernelILj256ELj64ELj8EdiiEEv20rocsparse_direction_T4_S2_S2_S2_S2_21rocsparse_index_base_PKT2_PKT3_PKS2_S3_PS4_PS7_PS2_ ; -- Begin function _ZN9rocsparseL42csr2bsr_wavefront_per_row_multipass_kernelILj256ELj64ELj8EdiiEEv20rocsparse_direction_T4_S2_S2_S2_S2_21rocsparse_index_base_PKT2_PKT3_PKS2_S3_PS4_PS7_PS2_
	.p2align	8
	.type	_ZN9rocsparseL42csr2bsr_wavefront_per_row_multipass_kernelILj256ELj64ELj8EdiiEEv20rocsparse_direction_T4_S2_S2_S2_S2_21rocsparse_index_base_PKT2_PKT3_PKS2_S3_PS4_PS7_PS2_,@function
_ZN9rocsparseL42csr2bsr_wavefront_per_row_multipass_kernelILj256ELj64ELj8EdiiEEv20rocsparse_direction_T4_S2_S2_S2_S2_21rocsparse_index_base_PKT2_PKT3_PKS2_S3_PS4_PS7_PS2_: ; @_ZN9rocsparseL42csr2bsr_wavefront_per_row_multipass_kernelILj256ELj64ELj8EdiiEEv20rocsparse_direction_T4_S2_S2_S2_S2_21rocsparse_index_base_PKT2_PKT3_PKS2_S3_PS4_PS7_PS2_
; %bb.0:
	s_load_dwordx2 s[14:15], s[0:1], 0x0
	s_load_dwordx4 s[4:7], s[0:1], 0xc
	s_load_dwordx2 s[8:9], s[0:1], 0x28
	v_lshrrev_b32_e32 v8, 6, v0
	v_bfe_u32 v4, v0, 3, 3
	v_lshl_or_b32 v6, s2, 2, v8
	s_waitcnt lgkmcnt(0)
	v_mad_u64_u32 v[2:3], s[2:3], v6, s6, v[4:5]
	v_cmp_gt_i32_e64 s[2:3], s15, v2
	v_cmp_gt_i32_e32 vcc, s6, v4
	s_and_b64 s[2:3], vcc, s[2:3]
	v_mov_b32_e32 v9, 0
	v_mov_b32_e32 v17, 0
	s_and_saveexec_b64 s[10:11], s[2:3]
	s_cbranch_execz .LBB110_2
; %bb.1:
	v_ashrrev_i32_e32 v3, 31, v2
	v_lshl_add_u64 v[10:11], v[2:3], 2, s[8:9]
	global_load_dword v1, v[10:11], off
	s_waitcnt vmcnt(0)
	v_subrev_u32_e32 v17, s7, v1
.LBB110_2:
	s_or_b64 exec, exec, s[10:11]
	s_and_saveexec_b64 s[10:11], s[2:3]
	s_cbranch_execz .LBB110_4
; %bb.3:
	v_ashrrev_i32_e32 v3, 31, v2
	v_lshl_add_u64 v[2:3], v[2:3], 2, s[8:9]
	global_load_dword v1, v[2:3], off offset:4
	s_waitcnt vmcnt(0)
	v_subrev_u32_e32 v9, s7, v1
.LBB110_4:
	s_or_b64 exec, exec, s[10:11]
	s_load_dword s20, s[0:1], 0x38
	v_cmp_gt_i32_e64 s[2:3], s4, v6
	v_mov_b32_e32 v2, 0
	s_and_saveexec_b64 s[8:9], s[2:3]
	s_cbranch_execz .LBB110_6
; %bb.5:
	s_load_dwordx2 s[2:3], s[0:1], 0x48
	v_ashrrev_i32_e32 v7, 31, v6
	s_waitcnt lgkmcnt(0)
	v_lshl_add_u64 v[2:3], v[6:7], 2, s[2:3]
	global_load_dword v1, v[2:3], off
	s_waitcnt vmcnt(0)
	v_subrev_u32_e32 v2, s20, v1
.LBB110_6:
	s_or_b64 exec, exec, s[8:9]
	s_cmp_lt_i32 s5, 1
	s_cbranch_scc1 .LBB110_21
; %bb.7:
	s_load_dwordx2 s[2:3], s[0:1], 0x20
	s_load_dwordx2 s[8:9], s[0:1], 0x50
	;; [unrolled: 1-line block ×4, first 2 shown]
	v_and_b32_e32 v10, 7, v0
	v_lshlrev_b32_e32 v6, 3, v4
	s_movk_i32 s0, 0xc0
	v_and_or_b32 v11, v0, s0, v6
	v_cmp_gt_u32_e64 s[0:1], s6, v10
	s_and_b64 s[12:13], vcc, s[0:1]
	s_cmp_eq_u32 s14, 0
	s_cselect_b64 vcc, -1, 0
	s_abs_i32 s4, s6
	v_cvt_f32_u32_e32 v3, s4
	v_or_b32_e32 v0, v11, v10
	v_lshlrev_b32_e32 v12, 3, v0
	v_mov_b32_e32 v0, 0
	v_rcp_iflag_f32_e32 v3, v3
	v_mbcnt_lo_u32_b32 v1, -1, 0
	v_mul_lo_u32 v14, v10, s6
	v_mov_b32_e32 v15, v0
	v_mbcnt_hi_u32_b32 v1, -1, v1
	s_waitcnt lgkmcnt(0)
	v_lshl_add_u64 v[14:15], v[14:15], 3, s[16:17]
	v_mov_b32_e32 v7, v0
	v_mul_lo_u32 v4, v4, s6
	v_mov_b32_e32 v5, v0
	v_lshl_add_u64 v[6:7], v[14:15], 0, v[6:7]
	v_lshl_add_u64 v[4:5], v[4:5], 3, s[16:17]
	v_lshlrev_b32_e32 v14, 3, v10
	v_mov_b32_e32 v15, v0
	v_lshlrev_b32_e32 v1, 2, v1
	v_lshl_add_u64 v[4:5], v[4:5], 0, v[14:15]
	v_or_b32_e32 v13, 28, v1
	v_or_b32_e32 v14, 0xfc, v1
	v_mul_f32_e32 v1, 0x4f7ffffe, v3
	v_cvt_u32_f32_e32 v1, v1
	s_sub_i32 s0, 0, s4
	s_mul_hi_u32 s21, s6, s6
	s_mul_i32 s22, s6, s6
	v_mul_lo_u32 v3, s0, v1
	v_mul_hi_u32 v3, v1, v3
	v_cndmask_b32_e32 v5, v7, v5, vcc
	v_cndmask_b32_e32 v4, v6, v4, vcc
	s_ashr_i32 s23, s6, 31
	v_add_u32_e32 v15, v1, v3
	s_mov_b64 s[14:15], 0
	v_mov_b32_e32 v1, v0
	v_mov_b32_e32 v16, 1
	;; [unrolled: 1-line block ×3, first 2 shown]
	s_branch .LBB110_10
.LBB110_8:                              ;   in Loop: Header=BB110_10 Depth=1
	s_or_b64 exec, exec, s[16:17]
	v_mov_b32_e32 v6, 1
.LBB110_9:                              ;   in Loop: Header=BB110_10 Depth=1
	s_or_b64 exec, exec, s[0:1]
	v_mov_b32_dpp v3, v18 row_shr:1 row_mask:0xf bank_mask:0xf
	v_min_i32_e32 v3, v3, v18
	v_add_u32_e32 v2, v6, v2
	s_waitcnt lgkmcnt(0)
	v_mov_b32_dpp v7, v3 row_shr:2 row_mask:0xf bank_mask:0xf
	v_min_i32_e32 v3, v7, v3
	s_nop 1
	v_mov_b32_dpp v7, v3 row_shr:4 row_mask:0xf bank_mask:0xe
	v_min_i32_e32 v3, v7, v3
	s_nop 1
	;; [unrolled: 3-line block ×3, first 2 shown]
	v_mov_b32_dpp v7, v3 row_bcast:15 row_mask:0xa bank_mask:0xf
	v_min_i32_e32 v3, v7, v3
	s_nop 1
	v_mov_b32_dpp v7, v3 row_bcast:31 row_mask:0xc bank_mask:0xf
	v_min_i32_e32 v3, v7, v3
	ds_bpermute_b32 v3, v14, v3
	s_waitcnt lgkmcnt(0)
	v_cmp_le_i32_e32 vcc, s5, v3
	s_or_b64 s[14:15], vcc, s[14:15]
	s_andn2_b64 exec, exec, s[14:15]
	s_cbranch_execz .LBB110_21
.LBB110_10:                             ; =>This Loop Header: Depth=1
                                        ;     Child Loop BB110_13 Depth 2
	v_add_u32_e32 v6, v17, v10
	v_cmp_lt_i32_e32 vcc, v6, v9
	v_mov_b32_e32 v18, s5
	v_mov_b32_e32 v19, v9
	ds_write_b8 v8, v0 offset:2048
	ds_write_b64 v12, v[0:1]
	s_waitcnt lgkmcnt(0)
	s_and_saveexec_b64 s[16:17], vcc
	s_cbranch_execz .LBB110_18
; %bb.11:                               ;   in Loop: Header=BB110_10 Depth=1
	v_mul_lo_u32 v17, v3, s6
	s_mov_b64 s[18:19], 0
	v_mov_b32_e32 v18, s5
	v_mov_b32_e32 v19, v9
	s_branch .LBB110_13
.LBB110_12:                             ;   in Loop: Header=BB110_13 Depth=2
	s_or_b64 exec, exec, s[0:1]
	v_add_u32_e32 v6, 8, v6
	v_cmp_ge_i32_e64 s[0:1], v6, v9
	s_xor_b64 s[24:25], vcc, -1
	s_or_b64 s[0:1], s[24:25], s[0:1]
	s_and_b64 s[0:1], exec, s[0:1]
	s_or_b64 s[18:19], s[0:1], s[18:19]
	s_andn2_b64 exec, exec, s[18:19]
	s_cbranch_execz .LBB110_17
.LBB110_13:                             ;   Parent Loop BB110_10 Depth=1
                                        ; =>  This Inner Loop Header: Depth=2
	v_ashrrev_i32_e32 v7, 31, v6
	v_lshl_add_u64 v[20:21], v[6:7], 2, s[10:11]
	global_load_dword v20, v[20:21], off
	s_waitcnt vmcnt(0)
	v_subrev_u32_e32 v20, s7, v20
	v_sub_u32_e32 v22, 0, v20
	v_max_i32_e32 v22, v20, v22
	v_mul_hi_u32 v23, v22, v15
	v_mul_lo_u32 v24, v23, s4
	v_sub_u32_e32 v22, v22, v24
	v_add_u32_e32 v25, 1, v23
	v_cmp_le_u32_e32 vcc, s4, v22
	v_subrev_u32_e32 v24, s4, v22
	v_ashrrev_i32_e32 v21, 31, v20
	v_cndmask_b32_e32 v23, v23, v25, vcc
	v_cndmask_b32_e32 v22, v22, v24, vcc
	v_add_u32_e32 v24, 1, v23
	v_cmp_le_u32_e32 vcc, s4, v22
	v_xor_b32_e32 v21, s23, v21
	s_nop 0
	v_cndmask_b32_e32 v22, v23, v24, vcc
	v_xor_b32_e32 v22, v22, v21
	v_sub_u32_e32 v22, v22, v21
	v_cmp_eq_u32_e32 vcc, v22, v3
	v_cmp_ne_u32_e64 s[0:1], v22, v3
	v_mov_b32_e32 v21, v19
	s_and_saveexec_b64 s[24:25], s[0:1]
	s_xor_b64 s[0:1], exec, s[24:25]
; %bb.14:                               ;   in Loop: Header=BB110_13 Depth=2
	v_min_i32_e32 v18, v22, v18
                                        ; implicit-def: $vgpr20
                                        ; implicit-def: $vgpr21
; %bb.15:                               ;   in Loop: Header=BB110_13 Depth=2
	s_or_saveexec_b64 s[0:1], s[0:1]
	v_mov_b32_e32 v19, v6
	s_xor_b64 exec, exec, s[0:1]
	s_cbranch_execz .LBB110_12
; %bb.16:                               ;   in Loop: Header=BB110_13 Depth=2
	v_lshl_add_u64 v[22:23], v[6:7], 3, s[2:3]
	global_load_dwordx2 v[22:23], v[22:23], off
	v_sub_u32_e32 v7, v20, v17
	v_add_lshl_u32 v7, v7, v11, 3
	v_mov_b32_e32 v19, v21
	ds_write_b8 v8, v16 offset:2048
	s_waitcnt vmcnt(0)
	ds_write_b64 v7, v[22:23]
	s_branch .LBB110_12
.LBB110_17:                             ;   in Loop: Header=BB110_10 Depth=1
	s_or_b64 exec, exec, s[18:19]
.LBB110_18:                             ;   in Loop: Header=BB110_10 Depth=1
	s_or_b64 exec, exec, s[16:17]
	v_mov_b32_dpp v6, v19 row_shr:1 row_mask:0xf bank_mask:0xf
	v_min_i32_e32 v6, v6, v19
	s_waitcnt lgkmcnt(0)
	s_nop 0
	v_mov_b32_dpp v7, v6 row_shr:2 row_mask:0xf bank_mask:0xf
	v_min_i32_e32 v6, v7, v6
	ds_read_u8 v7, v8 offset:2048
	s_nop 0
	v_mov_b32_dpp v17, v6 row_shr:4 row_mask:0xf bank_mask:0xe
	v_min_i32_e32 v6, v17, v6
	ds_bpermute_b32 v17, v13, v6
	s_waitcnt lgkmcnt(1)
	v_and_b32_e32 v6, 1, v7
	v_cmp_eq_u32_e32 vcc, 1, v6
	v_mov_b32_e32 v6, 0
	s_and_saveexec_b64 s[0:1], vcc
	s_cbranch_execz .LBB110_9
; %bb.19:                               ;   in Loop: Header=BB110_10 Depth=1
	v_add_u32_e32 v19, s20, v3
	v_ashrrev_i32_e32 v3, 31, v2
	v_lshl_add_u64 v[6:7], v[2:3], 2, s[8:9]
	global_store_dword v[6:7], v19, off
	s_and_saveexec_b64 s[16:17], s[12:13]
	s_cbranch_execz .LBB110_8
; %bb.20:                               ;   in Loop: Header=BB110_10 Depth=1
	ds_read_b64 v[6:7], v12
	v_mul_lo_u32 v19, s21, v2
	v_mul_lo_u32 v3, s22, v3
	v_mad_u64_u32 v[20:21], s[18:19], s22, v2, 0
	v_add3_u32 v21, v21, v3, v19
	v_lshl_add_u64 v[20:21], v[20:21], 3, v[4:5]
	s_waitcnt lgkmcnt(0)
	global_store_dwordx2 v[20:21], v[6:7], off
	s_branch .LBB110_8
.LBB110_21:
	s_endpgm
	.section	.rodata,"a",@progbits
	.p2align	6, 0x0
	.amdhsa_kernel _ZN9rocsparseL42csr2bsr_wavefront_per_row_multipass_kernelILj256ELj64ELj8EdiiEEv20rocsparse_direction_T4_S2_S2_S2_S2_21rocsparse_index_base_PKT2_PKT3_PKS2_S3_PS4_PS7_PS2_
		.amdhsa_group_segment_fixed_size 2056
		.amdhsa_private_segment_fixed_size 0
		.amdhsa_kernarg_size 88
		.amdhsa_user_sgpr_count 2
		.amdhsa_user_sgpr_dispatch_ptr 0
		.amdhsa_user_sgpr_queue_ptr 0
		.amdhsa_user_sgpr_kernarg_segment_ptr 1
		.amdhsa_user_sgpr_dispatch_id 0
		.amdhsa_user_sgpr_kernarg_preload_length 0
		.amdhsa_user_sgpr_kernarg_preload_offset 0
		.amdhsa_user_sgpr_private_segment_size 0
		.amdhsa_uses_dynamic_stack 0
		.amdhsa_enable_private_segment 0
		.amdhsa_system_sgpr_workgroup_id_x 1
		.amdhsa_system_sgpr_workgroup_id_y 0
		.amdhsa_system_sgpr_workgroup_id_z 0
		.amdhsa_system_sgpr_workgroup_info 0
		.amdhsa_system_vgpr_workitem_id 0
		.amdhsa_next_free_vgpr 26
		.amdhsa_next_free_sgpr 26
		.amdhsa_accum_offset 28
		.amdhsa_reserve_vcc 1
		.amdhsa_float_round_mode_32 0
		.amdhsa_float_round_mode_16_64 0
		.amdhsa_float_denorm_mode_32 3
		.amdhsa_float_denorm_mode_16_64 3
		.amdhsa_dx10_clamp 1
		.amdhsa_ieee_mode 1
		.amdhsa_fp16_overflow 0
		.amdhsa_tg_split 0
		.amdhsa_exception_fp_ieee_invalid_op 0
		.amdhsa_exception_fp_denorm_src 0
		.amdhsa_exception_fp_ieee_div_zero 0
		.amdhsa_exception_fp_ieee_overflow 0
		.amdhsa_exception_fp_ieee_underflow 0
		.amdhsa_exception_fp_ieee_inexact 0
		.amdhsa_exception_int_div_zero 0
	.end_amdhsa_kernel
	.section	.text._ZN9rocsparseL42csr2bsr_wavefront_per_row_multipass_kernelILj256ELj64ELj8EdiiEEv20rocsparse_direction_T4_S2_S2_S2_S2_21rocsparse_index_base_PKT2_PKT3_PKS2_S3_PS4_PS7_PS2_,"axG",@progbits,_ZN9rocsparseL42csr2bsr_wavefront_per_row_multipass_kernelILj256ELj64ELj8EdiiEEv20rocsparse_direction_T4_S2_S2_S2_S2_21rocsparse_index_base_PKT2_PKT3_PKS2_S3_PS4_PS7_PS2_,comdat
.Lfunc_end110:
	.size	_ZN9rocsparseL42csr2bsr_wavefront_per_row_multipass_kernelILj256ELj64ELj8EdiiEEv20rocsparse_direction_T4_S2_S2_S2_S2_21rocsparse_index_base_PKT2_PKT3_PKS2_S3_PS4_PS7_PS2_, .Lfunc_end110-_ZN9rocsparseL42csr2bsr_wavefront_per_row_multipass_kernelILj256ELj64ELj8EdiiEEv20rocsparse_direction_T4_S2_S2_S2_S2_21rocsparse_index_base_PKT2_PKT3_PKS2_S3_PS4_PS7_PS2_
                                        ; -- End function
	.section	.AMDGPU.csdata,"",@progbits
; Kernel info:
; codeLenInByte = 1164
; NumSgprs: 32
; NumVgprs: 26
; NumAgprs: 0
; TotalNumVgprs: 26
; ScratchSize: 0
; MemoryBound: 0
; FloatMode: 240
; IeeeMode: 1
; LDSByteSize: 2056 bytes/workgroup (compile time only)
; SGPRBlocks: 3
; VGPRBlocks: 3
; NumSGPRsForWavesPerEU: 32
; NumVGPRsForWavesPerEU: 26
; AccumOffset: 28
; Occupancy: 8
; WaveLimiterHint : 0
; COMPUTE_PGM_RSRC2:SCRATCH_EN: 0
; COMPUTE_PGM_RSRC2:USER_SGPR: 2
; COMPUTE_PGM_RSRC2:TRAP_HANDLER: 0
; COMPUTE_PGM_RSRC2:TGID_X_EN: 1
; COMPUTE_PGM_RSRC2:TGID_Y_EN: 0
; COMPUTE_PGM_RSRC2:TGID_Z_EN: 0
; COMPUTE_PGM_RSRC2:TIDIG_COMP_CNT: 0
; COMPUTE_PGM_RSRC3_GFX90A:ACCUM_OFFSET: 6
; COMPUTE_PGM_RSRC3_GFX90A:TG_SPLIT: 0
	.section	.text._ZN9rocsparseL42csr2bsr_wavefront_per_row_multipass_kernelILj256ELj32ELj8EdiiEEv20rocsparse_direction_T4_S2_S2_S2_S2_21rocsparse_index_base_PKT2_PKT3_PKS2_S3_PS4_PS7_PS2_,"axG",@progbits,_ZN9rocsparseL42csr2bsr_wavefront_per_row_multipass_kernelILj256ELj32ELj8EdiiEEv20rocsparse_direction_T4_S2_S2_S2_S2_21rocsparse_index_base_PKT2_PKT3_PKS2_S3_PS4_PS7_PS2_,comdat
	.globl	_ZN9rocsparseL42csr2bsr_wavefront_per_row_multipass_kernelILj256ELj32ELj8EdiiEEv20rocsparse_direction_T4_S2_S2_S2_S2_21rocsparse_index_base_PKT2_PKT3_PKS2_S3_PS4_PS7_PS2_ ; -- Begin function _ZN9rocsparseL42csr2bsr_wavefront_per_row_multipass_kernelILj256ELj32ELj8EdiiEEv20rocsparse_direction_T4_S2_S2_S2_S2_21rocsparse_index_base_PKT2_PKT3_PKS2_S3_PS4_PS7_PS2_
	.p2align	8
	.type	_ZN9rocsparseL42csr2bsr_wavefront_per_row_multipass_kernelILj256ELj32ELj8EdiiEEv20rocsparse_direction_T4_S2_S2_S2_S2_21rocsparse_index_base_PKT2_PKT3_PKS2_S3_PS4_PS7_PS2_,@function
_ZN9rocsparseL42csr2bsr_wavefront_per_row_multipass_kernelILj256ELj32ELj8EdiiEEv20rocsparse_direction_T4_S2_S2_S2_S2_21rocsparse_index_base_PKT2_PKT3_PKS2_S3_PS4_PS7_PS2_: ; @_ZN9rocsparseL42csr2bsr_wavefront_per_row_multipass_kernelILj256ELj32ELj8EdiiEEv20rocsparse_direction_T4_S2_S2_S2_S2_21rocsparse_index_base_PKT2_PKT3_PKS2_S3_PS4_PS7_PS2_
; %bb.0:
	s_load_dwordx2 s[14:15], s[0:1], 0x0
	s_load_dwordx4 s[4:7], s[0:1], 0xc
	s_load_dwordx2 s[8:9], s[0:1], 0x28
	v_lshrrev_b32_e32 v1, 5, v0
	v_bfe_u32 v8, v0, 2, 3
	v_lshl_or_b32 v4, s2, 3, v1
	s_waitcnt lgkmcnt(0)
	v_mad_u64_u32 v[2:3], s[2:3], v4, s6, v[8:9]
	v_cmp_gt_i32_e64 s[2:3], s15, v2
	v_cmp_gt_i32_e32 vcc, s6, v8
	s_and_b64 s[2:3], vcc, s[2:3]
	v_mov_b32_e32 v20, 0
	v_mov_b32_e32 v28, 0
	s_and_saveexec_b64 s[10:11], s[2:3]
	s_cbranch_execz .LBB111_2
; %bb.1:
	v_ashrrev_i32_e32 v3, 31, v2
	v_lshl_add_u64 v[6:7], v[2:3], 2, s[8:9]
	global_load_dword v3, v[6:7], off
	s_waitcnt vmcnt(0)
	v_subrev_u32_e32 v28, s7, v3
.LBB111_2:
	s_or_b64 exec, exec, s[10:11]
	s_and_saveexec_b64 s[10:11], s[2:3]
	s_cbranch_execz .LBB111_4
; %bb.3:
	v_ashrrev_i32_e32 v3, 31, v2
	v_lshl_add_u64 v[2:3], v[2:3], 2, s[8:9]
	global_load_dword v2, v[2:3], off offset:4
	s_waitcnt vmcnt(0)
	v_subrev_u32_e32 v20, s7, v2
.LBB111_4:
	s_or_b64 exec, exec, s[10:11]
	s_load_dword s24, s[0:1], 0x38
	v_cmp_gt_i32_e64 s[2:3], s4, v4
	v_mov_b32_e32 v2, 0
	s_and_saveexec_b64 s[8:9], s[2:3]
	s_cbranch_execz .LBB111_6
; %bb.5:
	s_load_dwordx2 s[2:3], s[0:1], 0x48
	v_ashrrev_i32_e32 v5, 31, v4
	s_waitcnt lgkmcnt(0)
	v_lshl_add_u64 v[2:3], v[4:5], 2, s[2:3]
	global_load_dword v2, v[2:3], off
	s_waitcnt vmcnt(0)
	v_subrev_u32_e32 v2, s24, v2
.LBB111_6:
	s_or_b64 exec, exec, s[8:9]
	s_cmp_lt_i32 s5, 1
	s_cbranch_scc1 .LBB111_30
; %bb.7:
	v_mbcnt_lo_u32_b32 v3, -1, 0
	v_lshlrev_b32_e32 v4, 3, v8
	v_mbcnt_hi_u32_b32 v3, -1, v3
	v_and_b32_e32 v0, 3, v0
	v_lshl_or_b32 v21, v1, 6, v4
	v_lshlrev_b32_e32 v3, 2, v3
	s_cmp_lg_u32 s14, 0
	v_or_b32_e32 v23, 12, v3
	s_cselect_b64 s[14:15], -1, 0
	v_or_b32_e32 v24, 0x7c, v3
	v_or_b32_e32 v3, v21, v0
	s_abs_i32 s26, s6
	v_lshlrev_b32_e32 v25, 3, v3
	v_cvt_f32_u32_e32 v3, s26
	s_load_dwordx2 s[8:9], s[0:1], 0x20
	s_load_dwordx2 s[10:11], s[0:1], 0x50
	;; [unrolled: 1-line block ×4, first 2 shown]
	v_mov_b32_e32 v5, 0
	v_cmp_gt_u32_e64 s[0:1], s6, v0
	v_rcp_iflag_f32_e32 v3, v3
	s_waitcnt lgkmcnt(0)
	v_lshl_add_u64 v[6:7], s[2:3], 0, v[4:5]
	v_mul_lo_u32 v4, v8, s6
	v_lshl_add_u64 v[8:9], v[4:5], 3, s[2:3]
	v_mul_f32_e32 v3, 0x4f7ffffe, v3
	v_cvt_u32_f32_e32 v3, v3
	v_or_b32_e32 v4, 4, v0
	s_and_b64 s[16:17], s[0:1], vcc
	s_sub_i32 s0, 0, s26
	s_mov_b32 s20, 0
	v_cmp_gt_u32_e64 s[2:3], s6, v4
	v_mul_lo_u32 v4, s0, v3
	v_mul_lo_u32 v10, v0, s6
	v_mul_hi_u32 v4, v3, v4
	s_mov_b32 s21, s20
	v_mov_b32_e32 v22, 0
	s_mul_hi_u32 s4, s6, s6
	s_mul_i32 s25, s6, s6
	v_mov_b32_e32 v11, v5
	v_lshl_add_u32 v12, s6, 2, v10
	v_mov_b32_e32 v13, v5
	s_and_b64 s[2:3], vcc, s[2:3]
	s_ashr_i32 s27, s6, 31
	v_add_u32_e32 v26, v3, v4
	s_mov_b64 s[18:19], 0
	v_mov_b64_e32 v[14:15], s[20:21]
	v_mov_b32_e32 v27, 1
	v_mov_b32_e32 v3, 0
	s_branch .LBB111_11
.LBB111_8:                              ;   in Loop: Header=BB111_11 Depth=1
	v_mov_b32_e32 v4, s28
.LBB111_9:                              ;   in Loop: Header=BB111_11 Depth=1
	s_or_b64 exec, exec, s[20:21]
.LBB111_10:                             ;   in Loop: Header=BB111_11 Depth=1
	s_or_b64 exec, exec, s[0:1]
	v_mov_b32_dpp v3, v29 row_shr:1 row_mask:0xf bank_mask:0xf
	v_min_i32_e32 v3, v3, v29
	v_add_u32_e32 v2, v4, v2
	s_waitcnt lgkmcnt(0)
	v_mov_b32_dpp v16, v3 row_shr:2 row_mask:0xf bank_mask:0xf
	v_min_i32_e32 v3, v16, v3
	s_nop 1
	v_mov_b32_dpp v16, v3 row_shr:4 row_mask:0xf bank_mask:0xe
	v_min_i32_e32 v3, v16, v3
	s_nop 1
	;; [unrolled: 3-line block ×3, first 2 shown]
	v_mov_b32_dpp v16, v3 row_bcast:15 row_mask:0xa bank_mask:0xf
	v_min_i32_e32 v3, v16, v3
	ds_bpermute_b32 v3, v24, v3
	s_waitcnt lgkmcnt(0)
	v_cmp_le_i32_e32 vcc, s5, v3
	s_or_b64 s[18:19], vcc, s[18:19]
	s_andn2_b64 exec, exec, s[18:19]
	s_cbranch_execz .LBB111_30
.LBB111_11:                             ; =>This Loop Header: Depth=1
                                        ;     Child Loop BB111_14 Depth 2
	v_add_u32_e32 v16, v28, v0
	v_cmp_lt_i32_e32 vcc, v16, v20
	v_mov_b32_e32 v29, s5
	v_mov_b32_e32 v18, v20
	ds_write_b8 v1, v22 offset:4096
	ds_write2_b64 v25, v[14:15], v[14:15] offset1:4
	s_waitcnt lgkmcnt(0)
	s_and_saveexec_b64 s[20:21], vcc
	s_cbranch_execz .LBB111_19
; %bb.12:                               ;   in Loop: Header=BB111_11 Depth=1
	v_mul_lo_u32 v4, v3, s6
	s_mov_b64 s[22:23], 0
	v_mov_b32_e32 v29, s5
	v_mov_b32_e32 v18, v20
	s_branch .LBB111_14
.LBB111_13:                             ;   in Loop: Header=BB111_14 Depth=2
	s_or_b64 exec, exec, s[0:1]
	v_add_u32_e32 v16, 4, v16
	v_cmp_ge_i32_e64 s[0:1], v16, v20
	s_xor_b64 s[28:29], vcc, -1
	s_or_b64 s[0:1], s[28:29], s[0:1]
	s_and_b64 s[0:1], exec, s[0:1]
	s_or_b64 s[22:23], s[0:1], s[22:23]
	s_andn2_b64 exec, exec, s[22:23]
	s_cbranch_execz .LBB111_18
.LBB111_14:                             ;   Parent Loop BB111_11 Depth=1
                                        ; =>  This Inner Loop Header: Depth=2
	v_ashrrev_i32_e32 v17, 31, v16
	v_lshl_add_u64 v[30:31], v[16:17], 2, s[12:13]
	global_load_dword v19, v[30:31], off
	s_waitcnt vmcnt(0)
	v_subrev_u32_e32 v19, s7, v19
	v_sub_u32_e32 v30, 0, v19
	v_max_i32_e32 v30, v19, v30
	v_mul_hi_u32 v31, v30, v26
	v_mul_lo_u32 v32, v31, s26
	v_sub_u32_e32 v30, v30, v32
	v_add_u32_e32 v33, 1, v31
	v_cmp_le_u32_e32 vcc, s26, v30
	v_subrev_u32_e32 v32, s26, v30
	v_ashrrev_i32_e32 v28, 31, v19
	v_cndmask_b32_e32 v31, v31, v33, vcc
	v_cndmask_b32_e32 v30, v30, v32, vcc
	v_add_u32_e32 v32, 1, v31
	v_cmp_le_u32_e32 vcc, s26, v30
	v_xor_b32_e32 v28, s27, v28
	s_nop 0
	v_cndmask_b32_e32 v30, v31, v32, vcc
	v_xor_b32_e32 v30, v30, v28
	v_sub_u32_e32 v30, v30, v28
	v_cmp_eq_u32_e32 vcc, v30, v3
	v_cmp_ne_u32_e64 s[0:1], v30, v3
	v_mov_b32_e32 v28, v18
	s_and_saveexec_b64 s[28:29], s[0:1]
	s_xor_b64 s[0:1], exec, s[28:29]
; %bb.15:                               ;   in Loop: Header=BB111_14 Depth=2
	v_min_i32_e32 v29, v30, v29
                                        ; implicit-def: $vgpr19
                                        ; implicit-def: $vgpr28
; %bb.16:                               ;   in Loop: Header=BB111_14 Depth=2
	s_or_saveexec_b64 s[0:1], s[0:1]
	v_mov_b32_e32 v18, v16
	s_xor_b64 exec, exec, s[0:1]
	s_cbranch_execz .LBB111_13
; %bb.17:                               ;   in Loop: Header=BB111_14 Depth=2
	v_lshl_add_u64 v[30:31], v[16:17], 3, s[8:9]
	global_load_dwordx2 v[30:31], v[30:31], off
	v_sub_u32_e32 v17, v19, v4
	v_add_lshl_u32 v17, v21, v17, 3
	v_mov_b32_e32 v18, v28
	ds_write_b8 v1, v27 offset:4096
	s_waitcnt vmcnt(0)
	ds_write_b64 v17, v[30:31]
	s_branch .LBB111_13
.LBB111_18:                             ;   in Loop: Header=BB111_11 Depth=1
	s_or_b64 exec, exec, s[22:23]
.LBB111_19:                             ;   in Loop: Header=BB111_11 Depth=1
	s_or_b64 exec, exec, s[20:21]
	v_mov_b32_dpp v4, v18 row_shr:1 row_mask:0xf bank_mask:0xf
	v_min_i32_e32 v4, v4, v18
	s_waitcnt lgkmcnt(0)
	ds_read_u8 v16, v1 offset:4096
	v_mov_b32_dpp v17, v4 row_shr:2 row_mask:0xf bank_mask:0xf
	v_min_i32_e32 v4, v17, v4
	ds_bpermute_b32 v28, v23, v4
	s_waitcnt lgkmcnt(1)
	v_and_b32_e32 v4, 1, v16
	v_cmp_eq_u32_e32 vcc, 1, v4
	v_mov_b32_e32 v4, 0
	s_and_saveexec_b64 s[0:1], vcc
	s_cbranch_execz .LBB111_10
; %bb.20:                               ;   in Loop: Header=BB111_11 Depth=1
	v_add_u32_e32 v4, s24, v3
	v_ashrrev_i32_e32 v3, 31, v2
	v_lshl_add_u64 v[16:17], v[2:3], 2, s[10:11]
	global_store_dword v[16:17], v4, off
	v_mul_lo_u32 v4, s4, v2
	v_mul_lo_u32 v3, s25, v3
	v_mad_u64_u32 v[16:17], s[20:21], s25, v2, 0
	v_add3_u32 v17, v17, v3, v4
	v_lshlrev_b64 v[16:17], 3, v[16:17]
	v_lshl_add_u64 v[18:19], v[6:7], 0, v[16:17]
	v_lshl_add_u64 v[16:17], v[8:9], 0, v[16:17]
	s_and_saveexec_b64 s[20:21], s[16:17]
	s_cbranch_execz .LBB111_24
; %bb.21:                               ;   in Loop: Header=BB111_11 Depth=1
	s_and_b64 vcc, exec, s[14:15]
	s_cbranch_vccz .LBB111_27
; %bb.22:                               ;   in Loop: Header=BB111_11 Depth=1
	ds_read_b64 v[30:31], v25
	v_lshl_add_u64 v[32:33], v[10:11], 3, v[18:19]
	s_waitcnt lgkmcnt(0)
	global_store_dwordx2 v[32:33], v[30:31], off
	s_cbranch_execnz .LBB111_24
.LBB111_23:                             ;   in Loop: Header=BB111_11 Depth=1
	ds_read_b64 v[30:31], v25
	v_lshlrev_b32_e32 v4, 3, v0
	v_lshl_add_u64 v[32:33], v[16:17], 0, v[4:5]
	s_waitcnt lgkmcnt(0)
	global_store_dwordx2 v[32:33], v[30:31], off
.LBB111_24:                             ;   in Loop: Header=BB111_11 Depth=1
	s_or_b64 exec, exec, s[20:21]
	v_mov_b32_e32 v4, 1
	s_and_saveexec_b64 s[20:21], s[2:3]
	s_cbranch_execz .LBB111_9
; %bb.25:                               ;   in Loop: Header=BB111_11 Depth=1
	s_andn2_b64 vcc, exec, s[14:15]
	s_cbranch_vccnz .LBB111_28
; %bb.26:                               ;   in Loop: Header=BB111_11 Depth=1
	ds_read_b64 v[30:31], v25 offset:32
	v_lshl_add_u64 v[18:19], v[12:13], 3, v[18:19]
	s_mov_b32 s28, 1
	s_waitcnt lgkmcnt(0)
	global_store_dwordx2 v[18:19], v[30:31], off
	s_cbranch_execnz .LBB111_8
	s_branch .LBB111_29
.LBB111_27:                             ;   in Loop: Header=BB111_11 Depth=1
	s_branch .LBB111_23
.LBB111_28:                             ;   in Loop: Header=BB111_11 Depth=1
                                        ; implicit-def: $sgpr28
.LBB111_29:                             ;   in Loop: Header=BB111_11 Depth=1
	ds_read_b64 v[18:19], v25 offset:32
	v_lshlrev_b32_e32 v4, 3, v0
	v_lshl_add_u64 v[16:17], v[16:17], 0, v[4:5]
	s_mov_b32 s28, 1
	s_waitcnt lgkmcnt(0)
	global_store_dwordx2 v[16:17], v[18:19], off offset:32
	s_branch .LBB111_8
.LBB111_30:
	s_endpgm
	.section	.rodata,"a",@progbits
	.p2align	6, 0x0
	.amdhsa_kernel _ZN9rocsparseL42csr2bsr_wavefront_per_row_multipass_kernelILj256ELj32ELj8EdiiEEv20rocsparse_direction_T4_S2_S2_S2_S2_21rocsparse_index_base_PKT2_PKT3_PKS2_S3_PS4_PS7_PS2_
		.amdhsa_group_segment_fixed_size 4104
		.amdhsa_private_segment_fixed_size 0
		.amdhsa_kernarg_size 88
		.amdhsa_user_sgpr_count 2
		.amdhsa_user_sgpr_dispatch_ptr 0
		.amdhsa_user_sgpr_queue_ptr 0
		.amdhsa_user_sgpr_kernarg_segment_ptr 1
		.amdhsa_user_sgpr_dispatch_id 0
		.amdhsa_user_sgpr_kernarg_preload_length 0
		.amdhsa_user_sgpr_kernarg_preload_offset 0
		.amdhsa_user_sgpr_private_segment_size 0
		.amdhsa_uses_dynamic_stack 0
		.amdhsa_enable_private_segment 0
		.amdhsa_system_sgpr_workgroup_id_x 1
		.amdhsa_system_sgpr_workgroup_id_y 0
		.amdhsa_system_sgpr_workgroup_id_z 0
		.amdhsa_system_sgpr_workgroup_info 0
		.amdhsa_system_vgpr_workitem_id 0
		.amdhsa_next_free_vgpr 34
		.amdhsa_next_free_sgpr 30
		.amdhsa_accum_offset 36
		.amdhsa_reserve_vcc 1
		.amdhsa_float_round_mode_32 0
		.amdhsa_float_round_mode_16_64 0
		.amdhsa_float_denorm_mode_32 3
		.amdhsa_float_denorm_mode_16_64 3
		.amdhsa_dx10_clamp 1
		.amdhsa_ieee_mode 1
		.amdhsa_fp16_overflow 0
		.amdhsa_tg_split 0
		.amdhsa_exception_fp_ieee_invalid_op 0
		.amdhsa_exception_fp_denorm_src 0
		.amdhsa_exception_fp_ieee_div_zero 0
		.amdhsa_exception_fp_ieee_overflow 0
		.amdhsa_exception_fp_ieee_underflow 0
		.amdhsa_exception_fp_ieee_inexact 0
		.amdhsa_exception_int_div_zero 0
	.end_amdhsa_kernel
	.section	.text._ZN9rocsparseL42csr2bsr_wavefront_per_row_multipass_kernelILj256ELj32ELj8EdiiEEv20rocsparse_direction_T4_S2_S2_S2_S2_21rocsparse_index_base_PKT2_PKT3_PKS2_S3_PS4_PS7_PS2_,"axG",@progbits,_ZN9rocsparseL42csr2bsr_wavefront_per_row_multipass_kernelILj256ELj32ELj8EdiiEEv20rocsparse_direction_T4_S2_S2_S2_S2_21rocsparse_index_base_PKT2_PKT3_PKS2_S3_PS4_PS7_PS2_,comdat
.Lfunc_end111:
	.size	_ZN9rocsparseL42csr2bsr_wavefront_per_row_multipass_kernelILj256ELj32ELj8EdiiEEv20rocsparse_direction_T4_S2_S2_S2_S2_21rocsparse_index_base_PKT2_PKT3_PKS2_S3_PS4_PS7_PS2_, .Lfunc_end111-_ZN9rocsparseL42csr2bsr_wavefront_per_row_multipass_kernelILj256ELj32ELj8EdiiEEv20rocsparse_direction_T4_S2_S2_S2_S2_21rocsparse_index_base_PKT2_PKT3_PKS2_S3_PS4_PS7_PS2_
                                        ; -- End function
	.section	.AMDGPU.csdata,"",@progbits
; Kernel info:
; codeLenInByte = 1296
; NumSgprs: 36
; NumVgprs: 34
; NumAgprs: 0
; TotalNumVgprs: 34
; ScratchSize: 0
; MemoryBound: 0
; FloatMode: 240
; IeeeMode: 1
; LDSByteSize: 4104 bytes/workgroup (compile time only)
; SGPRBlocks: 4
; VGPRBlocks: 4
; NumSGPRsForWavesPerEU: 36
; NumVGPRsForWavesPerEU: 34
; AccumOffset: 36
; Occupancy: 8
; WaveLimiterHint : 0
; COMPUTE_PGM_RSRC2:SCRATCH_EN: 0
; COMPUTE_PGM_RSRC2:USER_SGPR: 2
; COMPUTE_PGM_RSRC2:TRAP_HANDLER: 0
; COMPUTE_PGM_RSRC2:TGID_X_EN: 1
; COMPUTE_PGM_RSRC2:TGID_Y_EN: 0
; COMPUTE_PGM_RSRC2:TGID_Z_EN: 0
; COMPUTE_PGM_RSRC2:TIDIG_COMP_CNT: 0
; COMPUTE_PGM_RSRC3_GFX90A:ACCUM_OFFSET: 8
; COMPUTE_PGM_RSRC3_GFX90A:TG_SPLIT: 0
	.section	.text._ZN9rocsparseL42csr2bsr_wavefront_per_row_multipass_kernelILj256ELj64ELj16EdiiEEv20rocsparse_direction_T4_S2_S2_S2_S2_21rocsparse_index_base_PKT2_PKT3_PKS2_S3_PS4_PS7_PS2_,"axG",@progbits,_ZN9rocsparseL42csr2bsr_wavefront_per_row_multipass_kernelILj256ELj64ELj16EdiiEEv20rocsparse_direction_T4_S2_S2_S2_S2_21rocsparse_index_base_PKT2_PKT3_PKS2_S3_PS4_PS7_PS2_,comdat
	.globl	_ZN9rocsparseL42csr2bsr_wavefront_per_row_multipass_kernelILj256ELj64ELj16EdiiEEv20rocsparse_direction_T4_S2_S2_S2_S2_21rocsparse_index_base_PKT2_PKT3_PKS2_S3_PS4_PS7_PS2_ ; -- Begin function _ZN9rocsparseL42csr2bsr_wavefront_per_row_multipass_kernelILj256ELj64ELj16EdiiEEv20rocsparse_direction_T4_S2_S2_S2_S2_21rocsparse_index_base_PKT2_PKT3_PKS2_S3_PS4_PS7_PS2_
	.p2align	8
	.type	_ZN9rocsparseL42csr2bsr_wavefront_per_row_multipass_kernelILj256ELj64ELj16EdiiEEv20rocsparse_direction_T4_S2_S2_S2_S2_21rocsparse_index_base_PKT2_PKT3_PKS2_S3_PS4_PS7_PS2_,@function
_ZN9rocsparseL42csr2bsr_wavefront_per_row_multipass_kernelILj256ELj64ELj16EdiiEEv20rocsparse_direction_T4_S2_S2_S2_S2_21rocsparse_index_base_PKT2_PKT3_PKS2_S3_PS4_PS7_PS2_: ; @_ZN9rocsparseL42csr2bsr_wavefront_per_row_multipass_kernelILj256ELj64ELj16EdiiEEv20rocsparse_direction_T4_S2_S2_S2_S2_21rocsparse_index_base_PKT2_PKT3_PKS2_S3_PS4_PS7_PS2_
; %bb.0:
	s_load_dwordx2 s[4:5], s[0:1], 0x0
	s_load_dwordx4 s[8:11], s[0:1], 0xc
	s_load_dwordx2 s[6:7], s[0:1], 0x28
	v_lshrrev_b32_e32 v1, 6, v0
	v_bfe_u32 v8, v0, 2, 4
	v_lshl_or_b32 v4, s2, 2, v1
	s_waitcnt lgkmcnt(0)
	v_mad_u64_u32 v[2:3], s[2:3], v4, s10, v[8:9]
	v_cmp_gt_i32_e64 s[2:3], s5, v2
	v_cmp_gt_i32_e32 vcc, s10, v8
	s_and_b64 s[2:3], vcc, s[2:3]
	v_mov_b32_e32 v24, 0
	v_mov_b32_e32 v32, 0
	s_and_saveexec_b64 s[12:13], s[2:3]
	s_cbranch_execz .LBB112_2
; %bb.1:
	v_ashrrev_i32_e32 v3, 31, v2
	v_lshl_add_u64 v[6:7], v[2:3], 2, s[6:7]
	global_load_dword v3, v[6:7], off
	s_waitcnt vmcnt(0)
	v_subrev_u32_e32 v32, s11, v3
.LBB112_2:
	s_or_b64 exec, exec, s[12:13]
	s_and_saveexec_b64 s[12:13], s[2:3]
	s_cbranch_execz .LBB112_4
; %bb.3:
	v_ashrrev_i32_e32 v3, 31, v2
	v_lshl_add_u64 v[2:3], v[2:3], 2, s[6:7]
	global_load_dword v2, v[2:3], off offset:4
	s_waitcnt vmcnt(0)
	v_subrev_u32_e32 v24, s11, v2
.LBB112_4:
	s_or_b64 exec, exec, s[12:13]
	s_load_dword s30, s[0:1], 0x38
	v_cmp_gt_i32_e64 s[2:3], s8, v4
	v_mov_b32_e32 v2, 0
	s_and_saveexec_b64 s[6:7], s[2:3]
	s_cbranch_execz .LBB112_6
; %bb.5:
	s_load_dwordx2 s[2:3], s[0:1], 0x48
	v_ashrrev_i32_e32 v5, 31, v4
	s_waitcnt lgkmcnt(0)
	v_lshl_add_u64 v[2:3], v[4:5], 2, s[2:3]
	global_load_dword v2, v[2:3], off
	s_waitcnt vmcnt(0)
	v_subrev_u32_e32 v2, s30, v2
.LBB112_6:
	s_or_b64 exec, exec, s[6:7]
	s_cmp_lt_i32 s9, 1
	s_cbranch_scc1 .LBB112_40
; %bb.7:
	s_load_dwordx2 s[12:13], s[0:1], 0x20
	s_load_dwordx2 s[14:15], s[0:1], 0x50
	;; [unrolled: 1-line block ×4, first 2 shown]
	v_lshlrev_b32_e32 v3, 8, v1
	v_lshl_or_b32 v25, v8, 4, v3
	v_mbcnt_lo_u32_b32 v3, -1, 0
	v_mbcnt_hi_u32_b32 v3, -1, v3
	s_cmp_lg_u32 s4, 0
	v_lshlrev_b32_e32 v4, 3, v8
	v_mov_b32_e32 v5, 0
	v_and_b32_e32 v0, 3, v0
	v_lshlrev_b32_e32 v3, 2, v3
	s_waitcnt lgkmcnt(0)
	v_lshl_add_u64 v[6:7], s[2:3], 0, v[4:5]
	v_mul_lo_u32 v4, v8, s10
	s_cselect_b64 s[18:19], -1, 0
	s_abs_i32 s33, s10
	v_or_b32_e32 v27, 12, v3
	v_lshl_add_u64 v[8:9], v[4:5], 3, s[2:3]
	v_or_b32_e32 v28, 0xfc, v3
	v_or_b32_e32 v3, v25, v0
	v_cvt_f32_u32_e32 v4, s33
	v_lshlrev_b32_e32 v29, 3, v3
	v_or_b32_e32 v3, 4, v0
	v_cmp_gt_u32_e64 s[2:3], s10, v3
	v_or_b32_e32 v3, 8, v0
	v_cmp_gt_u32_e64 s[4:5], s10, v3
	;; [unrolled: 2-line block ×3, first 2 shown]
	v_rcp_iflag_f32_e32 v3, v4
	v_mul_lo_u32 v10, v0, s10
	s_lshl_b32 s20, s10, 2
	v_add_u32_e32 v12, s20, v10
	v_mul_f32_e32 v3, 0x4f7ffffe, v3
	v_cvt_u32_f32_e32 v3, v3
	v_cmp_gt_u32_e64 s[0:1], s10, v0
	v_add_u32_e32 v14, s20, v12
	v_add_u32_e32 v16, s20, v14
	s_and_b64 s[20:21], s[0:1], vcc
	s_sub_i32 s0, 0, s33
	v_mul_lo_u32 v4, s0, v3
	s_mov_b32 s26, 0
	v_mul_hi_u32 v4, v3, v4
	v_add_u32_e32 v30, v3, v4
	s_mov_b32 s27, s26
	v_cndmask_b32_e64 v3, 0, 1, s[18:19]
	v_mov_b32_e32 v26, 0
	s_mul_hi_u32 s8, s10, s10
	s_mul_i32 s31, s10, s10
	v_mov_b32_e32 v11, v5
	v_mov_b32_e32 v13, v5
	;; [unrolled: 1-line block ×4, first 2 shown]
	s_and_b64 s[22:23], vcc, s[2:3]
	s_and_b64 s[4:5], vcc, s[4:5]
	;; [unrolled: 1-line block ×3, first 2 shown]
	s_ashr_i32 s34, s10, 31
	s_mov_b64 s[24:25], 0
	v_mov_b64_e32 v[18:19], s[26:27]
	v_mov_b32_e32 v31, 1
	v_lshlrev_b32_e32 v4, 3, v0
	v_cmp_ne_u32_e64 s[0:1], 1, v3
	v_mov_b32_e32 v3, 0
	s_branch .LBB112_11
.LBB112_8:                              ;   in Loop: Header=BB112_11 Depth=1
	v_mov_b32_e32 v34, s35
.LBB112_9:                              ;   in Loop: Header=BB112_11 Depth=1
	s_or_b64 exec, exec, s[26:27]
.LBB112_10:                             ;   in Loop: Header=BB112_11 Depth=1
	s_or_b64 exec, exec, s[2:3]
	v_mov_b32_dpp v3, v33 row_shr:1 row_mask:0xf bank_mask:0xf
	v_min_i32_e32 v3, v3, v33
	v_add_u32_e32 v2, v34, v2
	s_waitcnt lgkmcnt(0)
	v_mov_b32_dpp v20, v3 row_shr:2 row_mask:0xf bank_mask:0xf
	v_min_i32_e32 v3, v20, v3
	s_nop 1
	v_mov_b32_dpp v20, v3 row_shr:4 row_mask:0xf bank_mask:0xe
	v_min_i32_e32 v3, v20, v3
	s_nop 1
	;; [unrolled: 3-line block ×3, first 2 shown]
	v_mov_b32_dpp v20, v3 row_bcast:15 row_mask:0xa bank_mask:0xf
	v_min_i32_e32 v3, v20, v3
	s_nop 1
	v_mov_b32_dpp v20, v3 row_bcast:31 row_mask:0xc bank_mask:0xf
	v_min_i32_e32 v3, v20, v3
	ds_bpermute_b32 v3, v28, v3
	s_waitcnt lgkmcnt(0)
	v_cmp_le_i32_e32 vcc, s9, v3
	s_or_b64 s[24:25], vcc, s[24:25]
	s_andn2_b64 exec, exec, s[24:25]
	s_cbranch_execz .LBB112_40
.LBB112_11:                             ; =>This Loop Header: Depth=1
                                        ;     Child Loop BB112_14 Depth 2
	v_add_u32_e32 v20, v32, v0
	v_cmp_lt_i32_e32 vcc, v20, v24
	v_mov_b32_e32 v33, s9
	v_mov_b32_e32 v23, v24
	ds_write_b8 v1, v26 offset:8192
	ds_write2_b64 v29, v[18:19], v[18:19] offset1:4
	ds_write2_b64 v29, v[18:19], v[18:19] offset0:8 offset1:12
	s_waitcnt lgkmcnt(0)
	s_and_saveexec_b64 s[26:27], vcc
	s_cbranch_execz .LBB112_19
; %bb.12:                               ;   in Loop: Header=BB112_11 Depth=1
	v_mul_lo_u32 v22, v3, s10
	s_mov_b64 s[28:29], 0
	v_mov_b32_e32 v33, s9
	v_mov_b32_e32 v23, v24
	s_branch .LBB112_14
.LBB112_13:                             ;   in Loop: Header=BB112_14 Depth=2
	s_or_b64 exec, exec, s[2:3]
	v_add_u32_e32 v20, 4, v20
	v_cmp_ge_i32_e64 s[2:3], v20, v24
	s_xor_b64 s[36:37], vcc, -1
	s_or_b64 s[2:3], s[36:37], s[2:3]
	s_and_b64 s[2:3], exec, s[2:3]
	s_or_b64 s[28:29], s[2:3], s[28:29]
	s_andn2_b64 exec, exec, s[28:29]
	s_cbranch_execz .LBB112_18
.LBB112_14:                             ;   Parent Loop BB112_11 Depth=1
                                        ; =>  This Inner Loop Header: Depth=2
	v_ashrrev_i32_e32 v21, 31, v20
	v_lshl_add_u64 v[34:35], v[20:21], 2, s[16:17]
	global_load_dword v32, v[34:35], off
	s_waitcnt vmcnt(0)
	v_subrev_u32_e32 v32, s11, v32
	v_sub_u32_e32 v35, 0, v32
	v_max_i32_e32 v35, v32, v35
	v_mul_hi_u32 v36, v35, v30
	v_mul_lo_u32 v37, v36, s33
	v_sub_u32_e32 v35, v35, v37
	v_add_u32_e32 v38, 1, v36
	v_cmp_le_u32_e32 vcc, s33, v35
	v_subrev_u32_e32 v37, s33, v35
	v_ashrrev_i32_e32 v34, 31, v32
	v_cndmask_b32_e32 v36, v36, v38, vcc
	v_cndmask_b32_e32 v35, v35, v37, vcc
	v_add_u32_e32 v37, 1, v36
	v_cmp_le_u32_e32 vcc, s33, v35
	v_xor_b32_e32 v34, s34, v34
	s_nop 0
	v_cndmask_b32_e32 v35, v36, v37, vcc
	v_xor_b32_e32 v35, v35, v34
	v_sub_u32_e32 v35, v35, v34
	v_cmp_eq_u32_e32 vcc, v35, v3
	v_cmp_ne_u32_e64 s[2:3], v35, v3
	v_mov_b32_e32 v34, v23
	s_and_saveexec_b64 s[36:37], s[2:3]
	s_xor_b64 s[2:3], exec, s[36:37]
; %bb.15:                               ;   in Loop: Header=BB112_14 Depth=2
	v_min_i32_e32 v33, v35, v33
                                        ; implicit-def: $vgpr32
                                        ; implicit-def: $vgpr34
; %bb.16:                               ;   in Loop: Header=BB112_14 Depth=2
	s_or_saveexec_b64 s[2:3], s[2:3]
	v_mov_b32_e32 v23, v20
	s_xor_b64 exec, exec, s[2:3]
	s_cbranch_execz .LBB112_13
; %bb.17:                               ;   in Loop: Header=BB112_14 Depth=2
	v_lshl_add_u64 v[36:37], v[20:21], 3, s[12:13]
	global_load_dwordx2 v[36:37], v[36:37], off
	v_sub_u32_e32 v21, v32, v22
	v_add_lshl_u32 v21, v25, v21, 3
	v_mov_b32_e32 v23, v34
	ds_write_b8 v1, v31 offset:8192
	s_waitcnt vmcnt(0)
	ds_write_b64 v21, v[36:37]
	s_branch .LBB112_13
.LBB112_18:                             ;   in Loop: Header=BB112_11 Depth=1
	s_or_b64 exec, exec, s[28:29]
.LBB112_19:                             ;   in Loop: Header=BB112_11 Depth=1
	s_or_b64 exec, exec, s[26:27]
	v_mov_b32_dpp v20, v23 row_shr:1 row_mask:0xf bank_mask:0xf
	v_min_i32_e32 v20, v20, v23
	s_waitcnt lgkmcnt(0)
	ds_read_u8 v21, v1 offset:8192
	v_mov_b32_dpp v22, v20 row_shr:2 row_mask:0xf bank_mask:0xf
	v_min_i32_e32 v20, v22, v20
	ds_bpermute_b32 v32, v27, v20
	v_mov_b32_e32 v34, 0
	s_waitcnt lgkmcnt(1)
	v_and_b32_e32 v20, 1, v21
	v_cmp_eq_u32_e32 vcc, 1, v20
	s_and_saveexec_b64 s[2:3], vcc
	s_cbranch_execz .LBB112_10
; %bb.20:                               ;   in Loop: Header=BB112_11 Depth=1
	v_add_u32_e32 v22, s30, v3
	v_ashrrev_i32_e32 v3, 31, v2
	v_lshl_add_u64 v[20:21], v[2:3], 2, s[14:15]
	global_store_dword v[20:21], v22, off
	v_mul_lo_u32 v22, s8, v2
	v_mul_lo_u32 v3, s31, v3
	v_mad_u64_u32 v[20:21], s[26:27], s31, v2, 0
	v_add3_u32 v21, v21, v3, v22
	v_lshlrev_b64 v[20:21], 3, v[20:21]
	v_lshl_add_u64 v[22:23], v[6:7], 0, v[20:21]
	v_lshl_add_u64 v[20:21], v[8:9], 0, v[20:21]
	s_and_saveexec_b64 s[26:27], s[20:21]
	s_cbranch_execz .LBB112_24
; %bb.21:                               ;   in Loop: Header=BB112_11 Depth=1
	s_and_b64 vcc, exec, s[18:19]
	s_cbranch_vccz .LBB112_35
; %bb.22:                               ;   in Loop: Header=BB112_11 Depth=1
	ds_read_b64 v[34:35], v29
	v_lshl_add_u64 v[36:37], v[10:11], 3, v[22:23]
	s_waitcnt lgkmcnt(0)
	global_store_dwordx2 v[36:37], v[34:35], off
	s_cbranch_execnz .LBB112_24
.LBB112_23:                             ;   in Loop: Header=BB112_11 Depth=1
	ds_read_b64 v[34:35], v29
	v_lshl_add_u64 v[36:37], v[20:21], 0, v[4:5]
	s_waitcnt lgkmcnt(0)
	global_store_dwordx2 v[36:37], v[34:35], off
.LBB112_24:                             ;   in Loop: Header=BB112_11 Depth=1
	s_or_b64 exec, exec, s[26:27]
	s_and_saveexec_b64 s[26:27], s[22:23]
	s_cbranch_execz .LBB112_28
; %bb.25:                               ;   in Loop: Header=BB112_11 Depth=1
	s_and_b64 vcc, exec, s[0:1]
	s_cbranch_vccnz .LBB112_36
; %bb.26:                               ;   in Loop: Header=BB112_11 Depth=1
	ds_read_b64 v[34:35], v29 offset:32
	v_lshl_add_u64 v[36:37], v[12:13], 3, v[22:23]
	s_waitcnt lgkmcnt(0)
	global_store_dwordx2 v[36:37], v[34:35], off
	s_cbranch_execnz .LBB112_28
.LBB112_27:                             ;   in Loop: Header=BB112_11 Depth=1
	ds_read_b64 v[34:35], v29 offset:32
	v_lshl_add_u64 v[36:37], v[20:21], 0, v[4:5]
	s_waitcnt lgkmcnt(0)
	global_store_dwordx2 v[36:37], v[34:35], off offset:32
.LBB112_28:                             ;   in Loop: Header=BB112_11 Depth=1
	s_or_b64 exec, exec, s[26:27]
	s_and_saveexec_b64 s[26:27], s[4:5]
	s_cbranch_execz .LBB112_32
; %bb.29:                               ;   in Loop: Header=BB112_11 Depth=1
	s_and_b64 vcc, exec, s[0:1]
	s_cbranch_vccnz .LBB112_37
; %bb.30:                               ;   in Loop: Header=BB112_11 Depth=1
	ds_read_b64 v[34:35], v29 offset:64
	v_lshl_add_u64 v[36:37], v[14:15], 3, v[22:23]
	s_waitcnt lgkmcnt(0)
	global_store_dwordx2 v[36:37], v[34:35], off
	s_cbranch_execnz .LBB112_32
.LBB112_31:                             ;   in Loop: Header=BB112_11 Depth=1
	ds_read_b64 v[34:35], v29 offset:64
	v_lshl_add_u64 v[36:37], v[20:21], 0, v[4:5]
	s_waitcnt lgkmcnt(0)
	global_store_dwordx2 v[36:37], v[34:35], off offset:64
.LBB112_32:                             ;   in Loop: Header=BB112_11 Depth=1
	s_or_b64 exec, exec, s[26:27]
	v_mov_b32_e32 v34, 1
	s_and_saveexec_b64 s[26:27], s[6:7]
	s_cbranch_execz .LBB112_9
; %bb.33:                               ;   in Loop: Header=BB112_11 Depth=1
	s_and_b64 vcc, exec, s[0:1]
	s_cbranch_vccnz .LBB112_38
; %bb.34:                               ;   in Loop: Header=BB112_11 Depth=1
	ds_read_b64 v[34:35], v29 offset:96
	v_lshl_add_u64 v[22:23], v[16:17], 3, v[22:23]
	s_mov_b32 s35, 1
	s_waitcnt lgkmcnt(0)
	global_store_dwordx2 v[22:23], v[34:35], off
	s_cbranch_execnz .LBB112_8
	s_branch .LBB112_39
.LBB112_35:                             ;   in Loop: Header=BB112_11 Depth=1
	s_branch .LBB112_23
.LBB112_36:                             ;   in Loop: Header=BB112_11 Depth=1
	s_branch .LBB112_27
.LBB112_37:                             ;   in Loop: Header=BB112_11 Depth=1
	s_branch .LBB112_31
.LBB112_38:                             ;   in Loop: Header=BB112_11 Depth=1
                                        ; implicit-def: $sgpr35
.LBB112_39:                             ;   in Loop: Header=BB112_11 Depth=1
	ds_read_b64 v[22:23], v29 offset:96
	v_lshl_add_u64 v[20:21], v[20:21], 0, v[4:5]
	s_mov_b32 s35, 1
	s_waitcnt lgkmcnt(0)
	global_store_dwordx2 v[20:21], v[22:23], off offset:96
	s_branch .LBB112_8
.LBB112_40:
	s_endpgm
	.section	.rodata,"a",@progbits
	.p2align	6, 0x0
	.amdhsa_kernel _ZN9rocsparseL42csr2bsr_wavefront_per_row_multipass_kernelILj256ELj64ELj16EdiiEEv20rocsparse_direction_T4_S2_S2_S2_S2_21rocsparse_index_base_PKT2_PKT3_PKS2_S3_PS4_PS7_PS2_
		.amdhsa_group_segment_fixed_size 8200
		.amdhsa_private_segment_fixed_size 0
		.amdhsa_kernarg_size 88
		.amdhsa_user_sgpr_count 2
		.amdhsa_user_sgpr_dispatch_ptr 0
		.amdhsa_user_sgpr_queue_ptr 0
		.amdhsa_user_sgpr_kernarg_segment_ptr 1
		.amdhsa_user_sgpr_dispatch_id 0
		.amdhsa_user_sgpr_kernarg_preload_length 0
		.amdhsa_user_sgpr_kernarg_preload_offset 0
		.amdhsa_user_sgpr_private_segment_size 0
		.amdhsa_uses_dynamic_stack 0
		.amdhsa_enable_private_segment 0
		.amdhsa_system_sgpr_workgroup_id_x 1
		.amdhsa_system_sgpr_workgroup_id_y 0
		.amdhsa_system_sgpr_workgroup_id_z 0
		.amdhsa_system_sgpr_workgroup_info 0
		.amdhsa_system_vgpr_workitem_id 0
		.amdhsa_next_free_vgpr 39
		.amdhsa_next_free_sgpr 38
		.amdhsa_accum_offset 40
		.amdhsa_reserve_vcc 1
		.amdhsa_float_round_mode_32 0
		.amdhsa_float_round_mode_16_64 0
		.amdhsa_float_denorm_mode_32 3
		.amdhsa_float_denorm_mode_16_64 3
		.amdhsa_dx10_clamp 1
		.amdhsa_ieee_mode 1
		.amdhsa_fp16_overflow 0
		.amdhsa_tg_split 0
		.amdhsa_exception_fp_ieee_invalid_op 0
		.amdhsa_exception_fp_denorm_src 0
		.amdhsa_exception_fp_ieee_div_zero 0
		.amdhsa_exception_fp_ieee_overflow 0
		.amdhsa_exception_fp_ieee_underflow 0
		.amdhsa_exception_fp_ieee_inexact 0
		.amdhsa_exception_int_div_zero 0
	.end_amdhsa_kernel
	.section	.text._ZN9rocsparseL42csr2bsr_wavefront_per_row_multipass_kernelILj256ELj64ELj16EdiiEEv20rocsparse_direction_T4_S2_S2_S2_S2_21rocsparse_index_base_PKT2_PKT3_PKS2_S3_PS4_PS7_PS2_,"axG",@progbits,_ZN9rocsparseL42csr2bsr_wavefront_per_row_multipass_kernelILj256ELj64ELj16EdiiEEv20rocsparse_direction_T4_S2_S2_S2_S2_21rocsparse_index_base_PKT2_PKT3_PKS2_S3_PS4_PS7_PS2_,comdat
.Lfunc_end112:
	.size	_ZN9rocsparseL42csr2bsr_wavefront_per_row_multipass_kernelILj256ELj64ELj16EdiiEEv20rocsparse_direction_T4_S2_S2_S2_S2_21rocsparse_index_base_PKT2_PKT3_PKS2_S3_PS4_PS7_PS2_, .Lfunc_end112-_ZN9rocsparseL42csr2bsr_wavefront_per_row_multipass_kernelILj256ELj64ELj16EdiiEEv20rocsparse_direction_T4_S2_S2_S2_S2_21rocsparse_index_base_PKT2_PKT3_PKS2_S3_PS4_PS7_PS2_
                                        ; -- End function
	.section	.AMDGPU.csdata,"",@progbits
; Kernel info:
; codeLenInByte = 1552
; NumSgprs: 44
; NumVgprs: 39
; NumAgprs: 0
; TotalNumVgprs: 39
; ScratchSize: 0
; MemoryBound: 0
; FloatMode: 240
; IeeeMode: 1
; LDSByteSize: 8200 bytes/workgroup (compile time only)
; SGPRBlocks: 5
; VGPRBlocks: 4
; NumSGPRsForWavesPerEU: 44
; NumVGPRsForWavesPerEU: 39
; AccumOffset: 40
; Occupancy: 7
; WaveLimiterHint : 0
; COMPUTE_PGM_RSRC2:SCRATCH_EN: 0
; COMPUTE_PGM_RSRC2:USER_SGPR: 2
; COMPUTE_PGM_RSRC2:TRAP_HANDLER: 0
; COMPUTE_PGM_RSRC2:TGID_X_EN: 1
; COMPUTE_PGM_RSRC2:TGID_Y_EN: 0
; COMPUTE_PGM_RSRC2:TGID_Z_EN: 0
; COMPUTE_PGM_RSRC2:TIDIG_COMP_CNT: 0
; COMPUTE_PGM_RSRC3_GFX90A:ACCUM_OFFSET: 9
; COMPUTE_PGM_RSRC3_GFX90A:TG_SPLIT: 0
	.section	.text._ZN9rocsparseL42csr2bsr_wavefront_per_row_multipass_kernelILj256ELj32ELj16EdiiEEv20rocsparse_direction_T4_S2_S2_S2_S2_21rocsparse_index_base_PKT2_PKT3_PKS2_S3_PS4_PS7_PS2_,"axG",@progbits,_ZN9rocsparseL42csr2bsr_wavefront_per_row_multipass_kernelILj256ELj32ELj16EdiiEEv20rocsparse_direction_T4_S2_S2_S2_S2_21rocsparse_index_base_PKT2_PKT3_PKS2_S3_PS4_PS7_PS2_,comdat
	.globl	_ZN9rocsparseL42csr2bsr_wavefront_per_row_multipass_kernelILj256ELj32ELj16EdiiEEv20rocsparse_direction_T4_S2_S2_S2_S2_21rocsparse_index_base_PKT2_PKT3_PKS2_S3_PS4_PS7_PS2_ ; -- Begin function _ZN9rocsparseL42csr2bsr_wavefront_per_row_multipass_kernelILj256ELj32ELj16EdiiEEv20rocsparse_direction_T4_S2_S2_S2_S2_21rocsparse_index_base_PKT2_PKT3_PKS2_S3_PS4_PS7_PS2_
	.p2align	8
	.type	_ZN9rocsparseL42csr2bsr_wavefront_per_row_multipass_kernelILj256ELj32ELj16EdiiEEv20rocsparse_direction_T4_S2_S2_S2_S2_21rocsparse_index_base_PKT2_PKT3_PKS2_S3_PS4_PS7_PS2_,@function
_ZN9rocsparseL42csr2bsr_wavefront_per_row_multipass_kernelILj256ELj32ELj16EdiiEEv20rocsparse_direction_T4_S2_S2_S2_S2_21rocsparse_index_base_PKT2_PKT3_PKS2_S3_PS4_PS7_PS2_: ; @_ZN9rocsparseL42csr2bsr_wavefront_per_row_multipass_kernelILj256ELj32ELj16EdiiEEv20rocsparse_direction_T4_S2_S2_S2_S2_21rocsparse_index_base_PKT2_PKT3_PKS2_S3_PS4_PS7_PS2_
; %bb.0:
	s_load_dwordx2 s[4:5], s[0:1], 0x0
	s_load_dwordx4 s[16:19], s[0:1], 0xc
	s_load_dwordx2 s[6:7], s[0:1], 0x28
	v_lshrrev_b32_e32 v1, 5, v0
	v_bfe_u32 v8, v0, 1, 4
	v_lshl_or_b32 v4, s2, 3, v1
	s_waitcnt lgkmcnt(0)
	v_mad_u64_u32 v[2:3], s[2:3], v4, s18, v[8:9]
	v_cmp_gt_i32_e64 s[2:3], s5, v2
	v_cmp_gt_i32_e32 vcc, s18, v8
	s_and_b64 s[2:3], vcc, s[2:3]
	v_mov_b32_e32 v32, 0
	v_mov_b32_e32 v38, 0
	s_and_saveexec_b64 s[8:9], s[2:3]
	s_cbranch_execz .LBB113_2
; %bb.1:
	v_ashrrev_i32_e32 v3, 31, v2
	v_lshl_add_u64 v[6:7], v[2:3], 2, s[6:7]
	global_load_dword v3, v[6:7], off
	s_waitcnt vmcnt(0)
	v_subrev_u32_e32 v38, s19, v3
.LBB113_2:
	s_or_b64 exec, exec, s[8:9]
	s_and_saveexec_b64 s[8:9], s[2:3]
	s_cbranch_execz .LBB113_4
; %bb.3:
	v_ashrrev_i32_e32 v3, 31, v2
	v_lshl_add_u64 v[2:3], v[2:3], 2, s[6:7]
	global_load_dword v2, v[2:3], off offset:4
	s_waitcnt vmcnt(0)
	v_subrev_u32_e32 v32, s19, v2
.LBB113_4:
	s_or_b64 exec, exec, s[8:9]
	s_load_dword s33, s[0:1], 0x38
	v_cmp_gt_i32_e64 s[2:3], s16, v4
	v_mov_b32_e32 v2, 0
	s_and_saveexec_b64 s[6:7], s[2:3]
	s_cbranch_execz .LBB113_6
; %bb.5:
	s_load_dwordx2 s[2:3], s[0:1], 0x48
	v_ashrrev_i32_e32 v5, 31, v4
	s_waitcnt lgkmcnt(0)
	v_lshl_add_u64 v[2:3], v[4:5], 2, s[2:3]
	global_load_dword v2, v[2:3], off
	s_waitcnt vmcnt(0)
	v_subrev_u32_e32 v2, s33, v2
.LBB113_6:
	s_or_b64 exec, exec, s[6:7]
	s_cmp_lt_i32 s17, 1
	s_cbranch_scc1 .LBB113_60
; %bb.7:
	v_lshlrev_b32_e32 v3, 8, v1
	s_load_dwordx2 s[20:21], s[0:1], 0x20
	s_load_dwordx2 s[22:23], s[0:1], 0x50
	s_load_dwordx2 s[2:3], s[0:1], 0x40
	s_load_dwordx2 s[24:25], s[0:1], 0x30
	v_lshl_or_b32 v33, v8, 4, v3
	v_mbcnt_lo_u32_b32 v3, -1, 0
	v_mbcnt_hi_u32_b32 v3, -1, v3
	v_and_b32_e32 v0, 1, v0
	v_lshlrev_b32_e32 v3, 2, v3
	v_or_b32_e32 v35, 4, v3
	v_lshlrev_b32_e32 v4, 3, v8
	v_mov_b32_e32 v5, 0
	v_or_b32_e32 v36, 0x7c, v3
	v_or_b32_e32 v3, v33, v0
	s_waitcnt lgkmcnt(0)
	v_lshl_add_u64 v[6:7], s[2:3], 0, v[4:5]
	v_mul_lo_u32 v4, v8, s18
	v_lshlrev_b32_e32 v37, 3, v3
	v_or_b32_e32 v3, 2, v0
	v_lshl_add_u64 v[8:9], v[4:5], 3, s[2:3]
	v_cmp_gt_u32_e64 s[2:3], s18, v3
	v_or_b32_e32 v3, 4, v0
	s_cmp_lg_u32 s4, 0
	v_cmp_gt_u32_e64 s[4:5], s18, v3
	v_or_b32_e32 v3, 6, v0
	v_cmp_gt_u32_e64 s[6:7], s18, v3
	v_or_b32_e32 v3, 8, v0
	;; [unrolled: 2-line block ×4, first 2 shown]
	s_cselect_b64 s[26:27], -1, 0
	v_cmp_gt_u32_e64 s[12:13], s18, v3
	v_or_b32_e32 v3, 14, v0
	s_abs_i32 s41, s18
	v_cmp_gt_u32_e64 s[14:15], s18, v3
	v_cvt_f32_u32_e32 v3, s41
	v_mul_lo_u32 v10, v0, s18
	s_lshl_b32 s28, s18, 1
	v_add_u32_e32 v12, s28, v10
	v_rcp_iflag_f32_e32 v3, v3
	v_add_u32_e32 v14, s28, v12
	v_add_u32_e32 v16, s28, v14
	;; [unrolled: 1-line block ×3, first 2 shown]
	v_mul_f32_e32 v3, 0x4f7ffffe, v3
	v_cvt_u32_f32_e32 v3, v3
	v_add_u32_e32 v20, s28, v18
	v_cmp_gt_u32_e64 s[0:1], s18, v0
	v_add_u32_e32 v22, s28, v20
	v_add_u32_e32 v24, s28, v22
	s_and_b64 s[28:29], s[0:1], vcc
	s_sub_i32 s0, 0, s41
	v_mul_lo_u32 v4, s0, v3
	s_mov_b32 s36, 0
	v_mul_hi_u32 v4, v3, v4
	v_add_u32_e32 v39, v3, v4
	s_mov_b32 s37, s36
	v_cndmask_b32_e64 v3, 0, 1, s[26:27]
	v_mov_b32_e32 v34, 0
	s_mul_hi_u32 s16, s18, s18
	s_mul_i32 s40, s18, s18
	v_mov_b32_e32 v11, v5
	v_mov_b32_e32 v13, v5
	;; [unrolled: 1-line block ×8, first 2 shown]
	s_and_b64 s[30:31], vcc, s[2:3]
	s_and_b64 s[4:5], vcc, s[4:5]
	s_and_b64 s[6:7], vcc, s[6:7]
	s_and_b64 s[8:9], vcc, s[8:9]
	s_and_b64 s[10:11], vcc, s[10:11]
	s_and_b64 s[12:13], vcc, s[12:13]
	s_and_b64 s[14:15], vcc, s[14:15]
	s_ashr_i32 s42, s18, 31
	s_mov_b64 s[34:35], 0
	v_mov_b64_e32 v[26:27], s[36:37]
	v_cmp_ne_u32_e64 s[0:1], 1, v3
	v_mov_b32_e32 v40, 1
	v_lshlrev_b32_e32 v4, 3, v0
	v_mov_b32_e32 v3, 0
	s_branch .LBB113_11
.LBB113_8:                              ;   in Loop: Header=BB113_11 Depth=1
	v_mov_b32_e32 v42, s43
.LBB113_9:                              ;   in Loop: Header=BB113_11 Depth=1
	s_or_b64 exec, exec, s[36:37]
.LBB113_10:                             ;   in Loop: Header=BB113_11 Depth=1
	s_or_b64 exec, exec, s[2:3]
	v_mov_b32_dpp v3, v41 row_shr:1 row_mask:0xf bank_mask:0xf
	v_min_i32_e32 v3, v3, v41
	v_add_u32_e32 v2, v42, v2
	s_waitcnt lgkmcnt(0)
	v_mov_b32_dpp v28, v3 row_shr:2 row_mask:0xf bank_mask:0xf
	v_min_i32_e32 v3, v28, v3
	s_nop 1
	v_mov_b32_dpp v28, v3 row_shr:4 row_mask:0xf bank_mask:0xe
	v_min_i32_e32 v3, v28, v3
	s_nop 1
	;; [unrolled: 3-line block ×3, first 2 shown]
	v_mov_b32_dpp v28, v3 row_bcast:15 row_mask:0xa bank_mask:0xf
	v_min_i32_e32 v3, v28, v3
	ds_bpermute_b32 v3, v36, v3
	s_waitcnt lgkmcnt(0)
	v_cmp_le_i32_e32 vcc, s17, v3
	s_or_b64 s[34:35], vcc, s[34:35]
	s_andn2_b64 exec, exec, s[34:35]
	s_cbranch_execz .LBB113_60
.LBB113_11:                             ; =>This Loop Header: Depth=1
                                        ;     Child Loop BB113_14 Depth 2
	v_add_u32_e32 v28, v38, v0
	v_cmp_lt_i32_e32 vcc, v28, v32
	v_mov_b32_e32 v41, s17
	v_mov_b32_e32 v31, v32
	ds_write_b8 v1, v34 offset:16384
	ds_write2_b64 v37, v[26:27], v[26:27] offset1:2
	ds_write2_b64 v37, v[26:27], v[26:27] offset0:4 offset1:6
	ds_write2_b64 v37, v[26:27], v[26:27] offset0:8 offset1:10
	;; [unrolled: 1-line block ×3, first 2 shown]
	s_waitcnt lgkmcnt(0)
	s_and_saveexec_b64 s[36:37], vcc
	s_cbranch_execz .LBB113_19
; %bb.12:                               ;   in Loop: Header=BB113_11 Depth=1
	v_mul_lo_u32 v30, v3, s18
	s_mov_b64 s[38:39], 0
	v_mov_b32_e32 v41, s17
	v_mov_b32_e32 v31, v32
	s_branch .LBB113_14
.LBB113_13:                             ;   in Loop: Header=BB113_14 Depth=2
	s_or_b64 exec, exec, s[2:3]
	v_add_u32_e32 v28, 2, v28
	v_cmp_ge_i32_e64 s[2:3], v28, v32
	s_xor_b64 s[44:45], vcc, -1
	s_or_b64 s[2:3], s[44:45], s[2:3]
	s_and_b64 s[2:3], exec, s[2:3]
	s_or_b64 s[38:39], s[2:3], s[38:39]
	s_andn2_b64 exec, exec, s[38:39]
	s_cbranch_execz .LBB113_18
.LBB113_14:                             ;   Parent Loop BB113_11 Depth=1
                                        ; =>  This Inner Loop Header: Depth=2
	v_ashrrev_i32_e32 v29, 31, v28
	v_lshl_add_u64 v[42:43], v[28:29], 2, s[24:25]
	global_load_dword v38, v[42:43], off
	s_waitcnt vmcnt(0)
	v_subrev_u32_e32 v38, s19, v38
	v_sub_u32_e32 v43, 0, v38
	v_max_i32_e32 v43, v38, v43
	v_mul_hi_u32 v44, v43, v39
	v_mul_lo_u32 v45, v44, s41
	v_sub_u32_e32 v43, v43, v45
	v_add_u32_e32 v46, 1, v44
	v_cmp_le_u32_e32 vcc, s41, v43
	v_subrev_u32_e32 v45, s41, v43
	v_ashrrev_i32_e32 v42, 31, v38
	v_cndmask_b32_e32 v44, v44, v46, vcc
	v_cndmask_b32_e32 v43, v43, v45, vcc
	v_add_u32_e32 v45, 1, v44
	v_cmp_le_u32_e32 vcc, s41, v43
	v_xor_b32_e32 v42, s42, v42
	s_nop 0
	v_cndmask_b32_e32 v43, v44, v45, vcc
	v_xor_b32_e32 v43, v43, v42
	v_sub_u32_e32 v43, v43, v42
	v_cmp_eq_u32_e32 vcc, v43, v3
	v_cmp_ne_u32_e64 s[2:3], v43, v3
	v_mov_b32_e32 v42, v31
	s_and_saveexec_b64 s[44:45], s[2:3]
	s_xor_b64 s[2:3], exec, s[44:45]
; %bb.15:                               ;   in Loop: Header=BB113_14 Depth=2
	v_min_i32_e32 v41, v43, v41
                                        ; implicit-def: $vgpr38
                                        ; implicit-def: $vgpr42
; %bb.16:                               ;   in Loop: Header=BB113_14 Depth=2
	s_or_saveexec_b64 s[2:3], s[2:3]
	v_mov_b32_e32 v31, v28
	s_xor_b64 exec, exec, s[2:3]
	s_cbranch_execz .LBB113_13
; %bb.17:                               ;   in Loop: Header=BB113_14 Depth=2
	v_lshl_add_u64 v[44:45], v[28:29], 3, s[20:21]
	global_load_dwordx2 v[44:45], v[44:45], off
	v_sub_u32_e32 v29, v38, v30
	v_add_lshl_u32 v29, v33, v29, 3
	v_mov_b32_e32 v31, v42
	ds_write_b8 v1, v40 offset:16384
	s_waitcnt vmcnt(0)
	ds_write_b64 v29, v[44:45]
	s_branch .LBB113_13
.LBB113_18:                             ;   in Loop: Header=BB113_11 Depth=1
	s_or_b64 exec, exec, s[38:39]
.LBB113_19:                             ;   in Loop: Header=BB113_11 Depth=1
	s_or_b64 exec, exec, s[36:37]
	s_waitcnt lgkmcnt(0)
	ds_read_u8 v28, v1 offset:16384
	v_mov_b32_dpp v29, v31 row_shr:1 row_mask:0xf bank_mask:0xf
	v_min_i32_e32 v29, v29, v31
	ds_bpermute_b32 v38, v35, v29
	v_mov_b32_e32 v42, 0
	s_waitcnt lgkmcnt(1)
	v_and_b32_e32 v28, 1, v28
	v_cmp_eq_u32_e32 vcc, 1, v28
	s_and_saveexec_b64 s[2:3], vcc
	s_cbranch_execz .LBB113_10
; %bb.20:                               ;   in Loop: Header=BB113_11 Depth=1
	v_add_u32_e32 v30, s33, v3
	v_ashrrev_i32_e32 v3, 31, v2
	v_lshl_add_u64 v[28:29], v[2:3], 2, s[22:23]
	global_store_dword v[28:29], v30, off
	v_mul_lo_u32 v30, s16, v2
	v_mul_lo_u32 v3, s40, v3
	v_mad_u64_u32 v[28:29], s[36:37], s40, v2, 0
	v_add3_u32 v29, v29, v3, v30
	v_lshlrev_b64 v[28:29], 3, v[28:29]
	v_lshl_add_u64 v[30:31], v[6:7], 0, v[28:29]
	v_lshl_add_u64 v[28:29], v[8:9], 0, v[28:29]
	s_and_saveexec_b64 s[36:37], s[28:29]
	s_cbranch_execz .LBB113_24
; %bb.21:                               ;   in Loop: Header=BB113_11 Depth=1
	s_and_b64 vcc, exec, s[26:27]
	s_cbranch_vccz .LBB113_51
; %bb.22:                               ;   in Loop: Header=BB113_11 Depth=1
	ds_read_b64 v[42:43], v37
	v_lshl_add_u64 v[44:45], v[10:11], 3, v[30:31]
	s_waitcnt lgkmcnt(0)
	global_store_dwordx2 v[44:45], v[42:43], off
	s_cbranch_execnz .LBB113_24
.LBB113_23:                             ;   in Loop: Header=BB113_11 Depth=1
	ds_read_b64 v[42:43], v37
	v_lshl_add_u64 v[44:45], v[28:29], 0, v[4:5]
	s_waitcnt lgkmcnt(0)
	global_store_dwordx2 v[44:45], v[42:43], off
.LBB113_24:                             ;   in Loop: Header=BB113_11 Depth=1
	s_or_b64 exec, exec, s[36:37]
	s_and_saveexec_b64 s[36:37], s[30:31]
	s_cbranch_execz .LBB113_28
; %bb.25:                               ;   in Loop: Header=BB113_11 Depth=1
	s_and_b64 vcc, exec, s[0:1]
	s_cbranch_vccnz .LBB113_52
; %bb.26:                               ;   in Loop: Header=BB113_11 Depth=1
	ds_read_b64 v[42:43], v37 offset:16
	v_lshl_add_u64 v[44:45], v[12:13], 3, v[30:31]
	s_waitcnt lgkmcnt(0)
	global_store_dwordx2 v[44:45], v[42:43], off
	s_cbranch_execnz .LBB113_28
.LBB113_27:                             ;   in Loop: Header=BB113_11 Depth=1
	ds_read_b64 v[42:43], v37 offset:16
	v_lshl_add_u64 v[44:45], v[28:29], 0, v[4:5]
	s_waitcnt lgkmcnt(0)
	global_store_dwordx2 v[44:45], v[42:43], off offset:16
.LBB113_28:                             ;   in Loop: Header=BB113_11 Depth=1
	s_or_b64 exec, exec, s[36:37]
	s_and_saveexec_b64 s[36:37], s[4:5]
	s_cbranch_execz .LBB113_32
; %bb.29:                               ;   in Loop: Header=BB113_11 Depth=1
	s_and_b64 vcc, exec, s[0:1]
	s_cbranch_vccnz .LBB113_53
; %bb.30:                               ;   in Loop: Header=BB113_11 Depth=1
	ds_read_b64 v[42:43], v37 offset:32
	v_lshl_add_u64 v[44:45], v[14:15], 3, v[30:31]
	s_waitcnt lgkmcnt(0)
	global_store_dwordx2 v[44:45], v[42:43], off
	s_cbranch_execnz .LBB113_32
.LBB113_31:                             ;   in Loop: Header=BB113_11 Depth=1
	ds_read_b64 v[42:43], v37 offset:32
	v_lshl_add_u64 v[44:45], v[28:29], 0, v[4:5]
	s_waitcnt lgkmcnt(0)
	global_store_dwordx2 v[44:45], v[42:43], off offset:32
.LBB113_32:                             ;   in Loop: Header=BB113_11 Depth=1
	s_or_b64 exec, exec, s[36:37]
	s_and_saveexec_b64 s[36:37], s[6:7]
	s_cbranch_execz .LBB113_36
; %bb.33:                               ;   in Loop: Header=BB113_11 Depth=1
	s_and_b64 vcc, exec, s[0:1]
	s_cbranch_vccnz .LBB113_54
; %bb.34:                               ;   in Loop: Header=BB113_11 Depth=1
	ds_read_b64 v[42:43], v37 offset:48
	v_lshl_add_u64 v[44:45], v[16:17], 3, v[30:31]
	s_waitcnt lgkmcnt(0)
	global_store_dwordx2 v[44:45], v[42:43], off
	s_cbranch_execnz .LBB113_36
.LBB113_35:                             ;   in Loop: Header=BB113_11 Depth=1
	ds_read_b64 v[42:43], v37 offset:48
	v_lshl_add_u64 v[44:45], v[28:29], 0, v[4:5]
	s_waitcnt lgkmcnt(0)
	global_store_dwordx2 v[44:45], v[42:43], off offset:48
.LBB113_36:                             ;   in Loop: Header=BB113_11 Depth=1
	s_or_b64 exec, exec, s[36:37]
	s_and_saveexec_b64 s[36:37], s[8:9]
	s_cbranch_execz .LBB113_40
; %bb.37:                               ;   in Loop: Header=BB113_11 Depth=1
	s_and_b64 vcc, exec, s[0:1]
	s_cbranch_vccnz .LBB113_55
; %bb.38:                               ;   in Loop: Header=BB113_11 Depth=1
	ds_read_b64 v[42:43], v37 offset:64
	v_lshl_add_u64 v[44:45], v[18:19], 3, v[30:31]
	s_waitcnt lgkmcnt(0)
	global_store_dwordx2 v[44:45], v[42:43], off
	s_cbranch_execnz .LBB113_40
.LBB113_39:                             ;   in Loop: Header=BB113_11 Depth=1
	ds_read_b64 v[42:43], v37 offset:64
	v_lshl_add_u64 v[44:45], v[28:29], 0, v[4:5]
	s_waitcnt lgkmcnt(0)
	global_store_dwordx2 v[44:45], v[42:43], off offset:64
.LBB113_40:                             ;   in Loop: Header=BB113_11 Depth=1
	s_or_b64 exec, exec, s[36:37]
	s_and_saveexec_b64 s[36:37], s[10:11]
	s_cbranch_execz .LBB113_44
; %bb.41:                               ;   in Loop: Header=BB113_11 Depth=1
	s_and_b64 vcc, exec, s[0:1]
	s_cbranch_vccnz .LBB113_56
; %bb.42:                               ;   in Loop: Header=BB113_11 Depth=1
	ds_read_b64 v[42:43], v37 offset:80
	v_lshl_add_u64 v[44:45], v[20:21], 3, v[30:31]
	s_waitcnt lgkmcnt(0)
	global_store_dwordx2 v[44:45], v[42:43], off
	s_cbranch_execnz .LBB113_44
.LBB113_43:                             ;   in Loop: Header=BB113_11 Depth=1
	ds_read_b64 v[42:43], v37 offset:80
	v_lshl_add_u64 v[44:45], v[28:29], 0, v[4:5]
	s_waitcnt lgkmcnt(0)
	global_store_dwordx2 v[44:45], v[42:43], off offset:80
.LBB113_44:                             ;   in Loop: Header=BB113_11 Depth=1
	s_or_b64 exec, exec, s[36:37]
	s_and_saveexec_b64 s[36:37], s[12:13]
	s_cbranch_execz .LBB113_48
; %bb.45:                               ;   in Loop: Header=BB113_11 Depth=1
	s_and_b64 vcc, exec, s[0:1]
	s_cbranch_vccnz .LBB113_57
; %bb.46:                               ;   in Loop: Header=BB113_11 Depth=1
	ds_read_b64 v[42:43], v37 offset:96
	v_lshl_add_u64 v[44:45], v[22:23], 3, v[30:31]
	s_waitcnt lgkmcnt(0)
	global_store_dwordx2 v[44:45], v[42:43], off
	s_cbranch_execnz .LBB113_48
.LBB113_47:                             ;   in Loop: Header=BB113_11 Depth=1
	ds_read_b64 v[42:43], v37 offset:96
	v_lshl_add_u64 v[44:45], v[28:29], 0, v[4:5]
	s_waitcnt lgkmcnt(0)
	global_store_dwordx2 v[44:45], v[42:43], off offset:96
.LBB113_48:                             ;   in Loop: Header=BB113_11 Depth=1
	s_or_b64 exec, exec, s[36:37]
	v_mov_b32_e32 v42, 1
	s_and_saveexec_b64 s[36:37], s[14:15]
	s_cbranch_execz .LBB113_9
; %bb.49:                               ;   in Loop: Header=BB113_11 Depth=1
	s_and_b64 vcc, exec, s[0:1]
	s_cbranch_vccnz .LBB113_58
; %bb.50:                               ;   in Loop: Header=BB113_11 Depth=1
	ds_read_b64 v[42:43], v37 offset:112
	v_lshl_add_u64 v[30:31], v[24:25], 3, v[30:31]
	s_mov_b32 s43, 1
	s_waitcnt lgkmcnt(0)
	global_store_dwordx2 v[30:31], v[42:43], off
	s_cbranch_execnz .LBB113_8
	s_branch .LBB113_59
.LBB113_51:                             ;   in Loop: Header=BB113_11 Depth=1
	s_branch .LBB113_23
.LBB113_52:                             ;   in Loop: Header=BB113_11 Depth=1
	s_branch .LBB113_27
.LBB113_53:                             ;   in Loop: Header=BB113_11 Depth=1
	s_branch .LBB113_31
.LBB113_54:                             ;   in Loop: Header=BB113_11 Depth=1
	s_branch .LBB113_35
.LBB113_55:                             ;   in Loop: Header=BB113_11 Depth=1
	s_branch .LBB113_39
.LBB113_56:                             ;   in Loop: Header=BB113_11 Depth=1
	s_branch .LBB113_43
.LBB113_57:                             ;   in Loop: Header=BB113_11 Depth=1
	s_branch .LBB113_47
.LBB113_58:                             ;   in Loop: Header=BB113_11 Depth=1
                                        ; implicit-def: $sgpr43
.LBB113_59:                             ;   in Loop: Header=BB113_11 Depth=1
	ds_read_b64 v[30:31], v37 offset:112
	v_lshl_add_u64 v[28:29], v[28:29], 0, v[4:5]
	s_mov_b32 s43, 1
	s_waitcnt lgkmcnt(0)
	global_store_dwordx2 v[28:29], v[30:31], off offset:112
	s_branch .LBB113_8
.LBB113_60:
	s_endpgm
	.section	.rodata,"a",@progbits
	.p2align	6, 0x0
	.amdhsa_kernel _ZN9rocsparseL42csr2bsr_wavefront_per_row_multipass_kernelILj256ELj32ELj16EdiiEEv20rocsparse_direction_T4_S2_S2_S2_S2_21rocsparse_index_base_PKT2_PKT3_PKS2_S3_PS4_PS7_PS2_
		.amdhsa_group_segment_fixed_size 16392
		.amdhsa_private_segment_fixed_size 0
		.amdhsa_kernarg_size 88
		.amdhsa_user_sgpr_count 2
		.amdhsa_user_sgpr_dispatch_ptr 0
		.amdhsa_user_sgpr_queue_ptr 0
		.amdhsa_user_sgpr_kernarg_segment_ptr 1
		.amdhsa_user_sgpr_dispatch_id 0
		.amdhsa_user_sgpr_kernarg_preload_length 0
		.amdhsa_user_sgpr_kernarg_preload_offset 0
		.amdhsa_user_sgpr_private_segment_size 0
		.amdhsa_uses_dynamic_stack 0
		.amdhsa_enable_private_segment 0
		.amdhsa_system_sgpr_workgroup_id_x 1
		.amdhsa_system_sgpr_workgroup_id_y 0
		.amdhsa_system_sgpr_workgroup_id_z 0
		.amdhsa_system_sgpr_workgroup_info 0
		.amdhsa_system_vgpr_workitem_id 0
		.amdhsa_next_free_vgpr 47
		.amdhsa_next_free_sgpr 46
		.amdhsa_accum_offset 48
		.amdhsa_reserve_vcc 1
		.amdhsa_float_round_mode_32 0
		.amdhsa_float_round_mode_16_64 0
		.amdhsa_float_denorm_mode_32 3
		.amdhsa_float_denorm_mode_16_64 3
		.amdhsa_dx10_clamp 1
		.amdhsa_ieee_mode 1
		.amdhsa_fp16_overflow 0
		.amdhsa_tg_split 0
		.amdhsa_exception_fp_ieee_invalid_op 0
		.amdhsa_exception_fp_denorm_src 0
		.amdhsa_exception_fp_ieee_div_zero 0
		.amdhsa_exception_fp_ieee_overflow 0
		.amdhsa_exception_fp_ieee_underflow 0
		.amdhsa_exception_fp_ieee_inexact 0
		.amdhsa_exception_int_div_zero 0
	.end_amdhsa_kernel
	.section	.text._ZN9rocsparseL42csr2bsr_wavefront_per_row_multipass_kernelILj256ELj32ELj16EdiiEEv20rocsparse_direction_T4_S2_S2_S2_S2_21rocsparse_index_base_PKT2_PKT3_PKS2_S3_PS4_PS7_PS2_,"axG",@progbits,_ZN9rocsparseL42csr2bsr_wavefront_per_row_multipass_kernelILj256ELj32ELj16EdiiEEv20rocsparse_direction_T4_S2_S2_S2_S2_21rocsparse_index_base_PKT2_PKT3_PKS2_S3_PS4_PS7_PS2_,comdat
.Lfunc_end113:
	.size	_ZN9rocsparseL42csr2bsr_wavefront_per_row_multipass_kernelILj256ELj32ELj16EdiiEEv20rocsparse_direction_T4_S2_S2_S2_S2_21rocsparse_index_base_PKT2_PKT3_PKS2_S3_PS4_PS7_PS2_, .Lfunc_end113-_ZN9rocsparseL42csr2bsr_wavefront_per_row_multipass_kernelILj256ELj32ELj16EdiiEEv20rocsparse_direction_T4_S2_S2_S2_S2_21rocsparse_index_base_PKT2_PKT3_PKS2_S3_PS4_PS7_PS2_
                                        ; -- End function
	.section	.AMDGPU.csdata,"",@progbits
; Kernel info:
; codeLenInByte = 1972
; NumSgprs: 52
; NumVgprs: 47
; NumAgprs: 0
; TotalNumVgprs: 47
; ScratchSize: 0
; MemoryBound: 0
; FloatMode: 240
; IeeeMode: 1
; LDSByteSize: 16392 bytes/workgroup (compile time only)
; SGPRBlocks: 6
; VGPRBlocks: 5
; NumSGPRsForWavesPerEU: 52
; NumVGPRsForWavesPerEU: 47
; AccumOffset: 48
; Occupancy: 3
; WaveLimiterHint : 0
; COMPUTE_PGM_RSRC2:SCRATCH_EN: 0
; COMPUTE_PGM_RSRC2:USER_SGPR: 2
; COMPUTE_PGM_RSRC2:TRAP_HANDLER: 0
; COMPUTE_PGM_RSRC2:TGID_X_EN: 1
; COMPUTE_PGM_RSRC2:TGID_Y_EN: 0
; COMPUTE_PGM_RSRC2:TGID_Z_EN: 0
; COMPUTE_PGM_RSRC2:TIDIG_COMP_CNT: 0
; COMPUTE_PGM_RSRC3_GFX90A:ACCUM_OFFSET: 11
; COMPUTE_PGM_RSRC3_GFX90A:TG_SPLIT: 0
	.section	.text._ZN9rocsparseL38csr2bsr_block_per_row_multipass_kernelILj256ELj32EdiiEEv20rocsparse_direction_T3_S2_S2_S2_S2_21rocsparse_index_base_PKT1_PKT2_PKS2_S3_PS4_PS7_PS2_,"axG",@progbits,_ZN9rocsparseL38csr2bsr_block_per_row_multipass_kernelILj256ELj32EdiiEEv20rocsparse_direction_T3_S2_S2_S2_S2_21rocsparse_index_base_PKT1_PKT2_PKS2_S3_PS4_PS7_PS2_,comdat
	.globl	_ZN9rocsparseL38csr2bsr_block_per_row_multipass_kernelILj256ELj32EdiiEEv20rocsparse_direction_T3_S2_S2_S2_S2_21rocsparse_index_base_PKT1_PKT2_PKS2_S3_PS4_PS7_PS2_ ; -- Begin function _ZN9rocsparseL38csr2bsr_block_per_row_multipass_kernelILj256ELj32EdiiEEv20rocsparse_direction_T3_S2_S2_S2_S2_21rocsparse_index_base_PKT1_PKT2_PKS2_S3_PS4_PS7_PS2_
	.p2align	8
	.type	_ZN9rocsparseL38csr2bsr_block_per_row_multipass_kernelILj256ELj32EdiiEEv20rocsparse_direction_T3_S2_S2_S2_S2_21rocsparse_index_base_PKT1_PKT2_PKS2_S3_PS4_PS7_PS2_,@function
_ZN9rocsparseL38csr2bsr_block_per_row_multipass_kernelILj256ELj32EdiiEEv20rocsparse_direction_T3_S2_S2_S2_S2_21rocsparse_index_base_PKT1_PKT2_PKS2_S3_PS4_PS7_PS2_: ; @_ZN9rocsparseL38csr2bsr_block_per_row_multipass_kernelILj256ELj32EdiiEEv20rocsparse_direction_T3_S2_S2_S2_S2_21rocsparse_index_base_PKT1_PKT2_PKS2_S3_PS4_PS7_PS2_
; %bb.0:
	s_load_dwordx4 s[20:23], s[0:1], 0x10
	s_load_dwordx2 s[6:7], s[0:1], 0x0
	s_load_dwordx2 s[8:9], s[0:1], 0x28
	v_lshrrev_b32_e32 v1, 3, v0
	v_mov_b32_e32 v18, 0
	s_waitcnt lgkmcnt(0)
	s_mul_i32 s3, s2, s21
	v_add_u32_e32 v2, s3, v1
	v_cmp_gt_i32_e64 s[4:5], s7, v2
	v_cmp_gt_i32_e32 vcc, s21, v1
	s_and_b64 s[4:5], vcc, s[4:5]
	v_mov_b32_e32 v27, 0
	s_and_saveexec_b64 s[10:11], s[4:5]
	s_cbranch_execnz .LBB114_3
; %bb.1:
	s_or_b64 exec, exec, s[10:11]
	s_and_saveexec_b64 s[10:11], s[4:5]
	s_cbranch_execnz .LBB114_4
.LBB114_2:
	s_or_b64 exec, exec, s[10:11]
	s_cmp_lt_i32 s20, 1
	s_cbranch_scc0 .LBB114_5
	s_branch .LBB114_41
.LBB114_3:
	v_ashrrev_i32_e32 v3, 31, v2
	v_lshl_add_u64 v[4:5], v[2:3], 2, s[8:9]
	global_load_dword v3, v[4:5], off
	s_waitcnt vmcnt(0)
	v_subrev_u32_e32 v27, s22, v3
	s_or_b64 exec, exec, s[10:11]
	s_and_saveexec_b64 s[10:11], s[4:5]
	s_cbranch_execz .LBB114_2
.LBB114_4:
	v_ashrrev_i32_e32 v3, 31, v2
	v_lshl_add_u64 v[2:3], v[2:3], 2, s[8:9]
	global_load_dword v2, v[2:3], off offset:4
	s_waitcnt vmcnt(0)
	v_subrev_u32_e32 v18, s22, v2
	s_or_b64 exec, exec, s[10:11]
	s_cmp_lt_i32 s20, 1
	s_cbranch_scc1 .LBB114_41
.LBB114_5:
	s_load_dwordx4 s[8:11], s[0:1], 0x40
	s_load_dwordx2 s[24:25], s[0:1], 0x50
	s_load_dword s23, s[0:1], 0x38
	s_ashr_i32 s3, s2, 31
	s_lshl_b64 s[2:3], s[2:3], 2
	s_waitcnt lgkmcnt(0)
	s_add_u32 s2, s10, s2
	s_addc_u32 s3, s11, s3
	s_load_dword s4, s[2:3], 0x0
	s_load_dwordx2 s[26:27], s[0:1], 0x20
	s_load_dwordx2 s[28:29], s[0:1], 0x30
	v_mbcnt_lo_u32_b32 v2, -1, 0
	v_mbcnt_hi_u32_b32 v2, -1, v2
	s_waitcnt lgkmcnt(0)
	s_sub_i32 s30, s4, s23
	s_cmp_eq_u32 s6, 0
	s_cselect_b64 s[0:1], -1, 0
	s_abs_i32 s51, s21
	v_cvt_f32_u32_e32 v10, s51
	v_lshl_or_b32 v22, v2, 2, 28
	v_lshlrev_b32_e32 v2, 3, v1
	v_mov_b32_e32 v3, 0
	v_and_b32_e32 v19, 7, v0
	v_lshlrev_b32_e32 v20, 5, v1
	v_lshl_add_u64 v[4:5], s[8:9], 0, v[2:3]
	v_mul_lo_u32 v2, v1, s21
	s_movk_i32 s2, 0x80
	v_lshl_add_u64 v[6:7], v[2:3], 3, s[8:9]
	v_lshlrev_b32_e32 v23, 2, v0
	v_cmp_gt_u32_e64 s[2:3], s2, v0
	v_cmp_gt_u32_e64 s[4:5], 64, v0
	;; [unrolled: 1-line block ×7, first 2 shown]
	v_cmp_eq_u32_e64 s[16:17], 0, v0
	v_or_b32_e32 v0, v20, v19
	v_rcp_iflag_f32_e32 v12, v10
	v_lshlrev_b32_e32 v24, 3, v0
	v_cmp_gt_u32_e64 s[18:19], s21, v19
	v_or_b32_e32 v0, 8, v19
	s_and_b64 s[34:35], vcc, s[18:19]
	v_cmp_gt_u32_e64 s[18:19], s21, v0
	v_or_b32_e32 v8, 16, v19
	s_and_b64 s[36:37], vcc, s[18:19]
	;; [unrolled: 3-line block ×3, first 2 shown]
	v_cmp_gt_u32_e64 s[18:19], s21, v11
	v_mul_f32_e32 v11, 0x4f7ffffe, v12
	v_cvt_u32_f32_e32 v12, v11
	v_lshlrev_b32_e32 v2, 3, v19
	v_lshl_add_u64 v[6:7], v[6:7], 0, v[2:3]
	v_mul_lo_u32 v2, v19, s21
	s_lshl_b32 s31, s21, 3
	s_and_b64 s[40:41], vcc, s[18:19]
	s_sub_i32 s18, 0, s51
	s_mov_b32 s42, 0
	v_add_u32_e32 v0, s31, v2
	v_mul_lo_u32 v13, s18, v12
	v_add_u32_e32 v8, s31, v0
	v_mul_hi_u32 v13, v12, v13
	s_mov_b32 s43, s42
	v_mov_b32_e32 v21, 0
	s_mul_hi_u32 s33, s21, s21
	s_mul_i32 s50, s21, s21
	v_mov_b32_e32 v1, v3
	v_mov_b32_e32 v9, v3
	v_add_u32_e32 v10, s31, v8
	v_mov_b32_e32 v11, v3
	s_ashr_i32 s52, s21, 31
	v_add_u32_e32 v25, v12, v13
	v_mov_b64_e32 v[12:13], s[42:43]
	s_mov_b64 s[42:43], 0x80
	s_mov_b64 s[44:45], 0xc0
	v_mov_b32_e32 v26, 1
	v_mov_b32_e32 v16, 0
	s_branch .LBB114_7
.LBB114_6:                              ;   in Loop: Header=BB114_7 Depth=1
	s_or_b64 exec, exec, s[18:19]
	s_waitcnt lgkmcnt(0)
	s_barrier
	ds_read_b32 v16, v3
	s_add_i32 s30, s31, s30
	s_waitcnt lgkmcnt(0)
	s_barrier
	v_cmp_gt_i32_e32 vcc, s20, v16
	s_cbranch_vccz .LBB114_41
.LBB114_7:                              ; =>This Loop Header: Depth=1
                                        ;     Child Loop BB114_10 Depth 2
	v_add_u32_e32 v14, v27, v19
	v_cmp_lt_i32_e32 vcc, v14, v18
	v_mov_b32_e32 v28, s20
	v_mov_b32_e32 v27, v18
	ds_write_b8 v3, v21 offset:8192
	ds_write2_b64 v24, v[12:13], v[12:13] offset1:8
	ds_write2_b64 v24, v[12:13], v[12:13] offset0:16 offset1:24
	s_waitcnt lgkmcnt(0)
	s_barrier
	s_and_saveexec_b64 s[46:47], vcc
	s_cbranch_execz .LBB114_15
; %bb.8:                                ;   in Loop: Header=BB114_7 Depth=1
	v_mul_lo_u32 v17, v16, s21
	s_mov_b64 s[48:49], 0
	v_mov_b32_e32 v28, s20
	v_mov_b32_e32 v27, v18
	s_branch .LBB114_10
.LBB114_9:                              ;   in Loop: Header=BB114_10 Depth=2
	s_or_b64 exec, exec, s[18:19]
	v_add_u32_e32 v14, 8, v14
	v_cmp_ge_i32_e64 s[18:19], v14, v18
	s_xor_b64 s[54:55], vcc, -1
	s_or_b64 s[18:19], s[54:55], s[18:19]
	s_and_b64 s[18:19], exec, s[18:19]
	s_or_b64 s[48:49], s[18:19], s[48:49]
	s_andn2_b64 exec, exec, s[48:49]
	s_cbranch_execz .LBB114_14
.LBB114_10:                             ;   Parent Loop BB114_7 Depth=1
                                        ; =>  This Inner Loop Header: Depth=2
	v_ashrrev_i32_e32 v15, 31, v14
	v_lshl_add_u64 v[30:31], v[14:15], 2, s[28:29]
	global_load_dword v29, v[30:31], off
	s_waitcnt vmcnt(0)
	v_subrev_u32_e32 v29, s22, v29
	v_sub_u32_e32 v31, 0, v29
	v_max_i32_e32 v31, v29, v31
	v_mul_hi_u32 v32, v31, v25
	v_mul_lo_u32 v33, v32, s51
	v_sub_u32_e32 v31, v31, v33
	v_add_u32_e32 v34, 1, v32
	v_cmp_le_u32_e32 vcc, s51, v31
	v_subrev_u32_e32 v33, s51, v31
	v_ashrrev_i32_e32 v30, 31, v29
	v_cndmask_b32_e32 v32, v32, v34, vcc
	v_cndmask_b32_e32 v31, v31, v33, vcc
	v_add_u32_e32 v33, 1, v32
	v_cmp_le_u32_e32 vcc, s51, v31
	v_xor_b32_e32 v30, s52, v30
	s_nop 0
	v_cndmask_b32_e32 v31, v32, v33, vcc
	v_xor_b32_e32 v31, v31, v30
	v_sub_u32_e32 v31, v31, v30
	v_cmp_eq_u32_e32 vcc, v31, v16
	v_cmp_ne_u32_e64 s[18:19], v31, v16
	v_mov_b32_e32 v30, v27
	s_and_saveexec_b64 s[54:55], s[18:19]
	s_xor_b64 s[18:19], exec, s[54:55]
; %bb.11:                               ;   in Loop: Header=BB114_10 Depth=2
	v_min_i32_e32 v28, v31, v28
                                        ; implicit-def: $vgpr29
                                        ; implicit-def: $vgpr30
; %bb.12:                               ;   in Loop: Header=BB114_10 Depth=2
	s_or_saveexec_b64 s[18:19], s[18:19]
	v_mov_b32_e32 v27, v14
	s_xor_b64 exec, exec, s[18:19]
	s_cbranch_execz .LBB114_9
; %bb.13:                               ;   in Loop: Header=BB114_10 Depth=2
	v_lshl_add_u64 v[32:33], v[14:15], 3, s[26:27]
	global_load_dwordx2 v[32:33], v[32:33], off
	v_sub_u32_e32 v15, v29, v17
	v_add_lshl_u32 v15, v15, v20, 3
	v_mov_b32_e32 v27, v30
	ds_write_b8 v3, v26 offset:8192
	s_waitcnt vmcnt(0)
	ds_write_b64 v15, v[32:33]
	s_branch .LBB114_9
.LBB114_14:                             ;   in Loop: Header=BB114_7 Depth=1
	s_or_b64 exec, exec, s[48:49]
.LBB114_15:                             ;   in Loop: Header=BB114_7 Depth=1
	s_or_b64 exec, exec, s[46:47]
	v_mov_b32_dpp v14, v27 row_shr:1 row_mask:0xf bank_mask:0xf
	v_min_i32_e32 v14, v14, v27
	s_waitcnt lgkmcnt(0)
	s_barrier
	v_mov_b32_dpp v15, v14 row_shr:2 row_mask:0xf bank_mask:0xf
	v_min_i32_e32 v14, v15, v14
	ds_read_u8 v15, v3 offset:8192
	s_nop 0
	v_mov_b32_dpp v17, v14 row_shr:4 row_mask:0xf bank_mask:0xe
	v_min_i32_e32 v14, v17, v14
	ds_bpermute_b32 v27, v22, v14
	s_mov_b32 s31, 0
	s_waitcnt lgkmcnt(1)
	v_cmp_eq_u32_e32 vcc, 0, v15
	s_cbranch_vccnz .LBB114_22
; %bb.16:                               ;   in Loop: Header=BB114_7 Depth=1
	s_ashr_i32 s31, s30, 31
	s_lshl_b64 s[18:19], s[30:31], 2
	s_add_u32 s18, s24, s18
	v_add_u32_e32 v14, s23, v16
	s_addc_u32 s19, s25, s19
	global_store_dword v3, v14, s[18:19]
	s_mul_hi_u32 s18, s50, s30
	s_mul_i32 s19, s50, s31
	s_add_i32 s18, s18, s19
	s_mul_i32 s19, s33, s30
	s_add_i32 s19, s18, s19
	s_mul_i32 s18, s50, s30
	s_lshl_b64 s[18:19], s[18:19], 3
	v_lshl_add_u64 v[14:15], v[4:5], 0, s[18:19]
	v_lshl_add_u64 v[16:17], v[6:7], 0, s[18:19]
	s_and_saveexec_b64 s[18:19], s[34:35]
	s_cbranch_execnz .LBB114_38
; %bb.17:                               ;   in Loop: Header=BB114_7 Depth=1
	s_or_b64 exec, exec, s[18:19]
	s_and_saveexec_b64 s[18:19], s[36:37]
	s_cbranch_execnz .LBB114_39
.LBB114_18:                             ;   in Loop: Header=BB114_7 Depth=1
	s_or_b64 exec, exec, s[18:19]
	s_and_saveexec_b64 s[18:19], s[38:39]
	s_cbranch_execnz .LBB114_40
.LBB114_19:                             ;   in Loop: Header=BB114_7 Depth=1
	s_or_b64 exec, exec, s[18:19]
	s_and_saveexec_b64 s[18:19], s[40:41]
	s_cbranch_execz .LBB114_21
.LBB114_20:                             ;   in Loop: Header=BB114_7 Depth=1
	ds_read_b64 v[30:31], v24 offset:192
	v_lshl_add_u64 v[16:17], v[16:17], 0, s[44:45]
	v_lshl_add_u64 v[14:15], v[10:11], 3, v[14:15]
	v_cndmask_b32_e64 v15, v15, v17, s[0:1]
	v_cndmask_b32_e64 v14, v14, v16, s[0:1]
	s_waitcnt lgkmcnt(0)
	global_store_dwordx2 v[14:15], v[30:31], off
.LBB114_21:                             ;   in Loop: Header=BB114_7 Depth=1
	s_or_b64 exec, exec, s[18:19]
	s_mov_b32 s31, 1
.LBB114_22:                             ;   in Loop: Header=BB114_7 Depth=1
	s_waitcnt lgkmcnt(0)
	s_barrier
	ds_write_b32 v23, v28
	s_waitcnt lgkmcnt(0)
	s_barrier
	s_and_saveexec_b64 s[18:19], s[2:3]
	s_cbranch_execz .LBB114_24
; %bb.23:                               ;   in Loop: Header=BB114_7 Depth=1
	ds_read2st64_b32 v[14:15], v23 offset1:2
	s_waitcnt lgkmcnt(0)
	v_min_i32_e32 v14, v15, v14
	ds_write_b32 v23, v14
.LBB114_24:                             ;   in Loop: Header=BB114_7 Depth=1
	s_or_b64 exec, exec, s[18:19]
	s_waitcnt lgkmcnt(0)
	s_barrier
	s_and_saveexec_b64 s[18:19], s[4:5]
	s_cbranch_execz .LBB114_26
; %bb.25:                               ;   in Loop: Header=BB114_7 Depth=1
	ds_read2st64_b32 v[14:15], v23 offset1:1
	s_waitcnt lgkmcnt(0)
	v_min_i32_e32 v14, v15, v14
	ds_write_b32 v23, v14
.LBB114_26:                             ;   in Loop: Header=BB114_7 Depth=1
	s_or_b64 exec, exec, s[18:19]
	s_waitcnt lgkmcnt(0)
	s_barrier
	s_and_saveexec_b64 s[18:19], s[6:7]
	s_cbranch_execz .LBB114_28
; %bb.27:                               ;   in Loop: Header=BB114_7 Depth=1
	ds_read2_b32 v[14:15], v23 offset1:32
	s_waitcnt lgkmcnt(0)
	v_min_i32_e32 v14, v15, v14
	ds_write_b32 v23, v14
.LBB114_28:                             ;   in Loop: Header=BB114_7 Depth=1
	s_or_b64 exec, exec, s[18:19]
	s_waitcnt lgkmcnt(0)
	s_barrier
	s_and_saveexec_b64 s[18:19], s[8:9]
	s_cbranch_execz .LBB114_30
; %bb.29:                               ;   in Loop: Header=BB114_7 Depth=1
	ds_read2_b32 v[14:15], v23 offset1:16
	s_waitcnt lgkmcnt(0)
	v_min_i32_e32 v14, v15, v14
	ds_write_b32 v23, v14
.LBB114_30:                             ;   in Loop: Header=BB114_7 Depth=1
	;; [unrolled: 11-line block ×5, first 2 shown]
	s_or_b64 exec, exec, s[18:19]
	s_waitcnt lgkmcnt(0)
	s_barrier
	s_and_saveexec_b64 s[18:19], s[16:17]
	s_cbranch_execz .LBB114_6
; %bb.37:                               ;   in Loop: Header=BB114_7 Depth=1
	ds_read_b64 v[14:15], v3
	s_waitcnt lgkmcnt(0)
	v_min_i32_e32 v14, v15, v14
	ds_write_b32 v3, v14
	s_branch .LBB114_6
.LBB114_38:                             ;   in Loop: Header=BB114_7 Depth=1
	ds_read_b64 v[30:31], v24
	v_lshl_add_u64 v[32:33], v[2:3], 3, v[14:15]
	v_cndmask_b32_e64 v33, v33, v17, s[0:1]
	v_cndmask_b32_e64 v32, v32, v16, s[0:1]
	s_waitcnt lgkmcnt(0)
	global_store_dwordx2 v[32:33], v[30:31], off
	s_or_b64 exec, exec, s[18:19]
	s_and_saveexec_b64 s[18:19], s[36:37]
	s_cbranch_execz .LBB114_18
.LBB114_39:                             ;   in Loop: Header=BB114_7 Depth=1
	ds_read_b64 v[30:31], v24 offset:64
	v_lshl_add_u64 v[32:33], v[16:17], 0, 64
	v_lshl_add_u64 v[34:35], v[0:1], 3, v[14:15]
	v_cndmask_b32_e64 v33, v35, v33, s[0:1]
	v_cndmask_b32_e64 v32, v34, v32, s[0:1]
	s_waitcnt lgkmcnt(0)
	global_store_dwordx2 v[32:33], v[30:31], off
	s_or_b64 exec, exec, s[18:19]
	s_and_saveexec_b64 s[18:19], s[38:39]
	s_cbranch_execz .LBB114_19
.LBB114_40:                             ;   in Loop: Header=BB114_7 Depth=1
	ds_read_b64 v[30:31], v24 offset:128
	v_lshl_add_u64 v[32:33], v[16:17], 0, s[42:43]
	v_lshl_add_u64 v[34:35], v[8:9], 3, v[14:15]
	v_cndmask_b32_e64 v33, v35, v33, s[0:1]
	v_cndmask_b32_e64 v32, v34, v32, s[0:1]
	s_waitcnt lgkmcnt(0)
	global_store_dwordx2 v[32:33], v[30:31], off
	s_or_b64 exec, exec, s[18:19]
	s_and_saveexec_b64 s[18:19], s[40:41]
	s_cbranch_execnz .LBB114_20
	s_branch .LBB114_21
.LBB114_41:
	s_endpgm
	.section	.rodata,"a",@progbits
	.p2align	6, 0x0
	.amdhsa_kernel _ZN9rocsparseL38csr2bsr_block_per_row_multipass_kernelILj256ELj32EdiiEEv20rocsparse_direction_T3_S2_S2_S2_S2_21rocsparse_index_base_PKT1_PKT2_PKS2_S3_PS4_PS7_PS2_
		.amdhsa_group_segment_fixed_size 8200
		.amdhsa_private_segment_fixed_size 0
		.amdhsa_kernarg_size 88
		.amdhsa_user_sgpr_count 2
		.amdhsa_user_sgpr_dispatch_ptr 0
		.amdhsa_user_sgpr_queue_ptr 0
		.amdhsa_user_sgpr_kernarg_segment_ptr 1
		.amdhsa_user_sgpr_dispatch_id 0
		.amdhsa_user_sgpr_kernarg_preload_length 0
		.amdhsa_user_sgpr_kernarg_preload_offset 0
		.amdhsa_user_sgpr_private_segment_size 0
		.amdhsa_uses_dynamic_stack 0
		.amdhsa_enable_private_segment 0
		.amdhsa_system_sgpr_workgroup_id_x 1
		.amdhsa_system_sgpr_workgroup_id_y 0
		.amdhsa_system_sgpr_workgroup_id_z 0
		.amdhsa_system_sgpr_workgroup_info 0
		.amdhsa_system_vgpr_workitem_id 0
		.amdhsa_next_free_vgpr 36
		.amdhsa_next_free_sgpr 56
		.amdhsa_accum_offset 36
		.amdhsa_reserve_vcc 1
		.amdhsa_float_round_mode_32 0
		.amdhsa_float_round_mode_16_64 0
		.amdhsa_float_denorm_mode_32 3
		.amdhsa_float_denorm_mode_16_64 3
		.amdhsa_dx10_clamp 1
		.amdhsa_ieee_mode 1
		.amdhsa_fp16_overflow 0
		.amdhsa_tg_split 0
		.amdhsa_exception_fp_ieee_invalid_op 0
		.amdhsa_exception_fp_denorm_src 0
		.amdhsa_exception_fp_ieee_div_zero 0
		.amdhsa_exception_fp_ieee_overflow 0
		.amdhsa_exception_fp_ieee_underflow 0
		.amdhsa_exception_fp_ieee_inexact 0
		.amdhsa_exception_int_div_zero 0
	.end_amdhsa_kernel
	.section	.text._ZN9rocsparseL38csr2bsr_block_per_row_multipass_kernelILj256ELj32EdiiEEv20rocsparse_direction_T3_S2_S2_S2_S2_21rocsparse_index_base_PKT1_PKT2_PKS2_S3_PS4_PS7_PS2_,"axG",@progbits,_ZN9rocsparseL38csr2bsr_block_per_row_multipass_kernelILj256ELj32EdiiEEv20rocsparse_direction_T3_S2_S2_S2_S2_21rocsparse_index_base_PKT1_PKT2_PKS2_S3_PS4_PS7_PS2_,comdat
.Lfunc_end114:
	.size	_ZN9rocsparseL38csr2bsr_block_per_row_multipass_kernelILj256ELj32EdiiEEv20rocsparse_direction_T3_S2_S2_S2_S2_21rocsparse_index_base_PKT1_PKT2_PKS2_S3_PS4_PS7_PS2_, .Lfunc_end114-_ZN9rocsparseL38csr2bsr_block_per_row_multipass_kernelILj256ELj32EdiiEEv20rocsparse_direction_T3_S2_S2_S2_S2_21rocsparse_index_base_PKT1_PKT2_PKS2_S3_PS4_PS7_PS2_
                                        ; -- End function
	.section	.AMDGPU.csdata,"",@progbits
; Kernel info:
; codeLenInByte = 1812
; NumSgprs: 62
; NumVgprs: 36
; NumAgprs: 0
; TotalNumVgprs: 36
; ScratchSize: 0
; MemoryBound: 0
; FloatMode: 240
; IeeeMode: 1
; LDSByteSize: 8200 bytes/workgroup (compile time only)
; SGPRBlocks: 7
; VGPRBlocks: 4
; NumSGPRsForWavesPerEU: 62
; NumVGPRsForWavesPerEU: 36
; AccumOffset: 36
; Occupancy: 7
; WaveLimiterHint : 0
; COMPUTE_PGM_RSRC2:SCRATCH_EN: 0
; COMPUTE_PGM_RSRC2:USER_SGPR: 2
; COMPUTE_PGM_RSRC2:TRAP_HANDLER: 0
; COMPUTE_PGM_RSRC2:TGID_X_EN: 1
; COMPUTE_PGM_RSRC2:TGID_Y_EN: 0
; COMPUTE_PGM_RSRC2:TGID_Z_EN: 0
; COMPUTE_PGM_RSRC2:TIDIG_COMP_CNT: 0
; COMPUTE_PGM_RSRC3_GFX90A:ACCUM_OFFSET: 8
; COMPUTE_PGM_RSRC3_GFX90A:TG_SPLIT: 0
	.section	.text._ZN9rocsparseL38csr2bsr_block_per_row_multipass_kernelILj256ELj64EdiiEEv20rocsparse_direction_T3_S2_S2_S2_S2_21rocsparse_index_base_PKT1_PKT2_PKS2_S3_PS4_PS7_PS2_,"axG",@progbits,_ZN9rocsparseL38csr2bsr_block_per_row_multipass_kernelILj256ELj64EdiiEEv20rocsparse_direction_T3_S2_S2_S2_S2_21rocsparse_index_base_PKT1_PKT2_PKS2_S3_PS4_PS7_PS2_,comdat
	.globl	_ZN9rocsparseL38csr2bsr_block_per_row_multipass_kernelILj256ELj64EdiiEEv20rocsparse_direction_T3_S2_S2_S2_S2_21rocsparse_index_base_PKT1_PKT2_PKS2_S3_PS4_PS7_PS2_ ; -- Begin function _ZN9rocsparseL38csr2bsr_block_per_row_multipass_kernelILj256ELj64EdiiEEv20rocsparse_direction_T3_S2_S2_S2_S2_21rocsparse_index_base_PKT1_PKT2_PKS2_S3_PS4_PS7_PS2_
	.p2align	8
	.type	_ZN9rocsparseL38csr2bsr_block_per_row_multipass_kernelILj256ELj64EdiiEEv20rocsparse_direction_T3_S2_S2_S2_S2_21rocsparse_index_base_PKT1_PKT2_PKS2_S3_PS4_PS7_PS2_,@function
_ZN9rocsparseL38csr2bsr_block_per_row_multipass_kernelILj256ELj64EdiiEEv20rocsparse_direction_T3_S2_S2_S2_S2_21rocsparse_index_base_PKT1_PKT2_PKS2_S3_PS4_PS7_PS2_: ; @_ZN9rocsparseL38csr2bsr_block_per_row_multipass_kernelILj256ELj64EdiiEEv20rocsparse_direction_T3_S2_S2_S2_S2_21rocsparse_index_base_PKT1_PKT2_PKS2_S3_PS4_PS7_PS2_
; %bb.0:
	s_load_dwordx4 s[20:23], s[0:1], 0x10
	s_load_dwordx2 s[6:7], s[0:1], 0x0
	s_load_dwordx2 s[8:9], s[0:1], 0x28
	v_lshrrev_b32_e32 v1, 2, v0
	v_mov_b32_e32 v42, 0
	s_waitcnt lgkmcnt(0)
	s_mul_i32 s3, s2, s21
	v_add_u32_e32 v2, s3, v1
	v_cmp_gt_i32_e64 s[4:5], s7, v2
	v_cmp_gt_i32_e32 vcc, s21, v1
	s_and_b64 s[4:5], vcc, s[4:5]
	v_mov_b32_e32 v49, 0
	s_and_saveexec_b64 s[10:11], s[4:5]
	s_cbranch_execnz .LBB115_3
; %bb.1:
	s_or_b64 exec, exec, s[10:11]
	s_and_saveexec_b64 s[10:11], s[4:5]
	s_cbranch_execnz .LBB115_4
.LBB115_2:
	s_or_b64 exec, exec, s[10:11]
	s_cmp_lt_i32 s20, 1
	s_cbranch_scc0 .LBB115_5
	s_branch .LBB115_65
.LBB115_3:
	v_ashrrev_i32_e32 v3, 31, v2
	v_lshl_add_u64 v[4:5], v[2:3], 2, s[8:9]
	global_load_dword v3, v[4:5], off
	s_waitcnt vmcnt(0)
	v_subrev_u32_e32 v49, s22, v3
	s_or_b64 exec, exec, s[10:11]
	s_and_saveexec_b64 s[10:11], s[4:5]
	s_cbranch_execz .LBB115_2
.LBB115_4:
	v_ashrrev_i32_e32 v3, 31, v2
	v_lshl_add_u64 v[2:3], v[2:3], 2, s[8:9]
	global_load_dword v2, v[2:3], off offset:4
	s_waitcnt vmcnt(0)
	v_subrev_u32_e32 v42, s22, v2
	s_or_b64 exec, exec, s[10:11]
	s_cmp_lt_i32 s20, 1
	s_cbranch_scc1 .LBB115_65
.LBB115_5:
	s_load_dwordx4 s[8:11], s[0:1], 0x40
	s_load_dwordx2 s[24:25], s[0:1], 0x50
	s_load_dword s23, s[0:1], 0x38
	s_ashr_i32 s3, s2, 31
	s_lshl_b64 s[2:3], s[2:3], 2
	s_waitcnt lgkmcnt(0)
	s_add_u32 s2, s10, s2
	s_addc_u32 s3, s11, s3
	s_load_dword s4, s[2:3], 0x0
	s_load_dwordx2 s[26:27], s[0:1], 0x20
	s_load_dwordx2 s[28:29], s[0:1], 0x30
	v_mbcnt_lo_u32_b32 v2, -1, 0
	v_mbcnt_hi_u32_b32 v2, -1, v2
	v_lshl_or_b32 v46, v2, 2, 12
	v_lshlrev_b32_e32 v2, 3, v1
	v_mov_b32_e32 v3, 0
	v_and_b32_e32 v43, 3, v0
	v_lshlrev_b32_e32 v44, 6, v1
	s_waitcnt lgkmcnt(0)
	s_sub_i32 s30, s4, s23
	v_lshl_add_u64 v[4:5], s[8:9], 0, v[2:3]
	v_mul_lo_u32 v2, v1, s21
	s_movk_i32 s2, 0x80
	s_cmp_eq_u32 s6, 0
	v_lshl_add_u64 v[6:7], v[2:3], 3, s[8:9]
	v_lshlrev_b32_e32 v47, 2, v0
	v_cmp_gt_u32_e64 s[2:3], s2, v0
	v_cmp_gt_u32_e64 s[4:5], 64, v0
	;; [unrolled: 1-line block ×7, first 2 shown]
	v_cmp_eq_u32_e64 s[16:17], 0, v0
	v_or_b32_e32 v0, v44, v43
	v_lshlrev_b32_e32 v48, 3, v0
	v_cmp_gt_u32_e64 s[18:19], s21, v43
	v_or_b32_e32 v0, 4, v43
	s_cselect_b64 s[0:1], -1, 0
	s_and_b64 s[34:35], vcc, s[18:19]
	v_cmp_gt_u32_e64 s[18:19], s21, v0
	v_or_b32_e32 v8, 8, v43
	s_and_b64 s[36:37], vcc, s[18:19]
	v_cmp_gt_u32_e64 s[18:19], s21, v8
	v_or_b32_e32 v10, 12, v43
	;; [unrolled: 3-line block ×5, first 2 shown]
	v_lshlrev_b32_e32 v2, 3, v43
	s_and_b64 s[44:45], vcc, s[18:19]
	v_cmp_gt_u32_e64 s[18:19], s21, v16
	v_or_b32_e32 v18, 28, v43
	s_abs_i32 s97, s21
	v_lshl_add_u64 v[6:7], v[6:7], 0, v[2:3]
	v_mul_lo_u32 v2, v43, s21
	s_lshl_b32 s31, s21, 2
	s_and_b64 s[46:47], vcc, s[18:19]
	v_cmp_gt_u32_e64 s[18:19], s21, v18
	v_or_b32_e32 v20, 32, v43
	v_cvt_f32_u32_e32 v34, s97
	v_add_u32_e32 v0, s31, v2
	s_and_b64 s[48:49], vcc, s[18:19]
	v_cmp_gt_u32_e64 s[18:19], s21, v20
	v_or_b32_e32 v22, 36, v43
	v_add_u32_e32 v8, s31, v0
	s_and_b64 s[50:51], vcc, s[18:19]
	v_cmp_gt_u32_e64 s[18:19], s21, v22
	v_or_b32_e32 v24, 40, v43
	;; [unrolled: 4-line block ×4, first 2 shown]
	v_rcp_iflag_f32_e32 v36, v34
	v_add_u32_e32 v14, s31, v12
	s_and_b64 s[56:57], vcc, s[18:19]
	v_cmp_gt_u32_e64 s[18:19], s21, v28
	v_or_b32_e32 v30, 52, v43
	v_add_u32_e32 v16, s31, v14
	s_and_b64 s[58:59], vcc, s[18:19]
	v_cmp_gt_u32_e64 s[18:19], s21, v30
	v_or_b32_e32 v32, 56, v43
	;; [unrolled: 4-line block ×3, first 2 shown]
	v_add_u32_e32 v20, s31, v18
	s_and_b64 s[62:63], vcc, s[18:19]
	v_cmp_gt_u32_e64 s[18:19], s21, v35
	v_mul_f32_e32 v35, 0x4f7ffffe, v36
	v_add_u32_e32 v22, s31, v20
	v_cvt_u32_f32_e32 v36, v35
	v_add_u32_e32 v24, s31, v22
	v_add_u32_e32 v26, s31, v24
	;; [unrolled: 1-line block ×3, first 2 shown]
	s_and_b64 s[64:65], vcc, s[18:19]
	s_sub_i32 s18, 0, s97
	s_mov_b32 s66, 0
	v_add_u32_e32 v30, s31, v28
	v_mul_lo_u32 v37, s18, v36
	v_add_u32_e32 v32, s31, v30
	v_mul_hi_u32 v37, v36, v37
	s_mov_b32 s67, s66
	v_mov_b32_e32 v45, 0
	s_mul_hi_u32 s33, s21, s21
	s_mul_i32 s96, s21, s21
	v_mov_b32_e32 v1, v3
	v_mov_b32_e32 v9, v3
	;; [unrolled: 1-line block ×14, first 2 shown]
	v_add_u32_e32 v34, s31, v32
	v_mov_b32_e32 v35, v3
	s_ashr_i32 s98, s21, 31
	v_add_u32_e32 v50, v36, v37
	v_mov_b64_e32 v[36:37], s[66:67]
	s_mov_b64 s[70:71], 0xa0
	s_mov_b64 s[72:73], 0xc0
	;; [unrolled: 1-line block ×11, first 2 shown]
	v_mov_b32_e32 v51, 1
	v_mov_b32_e32 v40, 0
	s_branch .LBB115_7
.LBB115_6:                              ;   in Loop: Header=BB115_7 Depth=1
	s_or_b64 exec, exec, s[18:19]
	s_waitcnt lgkmcnt(0)
	s_barrier
	ds_read_b32 v40, v3
	s_add_i32 s30, s31, s30
	s_waitcnt lgkmcnt(0)
	s_barrier
	v_cmp_gt_i32_e32 vcc, s20, v40
	s_cbranch_vccz .LBB115_65
.LBB115_7:                              ; =>This Loop Header: Depth=1
                                        ;     Child Loop BB115_10 Depth 2
	v_add_u32_e32 v38, v49, v43
	v_cmp_lt_i32_e32 vcc, v38, v42
	v_mov_b32_e32 v52, s20
	v_mov_b32_e32 v49, v42
	ds_write_b8 v3, v45 offset:32768
	ds_write2_b64 v48, v[36:37], v[36:37] offset1:4
	ds_write2_b64 v48, v[36:37], v[36:37] offset0:8 offset1:12
	ds_write2_b64 v48, v[36:37], v[36:37] offset0:16 offset1:20
	;; [unrolled: 1-line block ×7, first 2 shown]
	s_waitcnt lgkmcnt(0)
	s_barrier
	s_and_saveexec_b64 s[92:93], vcc
	s_cbranch_execz .LBB115_15
; %bb.8:                                ;   in Loop: Header=BB115_7 Depth=1
	v_mul_lo_u32 v41, v40, s21
	s_mov_b64 s[94:95], 0
	v_mov_b32_e32 v52, s20
	v_mov_b32_e32 v49, v42
	s_branch .LBB115_10
.LBB115_9:                              ;   in Loop: Header=BB115_10 Depth=2
	s_or_b64 exec, exec, s[18:19]
	v_add_u32_e32 v38, 4, v38
	v_cmp_ge_i32_e64 s[18:19], v38, v42
	s_xor_b64 s[66:67], vcc, -1
	s_or_b64 s[18:19], s[66:67], s[18:19]
	s_and_b64 s[18:19], exec, s[18:19]
	s_or_b64 s[94:95], s[18:19], s[94:95]
	s_andn2_b64 exec, exec, s[94:95]
	s_cbranch_execz .LBB115_14
.LBB115_10:                             ;   Parent Loop BB115_7 Depth=1
                                        ; =>  This Inner Loop Header: Depth=2
	v_ashrrev_i32_e32 v39, 31, v38
	v_lshl_add_u64 v[54:55], v[38:39], 2, s[28:29]
	global_load_dword v53, v[54:55], off
	s_waitcnt vmcnt(0)
	v_subrev_u32_e32 v53, s22, v53
	v_sub_u32_e32 v55, 0, v53
	v_max_i32_e32 v55, v53, v55
	v_mul_hi_u32 v56, v55, v50
	v_mul_lo_u32 v57, v56, s97
	v_sub_u32_e32 v55, v55, v57
	v_add_u32_e32 v58, 1, v56
	v_cmp_le_u32_e32 vcc, s97, v55
	v_subrev_u32_e32 v57, s97, v55
	v_ashrrev_i32_e32 v54, 31, v53
	v_cndmask_b32_e32 v56, v56, v58, vcc
	v_cndmask_b32_e32 v55, v55, v57, vcc
	v_add_u32_e32 v57, 1, v56
	v_cmp_le_u32_e32 vcc, s97, v55
	v_xor_b32_e32 v54, s98, v54
	s_nop 0
	v_cndmask_b32_e32 v55, v56, v57, vcc
	v_xor_b32_e32 v55, v55, v54
	v_sub_u32_e32 v55, v55, v54
	v_cmp_eq_u32_e32 vcc, v55, v40
	v_cmp_ne_u32_e64 s[18:19], v55, v40
	v_mov_b32_e32 v54, v49
	s_and_saveexec_b64 s[66:67], s[18:19]
	s_xor_b64 s[18:19], exec, s[66:67]
; %bb.11:                               ;   in Loop: Header=BB115_10 Depth=2
	v_min_i32_e32 v52, v55, v52
                                        ; implicit-def: $vgpr53
                                        ; implicit-def: $vgpr54
; %bb.12:                               ;   in Loop: Header=BB115_10 Depth=2
	s_or_saveexec_b64 s[18:19], s[18:19]
	v_mov_b32_e32 v49, v38
	s_xor_b64 exec, exec, s[18:19]
	s_cbranch_execz .LBB115_9
; %bb.13:                               ;   in Loop: Header=BB115_10 Depth=2
	v_lshl_add_u64 v[56:57], v[38:39], 3, s[26:27]
	global_load_dwordx2 v[56:57], v[56:57], off
	v_sub_u32_e32 v39, v53, v41
	v_add_lshl_u32 v39, v39, v44, 3
	v_mov_b32_e32 v49, v54
	ds_write_b8 v3, v51 offset:32768
	s_waitcnt vmcnt(0)
	ds_write_b64 v39, v[56:57]
	s_branch .LBB115_9
.LBB115_14:                             ;   in Loop: Header=BB115_7 Depth=1
	s_or_b64 exec, exec, s[94:95]
.LBB115_15:                             ;   in Loop: Header=BB115_7 Depth=1
	s_or_b64 exec, exec, s[92:93]
	v_mov_b32_dpp v38, v49 row_shr:1 row_mask:0xf bank_mask:0xf
	v_min_i32_e32 v38, v38, v49
	s_waitcnt lgkmcnt(0)
	s_barrier
	ds_read_u8 v39, v3 offset:32768
	v_mov_b32_dpp v41, v38 row_shr:2 row_mask:0xf bank_mask:0xf
	v_min_i32_e32 v38, v41, v38
	ds_bpermute_b32 v49, v46, v38
	s_mov_b32 s31, 0
	s_waitcnt lgkmcnt(1)
	v_cmp_eq_u32_e32 vcc, 0, v39
	s_cbranch_vccnz .LBB115_34
; %bb.16:                               ;   in Loop: Header=BB115_7 Depth=1
	s_ashr_i32 s31, s30, 31
	s_lshl_b64 s[18:19], s[30:31], 2
	s_add_u32 s18, s24, s18
	v_add_u32_e32 v38, s23, v40
	s_addc_u32 s19, s25, s19
	global_store_dword v3, v38, s[18:19]
	s_mul_hi_u32 s18, s96, s30
	s_mul_i32 s19, s96, s31
	s_add_i32 s18, s18, s19
	s_mul_i32 s19, s33, s30
	s_add_i32 s19, s18, s19
	s_mul_i32 s18, s96, s30
	s_lshl_b64 s[18:19], s[18:19], 3
	v_lshl_add_u64 v[38:39], v[4:5], 0, s[18:19]
	v_lshl_add_u64 v[40:41], v[6:7], 0, s[18:19]
	s_and_saveexec_b64 s[18:19], s[34:35]
	s_cbranch_execnz .LBB115_50
; %bb.17:                               ;   in Loop: Header=BB115_7 Depth=1
	s_or_b64 exec, exec, s[18:19]
	s_and_saveexec_b64 s[18:19], s[36:37]
	s_cbranch_execnz .LBB115_51
.LBB115_18:                             ;   in Loop: Header=BB115_7 Depth=1
	s_or_b64 exec, exec, s[18:19]
	s_and_saveexec_b64 s[18:19], s[38:39]
	s_cbranch_execnz .LBB115_52
.LBB115_19:                             ;   in Loop: Header=BB115_7 Depth=1
	s_or_b64 exec, exec, s[18:19]
	s_and_saveexec_b64 s[18:19], s[40:41]
	s_cbranch_execnz .LBB115_53
.LBB115_20:                             ;   in Loop: Header=BB115_7 Depth=1
	s_or_b64 exec, exec, s[18:19]
	s_and_saveexec_b64 s[18:19], s[42:43]
	s_cbranch_execnz .LBB115_54
.LBB115_21:                             ;   in Loop: Header=BB115_7 Depth=1
	s_or_b64 exec, exec, s[18:19]
	s_and_saveexec_b64 s[18:19], s[44:45]
	s_cbranch_execnz .LBB115_55
.LBB115_22:                             ;   in Loop: Header=BB115_7 Depth=1
	s_or_b64 exec, exec, s[18:19]
	s_and_saveexec_b64 s[18:19], s[46:47]
	s_cbranch_execnz .LBB115_56
.LBB115_23:                             ;   in Loop: Header=BB115_7 Depth=1
	s_or_b64 exec, exec, s[18:19]
	s_and_saveexec_b64 s[18:19], s[48:49]
	s_cbranch_execnz .LBB115_57
.LBB115_24:                             ;   in Loop: Header=BB115_7 Depth=1
	s_or_b64 exec, exec, s[18:19]
	s_and_saveexec_b64 s[18:19], s[50:51]
	s_cbranch_execnz .LBB115_58
.LBB115_25:                             ;   in Loop: Header=BB115_7 Depth=1
	s_or_b64 exec, exec, s[18:19]
	s_and_saveexec_b64 s[18:19], s[52:53]
	s_cbranch_execnz .LBB115_59
.LBB115_26:                             ;   in Loop: Header=BB115_7 Depth=1
	s_or_b64 exec, exec, s[18:19]
	s_and_saveexec_b64 s[18:19], s[54:55]
	s_cbranch_execnz .LBB115_60
.LBB115_27:                             ;   in Loop: Header=BB115_7 Depth=1
	s_or_b64 exec, exec, s[18:19]
	s_and_saveexec_b64 s[18:19], s[56:57]
	s_cbranch_execnz .LBB115_61
.LBB115_28:                             ;   in Loop: Header=BB115_7 Depth=1
	s_or_b64 exec, exec, s[18:19]
	s_and_saveexec_b64 s[18:19], s[58:59]
	s_cbranch_execnz .LBB115_62
.LBB115_29:                             ;   in Loop: Header=BB115_7 Depth=1
	s_or_b64 exec, exec, s[18:19]
	s_and_saveexec_b64 s[18:19], s[60:61]
	s_cbranch_execnz .LBB115_63
.LBB115_30:                             ;   in Loop: Header=BB115_7 Depth=1
	s_or_b64 exec, exec, s[18:19]
	s_and_saveexec_b64 s[18:19], s[62:63]
	s_cbranch_execnz .LBB115_64
.LBB115_31:                             ;   in Loop: Header=BB115_7 Depth=1
	s_or_b64 exec, exec, s[18:19]
	s_and_saveexec_b64 s[18:19], s[64:65]
	s_cbranch_execz .LBB115_33
.LBB115_32:                             ;   in Loop: Header=BB115_7 Depth=1
	ds_read_b64 v[54:55], v48 offset:480
	v_lshl_add_u64 v[40:41], v[40:41], 0, s[90:91]
	v_lshl_add_u64 v[38:39], v[34:35], 3, v[38:39]
	v_cndmask_b32_e64 v39, v39, v41, s[0:1]
	v_cndmask_b32_e64 v38, v38, v40, s[0:1]
	s_waitcnt lgkmcnt(0)
	global_store_dwordx2 v[38:39], v[54:55], off
.LBB115_33:                             ;   in Loop: Header=BB115_7 Depth=1
	s_or_b64 exec, exec, s[18:19]
	s_mov_b32 s31, 1
.LBB115_34:                             ;   in Loop: Header=BB115_7 Depth=1
	s_waitcnt lgkmcnt(0)
	s_barrier
	ds_write_b32 v47, v52
	s_waitcnt lgkmcnt(0)
	s_barrier
	s_and_saveexec_b64 s[18:19], s[2:3]
	s_cbranch_execz .LBB115_36
; %bb.35:                               ;   in Loop: Header=BB115_7 Depth=1
	ds_read2st64_b32 v[38:39], v47 offset1:2
	s_waitcnt lgkmcnt(0)
	v_min_i32_e32 v38, v39, v38
	ds_write_b32 v47, v38
.LBB115_36:                             ;   in Loop: Header=BB115_7 Depth=1
	s_or_b64 exec, exec, s[18:19]
	s_waitcnt lgkmcnt(0)
	s_barrier
	s_and_saveexec_b64 s[18:19], s[4:5]
	s_cbranch_execz .LBB115_38
; %bb.37:                               ;   in Loop: Header=BB115_7 Depth=1
	ds_read2st64_b32 v[38:39], v47 offset1:1
	s_waitcnt lgkmcnt(0)
	v_min_i32_e32 v38, v39, v38
	ds_write_b32 v47, v38
.LBB115_38:                             ;   in Loop: Header=BB115_7 Depth=1
	s_or_b64 exec, exec, s[18:19]
	s_waitcnt lgkmcnt(0)
	s_barrier
	s_and_saveexec_b64 s[18:19], s[6:7]
	s_cbranch_execz .LBB115_40
; %bb.39:                               ;   in Loop: Header=BB115_7 Depth=1
	ds_read2_b32 v[38:39], v47 offset1:32
	s_waitcnt lgkmcnt(0)
	v_min_i32_e32 v38, v39, v38
	ds_write_b32 v47, v38
.LBB115_40:                             ;   in Loop: Header=BB115_7 Depth=1
	s_or_b64 exec, exec, s[18:19]
	s_waitcnt lgkmcnt(0)
	s_barrier
	s_and_saveexec_b64 s[18:19], s[8:9]
	s_cbranch_execz .LBB115_42
; %bb.41:                               ;   in Loop: Header=BB115_7 Depth=1
	ds_read2_b32 v[38:39], v47 offset1:16
	s_waitcnt lgkmcnt(0)
	v_min_i32_e32 v38, v39, v38
	ds_write_b32 v47, v38
.LBB115_42:                             ;   in Loop: Header=BB115_7 Depth=1
	;; [unrolled: 11-line block ×5, first 2 shown]
	s_or_b64 exec, exec, s[18:19]
	s_waitcnt lgkmcnt(0)
	s_barrier
	s_and_saveexec_b64 s[18:19], s[16:17]
	s_cbranch_execz .LBB115_6
; %bb.49:                               ;   in Loop: Header=BB115_7 Depth=1
	ds_read_b64 v[38:39], v3
	s_waitcnt lgkmcnt(0)
	v_min_i32_e32 v38, v39, v38
	ds_write_b32 v3, v38
	s_branch .LBB115_6
.LBB115_50:                             ;   in Loop: Header=BB115_7 Depth=1
	ds_read_b64 v[54:55], v48
	v_lshl_add_u64 v[56:57], v[2:3], 3, v[38:39]
	v_cndmask_b32_e64 v57, v57, v41, s[0:1]
	v_cndmask_b32_e64 v56, v56, v40, s[0:1]
	s_waitcnt lgkmcnt(0)
	global_store_dwordx2 v[56:57], v[54:55], off
	s_or_b64 exec, exec, s[18:19]
	s_and_saveexec_b64 s[18:19], s[36:37]
	s_cbranch_execz .LBB115_18
.LBB115_51:                             ;   in Loop: Header=BB115_7 Depth=1
	ds_read_b64 v[54:55], v48 offset:32
	v_lshl_add_u64 v[56:57], v[40:41], 0, 32
	v_lshl_add_u64 v[58:59], v[0:1], 3, v[38:39]
	v_cndmask_b32_e64 v57, v59, v57, s[0:1]
	v_cndmask_b32_e64 v56, v58, v56, s[0:1]
	s_waitcnt lgkmcnt(0)
	global_store_dwordx2 v[56:57], v[54:55], off
	s_or_b64 exec, exec, s[18:19]
	s_and_saveexec_b64 s[18:19], s[38:39]
	s_cbranch_execz .LBB115_19
.LBB115_52:                             ;   in Loop: Header=BB115_7 Depth=1
	ds_read_b64 v[54:55], v48 offset:64
	v_lshl_add_u64 v[56:57], v[40:41], 0, 64
	v_lshl_add_u64 v[58:59], v[8:9], 3, v[38:39]
	v_cndmask_b32_e64 v57, v59, v57, s[0:1]
	v_cndmask_b32_e64 v56, v58, v56, s[0:1]
	s_waitcnt lgkmcnt(0)
	global_store_dwordx2 v[56:57], v[54:55], off
	s_or_b64 exec, exec, s[18:19]
	s_and_saveexec_b64 s[18:19], s[40:41]
	s_cbranch_execz .LBB115_20
.LBB115_53:                             ;   in Loop: Header=BB115_7 Depth=1
	ds_read_b64 v[54:55], v48 offset:96
	s_mov_b64 s[66:67], 0x60
	v_lshl_add_u64 v[56:57], v[40:41], 0, s[66:67]
	v_lshl_add_u64 v[58:59], v[10:11], 3, v[38:39]
	v_cndmask_b32_e64 v57, v59, v57, s[0:1]
	v_cndmask_b32_e64 v56, v58, v56, s[0:1]
	s_waitcnt lgkmcnt(0)
	global_store_dwordx2 v[56:57], v[54:55], off
	s_or_b64 exec, exec, s[18:19]
	s_and_saveexec_b64 s[18:19], s[42:43]
	s_cbranch_execz .LBB115_21
.LBB115_54:                             ;   in Loop: Header=BB115_7 Depth=1
	ds_read_b64 v[54:55], v48 offset:128
	s_mov_b64 s[66:67], 0x80
	v_lshl_add_u64 v[56:57], v[40:41], 0, s[66:67]
	v_lshl_add_u64 v[58:59], v[12:13], 3, v[38:39]
	v_cndmask_b32_e64 v57, v59, v57, s[0:1]
	v_cndmask_b32_e64 v56, v58, v56, s[0:1]
	s_waitcnt lgkmcnt(0)
	global_store_dwordx2 v[56:57], v[54:55], off
	s_or_b64 exec, exec, s[18:19]
	s_and_saveexec_b64 s[18:19], s[44:45]
	s_cbranch_execz .LBB115_22
.LBB115_55:                             ;   in Loop: Header=BB115_7 Depth=1
	ds_read_b64 v[54:55], v48 offset:160
	v_lshl_add_u64 v[56:57], v[40:41], 0, s[70:71]
	v_lshl_add_u64 v[58:59], v[14:15], 3, v[38:39]
	v_cndmask_b32_e64 v57, v59, v57, s[0:1]
	v_cndmask_b32_e64 v56, v58, v56, s[0:1]
	s_waitcnt lgkmcnt(0)
	global_store_dwordx2 v[56:57], v[54:55], off
	s_or_b64 exec, exec, s[18:19]
	s_and_saveexec_b64 s[18:19], s[46:47]
	s_cbranch_execz .LBB115_23
.LBB115_56:                             ;   in Loop: Header=BB115_7 Depth=1
	ds_read_b64 v[54:55], v48 offset:192
	v_lshl_add_u64 v[56:57], v[40:41], 0, s[72:73]
	v_lshl_add_u64 v[58:59], v[16:17], 3, v[38:39]
	v_cndmask_b32_e64 v57, v59, v57, s[0:1]
	v_cndmask_b32_e64 v56, v58, v56, s[0:1]
	s_waitcnt lgkmcnt(0)
	global_store_dwordx2 v[56:57], v[54:55], off
	s_or_b64 exec, exec, s[18:19]
	s_and_saveexec_b64 s[18:19], s[48:49]
	s_cbranch_execz .LBB115_24
.LBB115_57:                             ;   in Loop: Header=BB115_7 Depth=1
	ds_read_b64 v[54:55], v48 offset:224
	v_lshl_add_u64 v[56:57], v[40:41], 0, s[74:75]
	v_lshl_add_u64 v[58:59], v[18:19], 3, v[38:39]
	v_cndmask_b32_e64 v57, v59, v57, s[0:1]
	v_cndmask_b32_e64 v56, v58, v56, s[0:1]
	s_waitcnt lgkmcnt(0)
	global_store_dwordx2 v[56:57], v[54:55], off
	s_or_b64 exec, exec, s[18:19]
	s_and_saveexec_b64 s[18:19], s[50:51]
	s_cbranch_execz .LBB115_25
.LBB115_58:                             ;   in Loop: Header=BB115_7 Depth=1
	ds_read_b64 v[54:55], v48 offset:256
	v_lshl_add_u64 v[56:57], v[40:41], 0, s[76:77]
	v_lshl_add_u64 v[58:59], v[20:21], 3, v[38:39]
	v_cndmask_b32_e64 v57, v59, v57, s[0:1]
	v_cndmask_b32_e64 v56, v58, v56, s[0:1]
	s_waitcnt lgkmcnt(0)
	global_store_dwordx2 v[56:57], v[54:55], off
	s_or_b64 exec, exec, s[18:19]
	s_and_saveexec_b64 s[18:19], s[52:53]
	s_cbranch_execz .LBB115_26
.LBB115_59:                             ;   in Loop: Header=BB115_7 Depth=1
	ds_read_b64 v[54:55], v48 offset:288
	v_lshl_add_u64 v[56:57], v[40:41], 0, s[78:79]
	v_lshl_add_u64 v[58:59], v[22:23], 3, v[38:39]
	v_cndmask_b32_e64 v57, v59, v57, s[0:1]
	v_cndmask_b32_e64 v56, v58, v56, s[0:1]
	s_waitcnt lgkmcnt(0)
	global_store_dwordx2 v[56:57], v[54:55], off
	s_or_b64 exec, exec, s[18:19]
	s_and_saveexec_b64 s[18:19], s[54:55]
	s_cbranch_execz .LBB115_27
.LBB115_60:                             ;   in Loop: Header=BB115_7 Depth=1
	ds_read_b64 v[54:55], v48 offset:320
	v_lshl_add_u64 v[56:57], v[40:41], 0, s[80:81]
	v_lshl_add_u64 v[58:59], v[24:25], 3, v[38:39]
	v_cndmask_b32_e64 v57, v59, v57, s[0:1]
	v_cndmask_b32_e64 v56, v58, v56, s[0:1]
	s_waitcnt lgkmcnt(0)
	global_store_dwordx2 v[56:57], v[54:55], off
	s_or_b64 exec, exec, s[18:19]
	s_and_saveexec_b64 s[18:19], s[56:57]
	s_cbranch_execz .LBB115_28
.LBB115_61:                             ;   in Loop: Header=BB115_7 Depth=1
	ds_read_b64 v[54:55], v48 offset:352
	v_lshl_add_u64 v[56:57], v[40:41], 0, s[82:83]
	v_lshl_add_u64 v[58:59], v[26:27], 3, v[38:39]
	v_cndmask_b32_e64 v57, v59, v57, s[0:1]
	v_cndmask_b32_e64 v56, v58, v56, s[0:1]
	s_waitcnt lgkmcnt(0)
	global_store_dwordx2 v[56:57], v[54:55], off
	s_or_b64 exec, exec, s[18:19]
	s_and_saveexec_b64 s[18:19], s[58:59]
	s_cbranch_execz .LBB115_29
.LBB115_62:                             ;   in Loop: Header=BB115_7 Depth=1
	ds_read_b64 v[54:55], v48 offset:384
	v_lshl_add_u64 v[56:57], v[40:41], 0, s[84:85]
	v_lshl_add_u64 v[58:59], v[28:29], 3, v[38:39]
	v_cndmask_b32_e64 v57, v59, v57, s[0:1]
	v_cndmask_b32_e64 v56, v58, v56, s[0:1]
	s_waitcnt lgkmcnt(0)
	global_store_dwordx2 v[56:57], v[54:55], off
	s_or_b64 exec, exec, s[18:19]
	s_and_saveexec_b64 s[18:19], s[60:61]
	s_cbranch_execz .LBB115_30
.LBB115_63:                             ;   in Loop: Header=BB115_7 Depth=1
	ds_read_b64 v[54:55], v48 offset:416
	v_lshl_add_u64 v[56:57], v[40:41], 0, s[86:87]
	v_lshl_add_u64 v[58:59], v[30:31], 3, v[38:39]
	v_cndmask_b32_e64 v57, v59, v57, s[0:1]
	v_cndmask_b32_e64 v56, v58, v56, s[0:1]
	s_waitcnt lgkmcnt(0)
	global_store_dwordx2 v[56:57], v[54:55], off
	s_or_b64 exec, exec, s[18:19]
	s_and_saveexec_b64 s[18:19], s[62:63]
	s_cbranch_execz .LBB115_31
.LBB115_64:                             ;   in Loop: Header=BB115_7 Depth=1
	ds_read_b64 v[54:55], v48 offset:448
	v_lshl_add_u64 v[56:57], v[40:41], 0, s[88:89]
	v_lshl_add_u64 v[58:59], v[32:33], 3, v[38:39]
	v_cndmask_b32_e64 v57, v59, v57, s[0:1]
	v_cndmask_b32_e64 v56, v58, v56, s[0:1]
	s_waitcnt lgkmcnt(0)
	global_store_dwordx2 v[56:57], v[54:55], off
	s_or_b64 exec, exec, s[18:19]
	s_and_saveexec_b64 s[18:19], s[64:65]
	s_cbranch_execnz .LBB115_32
	s_branch .LBB115_33
.LBB115_65:
	s_endpgm
	.section	.rodata,"a",@progbits
	.p2align	6, 0x0
	.amdhsa_kernel _ZN9rocsparseL38csr2bsr_block_per_row_multipass_kernelILj256ELj64EdiiEEv20rocsparse_direction_T3_S2_S2_S2_S2_21rocsparse_index_base_PKT1_PKT2_PKS2_S3_PS4_PS7_PS2_
		.amdhsa_group_segment_fixed_size 32776
		.amdhsa_private_segment_fixed_size 0
		.amdhsa_kernarg_size 88
		.amdhsa_user_sgpr_count 2
		.amdhsa_user_sgpr_dispatch_ptr 0
		.amdhsa_user_sgpr_queue_ptr 0
		.amdhsa_user_sgpr_kernarg_segment_ptr 1
		.amdhsa_user_sgpr_dispatch_id 0
		.amdhsa_user_sgpr_kernarg_preload_length 0
		.amdhsa_user_sgpr_kernarg_preload_offset 0
		.amdhsa_user_sgpr_private_segment_size 0
		.amdhsa_uses_dynamic_stack 0
		.amdhsa_enable_private_segment 0
		.amdhsa_system_sgpr_workgroup_id_x 1
		.amdhsa_system_sgpr_workgroup_id_y 0
		.amdhsa_system_sgpr_workgroup_id_z 0
		.amdhsa_system_sgpr_workgroup_info 0
		.amdhsa_system_vgpr_workitem_id 0
		.amdhsa_next_free_vgpr 60
		.amdhsa_next_free_sgpr 99
		.amdhsa_accum_offset 60
		.amdhsa_reserve_vcc 1
		.amdhsa_float_round_mode_32 0
		.amdhsa_float_round_mode_16_64 0
		.amdhsa_float_denorm_mode_32 3
		.amdhsa_float_denorm_mode_16_64 3
		.amdhsa_dx10_clamp 1
		.amdhsa_ieee_mode 1
		.amdhsa_fp16_overflow 0
		.amdhsa_tg_split 0
		.amdhsa_exception_fp_ieee_invalid_op 0
		.amdhsa_exception_fp_denorm_src 0
		.amdhsa_exception_fp_ieee_div_zero 0
		.amdhsa_exception_fp_ieee_overflow 0
		.amdhsa_exception_fp_ieee_underflow 0
		.amdhsa_exception_fp_ieee_inexact 0
		.amdhsa_exception_int_div_zero 0
	.end_amdhsa_kernel
	.section	.text._ZN9rocsparseL38csr2bsr_block_per_row_multipass_kernelILj256ELj64EdiiEEv20rocsparse_direction_T3_S2_S2_S2_S2_21rocsparse_index_base_PKT1_PKT2_PKS2_S3_PS4_PS7_PS2_,"axG",@progbits,_ZN9rocsparseL38csr2bsr_block_per_row_multipass_kernelILj256ELj64EdiiEEv20rocsparse_direction_T3_S2_S2_S2_S2_21rocsparse_index_base_PKT1_PKT2_PKS2_S3_PS4_PS7_PS2_,comdat
.Lfunc_end115:
	.size	_ZN9rocsparseL38csr2bsr_block_per_row_multipass_kernelILj256ELj64EdiiEEv20rocsparse_direction_T3_S2_S2_S2_S2_21rocsparse_index_base_PKT1_PKT2_PKS2_S3_PS4_PS7_PS2_, .Lfunc_end115-_ZN9rocsparseL38csr2bsr_block_per_row_multipass_kernelILj256ELj64EdiiEEv20rocsparse_direction_T3_S2_S2_S2_S2_21rocsparse_index_base_PKT1_PKT2_PKS2_S3_PS4_PS7_PS2_
                                        ; -- End function
	.section	.AMDGPU.csdata,"",@progbits
; Kernel info:
; codeLenInByte = 3132
; NumSgprs: 105
; NumVgprs: 60
; NumAgprs: 0
; TotalNumVgprs: 60
; ScratchSize: 0
; MemoryBound: 0
; FloatMode: 240
; IeeeMode: 1
; LDSByteSize: 32776 bytes/workgroup (compile time only)
; SGPRBlocks: 13
; VGPRBlocks: 7
; NumSGPRsForWavesPerEU: 105
; NumVGPRsForWavesPerEU: 60
; AccumOffset: 60
; Occupancy: 1
; WaveLimiterHint : 0
; COMPUTE_PGM_RSRC2:SCRATCH_EN: 0
; COMPUTE_PGM_RSRC2:USER_SGPR: 2
; COMPUTE_PGM_RSRC2:TRAP_HANDLER: 0
; COMPUTE_PGM_RSRC2:TGID_X_EN: 1
; COMPUTE_PGM_RSRC2:TGID_Y_EN: 0
; COMPUTE_PGM_RSRC2:TGID_Z_EN: 0
; COMPUTE_PGM_RSRC2:TIDIG_COMP_CNT: 0
; COMPUTE_PGM_RSRC3_GFX90A:ACCUM_OFFSET: 14
; COMPUTE_PGM_RSRC3_GFX90A:TG_SPLIT: 0
	.section	.text._ZN9rocsparseL21csr2bsr_65_inf_kernelILj32EdiiEEv20rocsparse_direction_T2_S2_S2_S2_S2_S2_21rocsparse_index_base_PKT0_PKT1_PKS2_S3_PS4_PS7_PS2_SD_SE_SC_,"axG",@progbits,_ZN9rocsparseL21csr2bsr_65_inf_kernelILj32EdiiEEv20rocsparse_direction_T2_S2_S2_S2_S2_S2_21rocsparse_index_base_PKT0_PKT1_PKS2_S3_PS4_PS7_PS2_SD_SE_SC_,comdat
	.globl	_ZN9rocsparseL21csr2bsr_65_inf_kernelILj32EdiiEEv20rocsparse_direction_T2_S2_S2_S2_S2_S2_21rocsparse_index_base_PKT0_PKT1_PKS2_S3_PS4_PS7_PS2_SD_SE_SC_ ; -- Begin function _ZN9rocsparseL21csr2bsr_65_inf_kernelILj32EdiiEEv20rocsparse_direction_T2_S2_S2_S2_S2_S2_21rocsparse_index_base_PKT0_PKT1_PKS2_S3_PS4_PS7_PS2_SD_SE_SC_
	.p2align	8
	.type	_ZN9rocsparseL21csr2bsr_65_inf_kernelILj32EdiiEEv20rocsparse_direction_T2_S2_S2_S2_S2_S2_21rocsparse_index_base_PKT0_PKT1_PKS2_S3_PS4_PS7_PS2_SD_SE_SC_,@function
_ZN9rocsparseL21csr2bsr_65_inf_kernelILj32EdiiEEv20rocsparse_direction_T2_S2_S2_S2_S2_S2_21rocsparse_index_base_PKT0_PKT1_PKS2_S3_PS4_PS7_PS2_SD_SE_SC_: ; @_ZN9rocsparseL21csr2bsr_65_inf_kernelILj32EdiiEEv20rocsparse_direction_T2_S2_S2_S2_S2_S2_21rocsparse_index_base_PKT0_PKT1_PKS2_S3_PS4_PS7_PS2_SD_SE_SC_
; %bb.0:
	s_load_dwordx4 s[8:11], s[0:1], 0x0
	s_load_dwordx2 s[4:5], s[0:1], 0x58
	s_load_dword s33, s[0:1], 0x38
	s_mov_b32 s21, 0
	s_waitcnt lgkmcnt(0)
	s_cmp_ge_i32 s2, s11
	s_mov_b32 s11, 0
	s_cbranch_scc1 .LBB116_2
; %bb.1:
	s_load_dwordx2 s[6:7], s[0:1], 0x48
	s_ashr_i32 s3, s2, 31
	s_lshl_b64 s[12:13], s[2:3], 2
	s_waitcnt lgkmcnt(0)
	s_add_u32 s6, s6, s12
	s_addc_u32 s7, s7, s13
	s_load_dword s3, s[6:7], 0x0
	s_waitcnt lgkmcnt(0)
	s_sub_i32 s11, s3, s33
.LBB116_2:
	s_load_dwordx4 s[12:15], s[0:1], 0x14
	s_waitcnt lgkmcnt(0)
	s_mul_i32 s3, s2, s13
	s_lshl_b32 s20, s3, 6
	s_lshl_b64 s[6:7], s[20:21], 2
	s_add_u32 s22, s4, s6
	v_mul_lo_u32 v8, v0, s13
	s_addc_u32 s23, s5, s7
	s_lshl_b32 s20, s13, 5
	v_ashrrev_i32_e32 v9, 31, v8
	s_cmp_gt_i32 s13, 0
	s_cselect_b64 s[24:25], -1, 0
	s_cmp_lt_i32 s13, 1
	v_lshl_add_u64 v[2:3], v[8:9], 2, s[22:23]
	s_cbranch_scc1 .LBB116_7
; %bb.3:
	s_load_dwordx2 s[6:7], s[0:1], 0x28
	s_mul_i32 s3, s2, s12
	s_lshl_b64 s[16:17], s[20:21], 2
	v_mov_b32_e32 v1, 0
	v_mov_b32_e32 v12, v0
	v_mov_b64_e32 v[4:5], v[2:3]
	s_mov_b32 s15, s13
	s_branch .LBB116_5
.LBB116_4:                              ;   in Loop: Header=BB116_5 Depth=1
	s_or_b64 exec, exec, s[4:5]
	s_add_i32 s15, s15, -1
	v_lshl_add_u64 v[4:5], v[4:5], 0, 4
	s_cmp_eq_u32 s15, 0
	v_add_u32_e32 v12, 32, v12
	s_cbranch_scc1 .LBB116_7
.LBB116_5:                              ; =>This Inner Loop Header: Depth=1
	v_add_u32_e32 v10, s3, v12
	v_cmp_gt_i32_e32 vcc, s9, v10
	v_cmp_gt_u32_e64 s[4:5], s12, v12
	v_lshl_add_u64 v[6:7], v[4:5], 0, s[16:17]
	s_and_b64 s[18:19], s[4:5], vcc
	global_store_dword v[4:5], v1, off
	global_store_dword v[6:7], v1, off
	s_and_saveexec_b64 s[4:5], s[18:19]
	s_cbranch_execz .LBB116_4
; %bb.6:                                ;   in Loop: Header=BB116_5 Depth=1
	v_ashrrev_i32_e32 v11, 31, v10
	s_waitcnt lgkmcnt(0)
	v_lshl_add_u64 v[10:11], v[10:11], 2, s[6:7]
	global_load_dwordx2 v[10:11], v[10:11], off
	s_waitcnt vmcnt(0)
	v_subrev_u32_e32 v10, s14, v10
	v_subrev_u32_e32 v11, s14, v11
	global_store_dword v[4:5], v10, off
	global_store_dword v[6:7], v11, off
	s_branch .LBB116_4
.LBB116_7:
	s_cmp_lt_i32 s10, 1
	s_cbranch_scc1 .LBB116_37
; %bb.8:
	s_load_dwordx4 s[28:31], s[0:1], 0x60
	s_load_dwordx2 s[4:5], s[0:1], 0x20
	s_waitcnt lgkmcnt(0)
	s_load_dwordx2 s[6:7], s[0:1], 0x50
	s_load_dwordx2 s[16:17], s[0:1], 0x40
	;; [unrolled: 1-line block ×3, first 2 shown]
	s_lshl_b64 s[0:1], s[20:21], 2
	s_add_u32 s0, s22, s0
	s_addc_u32 s1, s23, s1
	v_lshlrev_b64 v[6:7], 2, v[8:9]
	s_mul_i32 s20, s20, s2
	s_mov_b32 s21, 0
	v_lshl_add_u64 v[4:5], s[0:1], 0, v[6:7]
	s_lshl_b64 s[0:1], s[20:21], 2
	s_add_u32 s0, s28, s0
	s_addc_u32 s1, s29, s1
	v_lshl_add_u64 v[6:7], s[0:1], 0, v[6:7]
	s_lshl_b64 s[0:1], s[20:21], 3
	s_add_u32 s0, s30, s0
	s_addc_u32 s1, s31, s1
	s_cmp_lg_u32 s8, 0
	s_cselect_b64 s[8:9], -1, 0
	s_abs_i32 s15, s12
	v_cvt_f32_u32_e32 v1, s15
	v_mbcnt_lo_u32_b32 v11, -1, 0
	v_mbcnt_hi_u32_b32 v11, -1, v11
	v_mov_b32_e32 v12, 0x7c
	v_rcp_iflag_f32_e32 v13, v1
	v_lshl_or_b32 v1, v11, 2, v12
	s_sub_i32 s2, 0, s15
	v_lshl_add_u64 v[8:9], v[8:9], 3, s[0:1]
	v_mul_f32_e32 v11, 0x4f7ffffe, v13
	v_cvt_u32_f32_e32 v11, v11
	v_cmp_eq_u32_e64 s[0:1], 31, v0
	v_mov_b32_e32 v10, 0
	s_add_i32 s38, s11, -1
	v_mul_lo_u32 v12, s2, v11
	v_mul_hi_u32 v12, v11, v12
	v_add_u32_e32 v28, v11, v12
	v_cndmask_b32_e64 v11, 0, 1, s[24:25]
	s_mul_hi_i32 s39, s12, s12
	s_mul_i32 s40, s12, s12
	s_ashr_i32 s41, s12, 31
	v_mul_lo_u32 v29, v0, s12
	s_lshl_b32 s42, s12, 5
	s_mov_b64 s[22:23], 0
	v_cmp_ne_u32_e64 s[2:3], 1, v11
	v_mov_b32_e32 v13, 0
	v_mov_b32_e32 v12, 0
	v_mov_b32_e32 v30, 0
	v_mov_b32_e32 v31, 0
	s_branch .LBB116_10
.LBB116_9:                              ;   in Loop: Header=BB116_10 Depth=1
	s_waitcnt lgkmcnt(0)
	v_add_u32_e32 v12, 1, v11
	v_cmp_le_i32_e32 vcc, s10, v12
	s_or_b64 s[22:23], vcc, s[22:23]
	s_andn2_b64 exec, exec, s[22:23]
	s_cbranch_execz .LBB116_37
.LBB116_10:                             ; =>This Loop Header: Depth=1
                                        ;     Child Loop BB116_14 Depth 2
                                        ;       Child Loop BB116_17 Depth 3
                                        ;     Child Loop BB116_31 Depth 2
	s_and_b64 vcc, exec, s[2:3]
	v_mov_b32_e32 v26, s10
	s_cbranch_vccnz .LBB116_23
; %bb.11:                               ;   in Loop: Header=BB116_10 Depth=1
	s_mov_b32 s20, 0
	v_mov_b32_e32 v26, s10
	s_branch .LBB116_14
.LBB116_12:                             ;   in Loop: Header=BB116_14 Depth=2
	s_or_b64 exec, exec, s[26:27]
.LBB116_13:                             ;   in Loop: Header=BB116_14 Depth=2
	s_or_b64 exec, exec, s[24:25]
	s_add_i32 s20, s20, 1
	s_cmp_eq_u32 s20, s13
	s_cbranch_scc1 .LBB116_23
.LBB116_14:                             ;   Parent Loop BB116_10 Depth=1
                                        ; =>  This Loop Header: Depth=2
                                        ;       Child Loop BB116_17 Depth 3
	s_lshl_b64 s[24:25], s[20:21], 2
	v_lshl_add_u64 v[14:15], v[2:3], 0, s[24:25]
	v_lshl_add_u64 v[16:17], v[4:5], 0, s[24:25]
	global_load_dword v22, v[14:15], off
	global_load_dword v27, v[16:17], off
	v_lshl_add_u64 v[16:17], s[20:21], 3, v[8:9]
	v_mov_b32_e32 v11, v10
	global_store_dwordx2 v[16:17], v[10:11], off
	v_lshl_add_u64 v[18:19], v[6:7], 0, s[24:25]
	v_mov_b32_e32 v11, s10
	global_store_dword v[18:19], v11, off
	s_waitcnt vmcnt(2)
	v_cmp_lt_i32_e32 vcc, v22, v27
	s_and_saveexec_b64 s[24:25], vcc
	s_cbranch_execz .LBB116_13
; %bb.15:                               ;   in Loop: Header=BB116_14 Depth=2
	v_ashrrev_i32_e32 v23, 31, v22
	s_waitcnt lgkmcnt(0)
	v_lshl_add_u64 v[24:25], v[22:23], 2, s[18:19]
	s_mov_b64 s[26:27], 0
                                        ; implicit-def: $sgpr28_sgpr29
                                        ; implicit-def: $sgpr34_sgpr35
                                        ; implicit-def: $sgpr30_sgpr31
	s_branch .LBB116_17
.LBB116_16:                             ;   in Loop: Header=BB116_17 Depth=3
	s_or_b64 exec, exec, s[36:37]
	s_and_b64 s[36:37], exec, s[34:35]
	s_or_b64 s[26:27], s[36:37], s[26:27]
	s_andn2_b64 s[28:29], s[28:29], exec
	s_and_b64 s[36:37], s[30:31], exec
	s_or_b64 s[28:29], s[28:29], s[36:37]
	s_andn2_b64 exec, exec, s[26:27]
	s_cbranch_execz .LBB116_19
.LBB116_17:                             ;   Parent Loop BB116_10 Depth=1
                                        ;     Parent Loop BB116_14 Depth=2
                                        ; =>    This Inner Loop Header: Depth=3
	global_load_dword v11, v[24:25], off
	v_mov_b64_e32 v[20:21], v[22:23]
	s_or_b64 s[30:31], s[30:31], exec
	s_or_b64 s[34:35], s[34:35], exec
                                        ; implicit-def: $vgpr22_vgpr23
	s_waitcnt vmcnt(0)
	v_subrev_u32_e32 v11, s14, v11
	v_cmp_lt_i32_e32 vcc, v11, v12
	s_and_saveexec_b64 s[36:37], vcc
	s_cbranch_execz .LBB116_16
; %bb.18:                               ;   in Loop: Header=BB116_17 Depth=3
	v_lshl_add_u64 v[22:23], v[20:21], 0, 1
	v_cmp_ge_i32_e32 vcc, v22, v27
	s_andn2_b64 s[34:35], s[34:35], exec
	s_and_b64 s[44:45], vcc, exec
	v_lshl_add_u64 v[24:25], v[24:25], 0, 4
	s_andn2_b64 s[30:31], s[30:31], exec
	s_or_b64 s[34:35], s[34:35], s[44:45]
	s_branch .LBB116_16
.LBB116_19:                             ;   in Loop: Header=BB116_14 Depth=2
	s_or_b64 exec, exec, s[26:27]
	s_xor_b64 s[26:27], s[28:29], -1
	v_lshl_add_u64 v[22:23], v[20:21], 3, s[4:5]
	s_and_saveexec_b64 s[28:29], s[26:27]
	s_xor_b64 s[26:27], exec, s[28:29]
	s_cbranch_execz .LBB116_21
; %bb.20:                               ;   in Loop: Header=BB116_14 Depth=2
	global_load_dwordx2 v[14:15], v[22:23], off
                                        ; implicit-def: $vgpr22_vgpr23
	s_waitcnt vmcnt(0)
	global_store_dwordx2 v[16:17], v[14:15], off
	global_store_dword v[18:19], v11, off
                                        ; implicit-def: $vgpr16_vgpr17
                                        ; implicit-def: $vgpr18_vgpr19
                                        ; implicit-def: $vgpr14_vgpr15
.LBB116_21:                             ;   in Loop: Header=BB116_14 Depth=2
	s_andn2_saveexec_b64 s[26:27], s[26:27]
	s_cbranch_execz .LBB116_12
; %bb.22:                               ;   in Loop: Header=BB116_14 Depth=2
	global_load_dwordx2 v[22:23], v[22:23], off
	v_min_i32_e32 v26, v11, v26
	global_store_dword v[18:19], v11, off
	s_waitcnt vmcnt(1)
	global_store_dwordx2 v[16:17], v[22:23], off
	global_store_dword v[14:15], v20, off
	s_branch .LBB116_12
.LBB116_23:                             ;   in Loop: Header=BB116_10 Depth=1
	s_nop 0
	v_mov_b32_dpp v11, v26 row_shr:1 row_mask:0xf bank_mask:0xf
	v_min_i32_e32 v11, v11, v26
	s_nop 1
	v_mov_b32_dpp v12, v11 row_shr:2 row_mask:0xf bank_mask:0xf
	v_min_i32_e32 v11, v12, v11
	;; [unrolled: 3-line block ×4, first 2 shown]
	s_nop 1
	v_mov_b32_dpp v12, v11 row_bcast:15 row_mask:0xa bank_mask:0xf
	v_min_i32_e32 v11, v12, v11
	v_cmp_gt_i32_e32 vcc, s10, v11
	s_and_b64 s[26:27], s[0:1], vcc
	s_and_saveexec_b64 s[24:25], s[26:27]
	s_cbranch_execz .LBB116_27
; %bb.24:                               ;   in Loop: Header=BB116_10 Depth=1
	v_sub_u32_e32 v14, 0, v11
	v_max_i32_e32 v14, v11, v14
	v_mul_hi_u32 v15, v14, v28
	v_mul_lo_u32 v16, v15, s15
	v_sub_u32_e32 v14, v14, v16
	v_add_u32_e32 v16, 1, v15
	v_cmp_le_u32_e32 vcc, s15, v14
	v_ashrrev_i32_e32 v12, 31, v11
	v_xor_b32_e32 v12, s41, v12
	v_cndmask_b32_e32 v15, v15, v16, vcc
	v_subrev_u32_e32 v16, s15, v14
	v_cndmask_b32_e32 v14, v14, v16, vcc
	v_add_u32_e32 v16, 1, v15
	v_cmp_le_u32_e32 vcc, s15, v14
	s_nop 1
	v_cndmask_b32_e32 v14, v15, v16, vcc
	v_xor_b32_e32 v14, v14, v12
	v_sub_u32_e32 v12, v14, v12
	v_cmp_ge_i32_e32 vcc, v12, v30
	s_and_saveexec_b64 s[26:27], vcc
	s_cbranch_execz .LBB116_26
; %bb.25:                               ;   in Loop: Header=BB116_10 Depth=1
	v_add_u32_e32 v14, s11, v31
	v_add_u32_e32 v16, 1, v31
	v_ashrrev_i32_e32 v15, 31, v14
	v_add_u32_e32 v30, 1, v12
	s_waitcnt lgkmcnt(0)
	v_lshl_add_u64 v[14:15], v[14:15], 2, s[6:7]
	v_add_u32_e32 v12, s33, v12
	v_mov_b32_e32 v31, v16
	global_store_dword v[14:15], v12, off
.LBB116_26:                             ;   in Loop: Header=BB116_10 Depth=1
	s_or_b64 exec, exec, s[26:27]
.LBB116_27:                             ;   in Loop: Header=BB116_10 Depth=1
	s_or_b64 exec, exec, s[24:25]
	ds_bpermute_b32 v11, v1, v11
	ds_bpermute_b32 v31, v1, v31
	s_and_b64 vcc, exec, s[2:3]
	s_cbranch_vccnz .LBB116_9
; %bb.28:                               ;   in Loop: Header=BB116_10 Depth=1
	s_waitcnt lgkmcnt(0)
	v_add_u32_e32 v12, s38, v31
	v_ashrrev_i32_e32 v14, 31, v12
	v_mul_lo_u32 v16, s40, v14
	v_mul_lo_u32 v17, s39, v12
	v_mad_u64_u32 v[14:15], s[24:25], s40, v12, 0
	v_add3_u32 v15, v15, v16, v17
	v_sub_u32_e32 v16, 0, v11
	v_max_i32_e32 v16, v11, v16
	v_mul_hi_u32 v17, v16, v28
	v_mul_lo_u32 v18, v17, s15
	v_sub_u32_e32 v16, v16, v18
	v_add_u32_e32 v18, 1, v17
	v_cmp_le_u32_e32 vcc, s15, v16
	v_ashrrev_i32_e32 v12, 31, v11
	v_xor_b32_e32 v12, s41, v12
	v_cndmask_b32_e32 v17, v17, v18, vcc
	v_subrev_u32_e32 v18, s15, v16
	v_cndmask_b32_e32 v16, v16, v18, vcc
	v_add_u32_e32 v18, 1, v17
	v_cmp_le_u32_e32 vcc, s15, v16
	v_lshl_add_u64 v[14:15], v[14:15], 3, s[16:17]
	s_mov_b32 s20, s13
	v_cndmask_b32_e32 v16, v17, v18, vcc
	v_xor_b32_e32 v16, v16, v12
	v_sub_u32_e32 v32, v16, v12
	v_mov_b64_e32 v[16:17], v[8:9]
	v_mov_b64_e32 v[18:19], v[6:7]
	v_mov_b32_e32 v20, v0
	v_mov_b32_e32 v12, v29
	s_branch .LBB116_31
.LBB116_29:                             ;   in Loop: Header=BB116_31 Depth=2
	v_lshl_add_u64 v[24:25], v[24:25], 3, v[14:15]
	v_lshl_add_u64 v[24:25], v[26:27], 3, v[24:25]
	s_waitcnt vmcnt(0)
	global_store_dwordx2 v[24:25], v[22:23], off
.LBB116_30:                             ;   in Loop: Header=BB116_31 Depth=2
	s_or_b64 exec, exec, s[24:25]
	s_add_i32 s20, s20, -1
	v_add_u32_e32 v12, s42, v12
	v_add_u32_e32 v20, 32, v20
	v_lshl_add_u64 v[18:19], v[18:19], 0, 4
	s_cmp_eq_u32 s20, 0
	v_lshl_add_u64 v[16:17], v[16:17], 0, 8
	s_cbranch_scc1 .LBB116_9
.LBB116_31:                             ;   Parent Loop BB116_10 Depth=1
                                        ; =>  This Inner Loop Header: Depth=2
	global_load_dword v21, v[18:19], off
	s_waitcnt vmcnt(0)
	v_cmp_gt_i32_e32 vcc, s10, v21
	s_and_saveexec_b64 s[24:25], vcc
	s_cbranch_execz .LBB116_30
; %bb.32:                               ;   in Loop: Header=BB116_31 Depth=2
	v_sub_u32_e32 v23, 0, v21
	v_max_i32_e32 v23, v21, v23
	v_mul_hi_u32 v24, v23, v28
	v_mul_lo_u32 v25, v24, s15
	v_sub_u32_e32 v34, v23, v25
	v_add_u32_e32 v23, 1, v24
	v_cmp_le_u32_e32 vcc, s15, v34
	v_subrev_u32_e32 v35, s15, v34
	v_ashrrev_i32_e32 v33, 31, v21
	v_cndmask_b32_e32 v23, v24, v23, vcc
	v_cndmask_b32_e32 v24, v34, v35, vcc
	v_add_u32_e32 v25, 1, v23
	v_cmp_le_u32_e32 vcc, s15, v24
	v_xor_b32_e32 v22, s41, v33
	s_nop 0
	v_cndmask_b32_e32 v23, v23, v25, vcc
	v_xor_b32_e32 v23, v23, v22
	v_sub_u32_e32 v22, v23, v22
	v_cmp_eq_u32_e32 vcc, v22, v32
	s_and_b64 exec, exec, vcc
	s_cbranch_execz .LBB116_30
; %bb.33:                               ;   in Loop: Header=BB116_31 Depth=2
	global_load_dwordx2 v[22:23], v[16:17], off
	s_and_b64 vcc, exec, s[8:9]
	s_cbranch_vccz .LBB116_35
; %bb.34:                               ;   in Loop: Header=BB116_31 Depth=2
	v_mul_lo_u32 v24, v32, s12
	v_sub_u32_e32 v21, v21, v24
	v_mul_lo_u32 v24, v21, s12
	v_mov_b32_e32 v21, v13
	v_ashrrev_i32_e32 v25, 31, v24
	v_mov_b64_e32 v[26:27], v[20:21]
	s_cbranch_execnz .LBB116_29
	s_branch .LBB116_36
.LBB116_35:                             ;   in Loop: Header=BB116_31 Depth=2
                                        ; implicit-def: $vgpr26_vgpr27
                                        ; implicit-def: $vgpr24_vgpr25
.LBB116_36:                             ;   in Loop: Header=BB116_31 Depth=2
	v_cmp_le_u32_e32 vcc, s15, v34
	s_nop 1
	v_cndmask_b32_e32 v21, v34, v35, vcc
	v_subrev_u32_e32 v24, s15, v21
	v_cmp_le_u32_e32 vcc, s15, v21
	s_nop 1
	v_cndmask_b32_e32 v21, v21, v24, vcc
	v_xor_b32_e32 v21, v21, v33
	v_sub_u32_e32 v26, v21, v33
	v_ashrrev_i32_e32 v27, 31, v26
	v_mov_b64_e32 v[24:25], v[12:13]
	s_branch .LBB116_29
.LBB116_37:
	s_endpgm
	.section	.rodata,"a",@progbits
	.p2align	6, 0x0
	.amdhsa_kernel _ZN9rocsparseL21csr2bsr_65_inf_kernelILj32EdiiEEv20rocsparse_direction_T2_S2_S2_S2_S2_S2_21rocsparse_index_base_PKT0_PKT1_PKS2_S3_PS4_PS7_PS2_SD_SE_SC_
		.amdhsa_group_segment_fixed_size 0
		.amdhsa_private_segment_fixed_size 0
		.amdhsa_kernarg_size 112
		.amdhsa_user_sgpr_count 2
		.amdhsa_user_sgpr_dispatch_ptr 0
		.amdhsa_user_sgpr_queue_ptr 0
		.amdhsa_user_sgpr_kernarg_segment_ptr 1
		.amdhsa_user_sgpr_dispatch_id 0
		.amdhsa_user_sgpr_kernarg_preload_length 0
		.amdhsa_user_sgpr_kernarg_preload_offset 0
		.amdhsa_user_sgpr_private_segment_size 0
		.amdhsa_uses_dynamic_stack 0
		.amdhsa_enable_private_segment 0
		.amdhsa_system_sgpr_workgroup_id_x 1
		.amdhsa_system_sgpr_workgroup_id_y 0
		.amdhsa_system_sgpr_workgroup_id_z 0
		.amdhsa_system_sgpr_workgroup_info 0
		.amdhsa_system_vgpr_workitem_id 0
		.amdhsa_next_free_vgpr 36
		.amdhsa_next_free_sgpr 46
		.amdhsa_accum_offset 36
		.amdhsa_reserve_vcc 1
		.amdhsa_float_round_mode_32 0
		.amdhsa_float_round_mode_16_64 0
		.amdhsa_float_denorm_mode_32 3
		.amdhsa_float_denorm_mode_16_64 3
		.amdhsa_dx10_clamp 1
		.amdhsa_ieee_mode 1
		.amdhsa_fp16_overflow 0
		.amdhsa_tg_split 0
		.amdhsa_exception_fp_ieee_invalid_op 0
		.amdhsa_exception_fp_denorm_src 0
		.amdhsa_exception_fp_ieee_div_zero 0
		.amdhsa_exception_fp_ieee_overflow 0
		.amdhsa_exception_fp_ieee_underflow 0
		.amdhsa_exception_fp_ieee_inexact 0
		.amdhsa_exception_int_div_zero 0
	.end_amdhsa_kernel
	.section	.text._ZN9rocsparseL21csr2bsr_65_inf_kernelILj32EdiiEEv20rocsparse_direction_T2_S2_S2_S2_S2_S2_21rocsparse_index_base_PKT0_PKT1_PKS2_S3_PS4_PS7_PS2_SD_SE_SC_,"axG",@progbits,_ZN9rocsparseL21csr2bsr_65_inf_kernelILj32EdiiEEv20rocsparse_direction_T2_S2_S2_S2_S2_S2_21rocsparse_index_base_PKT0_PKT1_PKS2_S3_PS4_PS7_PS2_SD_SE_SC_,comdat
.Lfunc_end116:
	.size	_ZN9rocsparseL21csr2bsr_65_inf_kernelILj32EdiiEEv20rocsparse_direction_T2_S2_S2_S2_S2_S2_21rocsparse_index_base_PKT0_PKT1_PKS2_S3_PS4_PS7_PS2_SD_SE_SC_, .Lfunc_end116-_ZN9rocsparseL21csr2bsr_65_inf_kernelILj32EdiiEEv20rocsparse_direction_T2_S2_S2_S2_S2_S2_21rocsparse_index_base_PKT0_PKT1_PKS2_S3_PS4_PS7_PS2_SD_SE_SC_
                                        ; -- End function
	.section	.AMDGPU.csdata,"",@progbits
; Kernel info:
; codeLenInByte = 1740
; NumSgprs: 52
; NumVgprs: 36
; NumAgprs: 0
; TotalNumVgprs: 36
; ScratchSize: 0
; MemoryBound: 0
; FloatMode: 240
; IeeeMode: 1
; LDSByteSize: 0 bytes/workgroup (compile time only)
; SGPRBlocks: 6
; VGPRBlocks: 4
; NumSGPRsForWavesPerEU: 52
; NumVGPRsForWavesPerEU: 36
; AccumOffset: 36
; Occupancy: 8
; WaveLimiterHint : 0
; COMPUTE_PGM_RSRC2:SCRATCH_EN: 0
; COMPUTE_PGM_RSRC2:USER_SGPR: 2
; COMPUTE_PGM_RSRC2:TRAP_HANDLER: 0
; COMPUTE_PGM_RSRC2:TGID_X_EN: 1
; COMPUTE_PGM_RSRC2:TGID_Y_EN: 0
; COMPUTE_PGM_RSRC2:TGID_Z_EN: 0
; COMPUTE_PGM_RSRC2:TIDIG_COMP_CNT: 0
; COMPUTE_PGM_RSRC3_GFX90A:ACCUM_OFFSET: 8
; COMPUTE_PGM_RSRC3_GFX90A:TG_SPLIT: 0
	.section	.text._ZN9rocsparseL35csr2bsr_block_dim_equals_one_kernelILj256EdliEEvT2_S1_S1_S1_21rocsparse_index_base_PKT0_PKT1_PKS1_S2_PS3_PS6_PS1_,"axG",@progbits,_ZN9rocsparseL35csr2bsr_block_dim_equals_one_kernelILj256EdliEEvT2_S1_S1_S1_21rocsparse_index_base_PKT0_PKT1_PKS1_S2_PS3_PS6_PS1_,comdat
	.globl	_ZN9rocsparseL35csr2bsr_block_dim_equals_one_kernelILj256EdliEEvT2_S1_S1_S1_21rocsparse_index_base_PKT0_PKT1_PKS1_S2_PS3_PS6_PS1_ ; -- Begin function _ZN9rocsparseL35csr2bsr_block_dim_equals_one_kernelILj256EdliEEvT2_S1_S1_S1_21rocsparse_index_base_PKT0_PKT1_PKS1_S2_PS3_PS6_PS1_
	.p2align	8
	.type	_ZN9rocsparseL35csr2bsr_block_dim_equals_one_kernelILj256EdliEEvT2_S1_S1_S1_21rocsparse_index_base_PKT0_PKT1_PKS1_S2_PS3_PS6_PS1_,@function
_ZN9rocsparseL35csr2bsr_block_dim_equals_one_kernelILj256EdliEEvT2_S1_S1_S1_21rocsparse_index_base_PKT0_PKT1_PKS1_S2_PS3_PS6_PS1_: ; @_ZN9rocsparseL35csr2bsr_block_dim_equals_one_kernelILj256EdliEEvT2_S1_S1_S1_21rocsparse_index_base_PKT0_PKT1_PKS1_S2_PS3_PS6_PS1_
; %bb.0:
	s_load_dword s8, s[0:1], 0x0
	s_load_dwordx4 s[4:7], s[0:1], 0x18
	v_lshl_or_b32 v0, s2, 8, v0
	v_ashrrev_i32_e32 v1, 31, v0
	s_waitcnt lgkmcnt(0)
	s_ashr_i32 s9, s8, 31
	s_lshl_b64 s[8:9], s[8:9], 3
	s_add_u32 s8, s6, s8
	s_addc_u32 s9, s7, s9
	s_load_dwordx2 s[10:11], s[8:9], 0x0
	s_load_dwordx2 s[12:13], s[6:7], 0x0
	s_waitcnt lgkmcnt(0)
	s_sub_u32 s2, s10, s12
	s_subb_u32 s3, s11, s13
	v_cmp_gt_i64_e32 vcc, s[2:3], v[0:1]
	s_and_saveexec_b64 s[6:7], vcc
	s_cbranch_execz .LBB117_3
; %bb.1:
	s_load_dword s12, s[0:1], 0x30
	s_load_dwordx2 s[6:7], s[0:1], 0x38
	s_load_dword s13, s[0:1], 0x10
	s_load_dword s14, s[0:1], 0x50
	s_load_dwordx2 s[8:9], s[0:1], 0x28
	s_load_dwordx2 s[10:11], s[0:1], 0x48
	s_mov_b32 s1, 0
	s_waitcnt lgkmcnt(0)
	s_sub_i32 s18, s12, s13
	s_lshl_b32 s0, s14, 8
	v_lshlrev_b64 v[2:3], 3, v[0:1]
	s_lshl_b64 s[12:13], s[0:1], 3
	v_lshlrev_b64 v[4:5], 2, v[0:1]
	s_lshl_b64 s[14:15], s[0:1], 2
	s_mov_b64 s[16:17], 0
.LBB117_2:                              ; =>This Inner Loop Header: Depth=1
	v_lshl_add_u64 v[6:7], s[8:9], 0, v[4:5]
	v_lshl_add_u64 v[8:9], s[4:5], 0, v[2:3]
	global_load_dword v12, v[6:7], off
	global_load_dwordx2 v[10:11], v[8:9], off
	v_lshl_add_u64 v[0:1], v[0:1], 0, s[0:1]
	v_cmp_le_i64_e32 vcc, s[2:3], v[0:1]
	v_lshl_add_u64 v[6:7], s[10:11], 0, v[4:5]
	v_lshl_add_u64 v[8:9], s[6:7], 0, v[2:3]
	;; [unrolled: 1-line block ×4, first 2 shown]
	s_or_b64 s[16:17], vcc, s[16:17]
	s_waitcnt vmcnt(1)
	v_add_u32_e32 v12, s18, v12
	s_waitcnt vmcnt(0)
	global_store_dwordx2 v[8:9], v[10:11], off
	global_store_dword v[6:7], v12, off
	s_andn2_b64 exec, exec, s[16:17]
	s_cbranch_execnz .LBB117_2
.LBB117_3:
	s_endpgm
	.section	.rodata,"a",@progbits
	.p2align	6, 0x0
	.amdhsa_kernel _ZN9rocsparseL35csr2bsr_block_dim_equals_one_kernelILj256EdliEEvT2_S1_S1_S1_21rocsparse_index_base_PKT0_PKT1_PKS1_S2_PS3_PS6_PS1_
		.amdhsa_group_segment_fixed_size 0
		.amdhsa_private_segment_fixed_size 0
		.amdhsa_kernarg_size 336
		.amdhsa_user_sgpr_count 2
		.amdhsa_user_sgpr_dispatch_ptr 0
		.amdhsa_user_sgpr_queue_ptr 0
		.amdhsa_user_sgpr_kernarg_segment_ptr 1
		.amdhsa_user_sgpr_dispatch_id 0
		.amdhsa_user_sgpr_kernarg_preload_length 0
		.amdhsa_user_sgpr_kernarg_preload_offset 0
		.amdhsa_user_sgpr_private_segment_size 0
		.amdhsa_uses_dynamic_stack 0
		.amdhsa_enable_private_segment 0
		.amdhsa_system_sgpr_workgroup_id_x 1
		.amdhsa_system_sgpr_workgroup_id_y 0
		.amdhsa_system_sgpr_workgroup_id_z 0
		.amdhsa_system_sgpr_workgroup_info 0
		.amdhsa_system_vgpr_workitem_id 0
		.amdhsa_next_free_vgpr 13
		.amdhsa_next_free_sgpr 19
		.amdhsa_accum_offset 16
		.amdhsa_reserve_vcc 1
		.amdhsa_float_round_mode_32 0
		.amdhsa_float_round_mode_16_64 0
		.amdhsa_float_denorm_mode_32 3
		.amdhsa_float_denorm_mode_16_64 3
		.amdhsa_dx10_clamp 1
		.amdhsa_ieee_mode 1
		.amdhsa_fp16_overflow 0
		.amdhsa_tg_split 0
		.amdhsa_exception_fp_ieee_invalid_op 0
		.amdhsa_exception_fp_denorm_src 0
		.amdhsa_exception_fp_ieee_div_zero 0
		.amdhsa_exception_fp_ieee_overflow 0
		.amdhsa_exception_fp_ieee_underflow 0
		.amdhsa_exception_fp_ieee_inexact 0
		.amdhsa_exception_int_div_zero 0
	.end_amdhsa_kernel
	.section	.text._ZN9rocsparseL35csr2bsr_block_dim_equals_one_kernelILj256EdliEEvT2_S1_S1_S1_21rocsparse_index_base_PKT0_PKT1_PKS1_S2_PS3_PS6_PS1_,"axG",@progbits,_ZN9rocsparseL35csr2bsr_block_dim_equals_one_kernelILj256EdliEEvT2_S1_S1_S1_21rocsparse_index_base_PKT0_PKT1_PKS1_S2_PS3_PS6_PS1_,comdat
.Lfunc_end117:
	.size	_ZN9rocsparseL35csr2bsr_block_dim_equals_one_kernelILj256EdliEEvT2_S1_S1_S1_21rocsparse_index_base_PKT0_PKT1_PKS1_S2_PS3_PS6_PS1_, .Lfunc_end117-_ZN9rocsparseL35csr2bsr_block_dim_equals_one_kernelILj256EdliEEvT2_S1_S1_S1_21rocsparse_index_base_PKT0_PKT1_PKS1_S2_PS3_PS6_PS1_
                                        ; -- End function
	.section	.AMDGPU.csdata,"",@progbits
; Kernel info:
; codeLenInByte = 300
; NumSgprs: 25
; NumVgprs: 13
; NumAgprs: 0
; TotalNumVgprs: 13
; ScratchSize: 0
; MemoryBound: 0
; FloatMode: 240
; IeeeMode: 1
; LDSByteSize: 0 bytes/workgroup (compile time only)
; SGPRBlocks: 3
; VGPRBlocks: 1
; NumSGPRsForWavesPerEU: 25
; NumVGPRsForWavesPerEU: 13
; AccumOffset: 16
; Occupancy: 8
; WaveLimiterHint : 0
; COMPUTE_PGM_RSRC2:SCRATCH_EN: 0
; COMPUTE_PGM_RSRC2:USER_SGPR: 2
; COMPUTE_PGM_RSRC2:TRAP_HANDLER: 0
; COMPUTE_PGM_RSRC2:TGID_X_EN: 1
; COMPUTE_PGM_RSRC2:TGID_Y_EN: 0
; COMPUTE_PGM_RSRC2:TGID_Z_EN: 0
; COMPUTE_PGM_RSRC2:TIDIG_COMP_CNT: 0
; COMPUTE_PGM_RSRC3_GFX90A:ACCUM_OFFSET: 3
; COMPUTE_PGM_RSRC3_GFX90A:TG_SPLIT: 0
	.section	.text._ZN9rocsparseL42csr2bsr_wavefront_per_row_multipass_kernelILj256ELj16ELj4EdliEEv20rocsparse_direction_T4_S2_S2_S2_S2_21rocsparse_index_base_PKT2_PKT3_PKS2_S3_PS4_PS7_PS2_,"axG",@progbits,_ZN9rocsparseL42csr2bsr_wavefront_per_row_multipass_kernelILj256ELj16ELj4EdliEEv20rocsparse_direction_T4_S2_S2_S2_S2_21rocsparse_index_base_PKT2_PKT3_PKS2_S3_PS4_PS7_PS2_,comdat
	.globl	_ZN9rocsparseL42csr2bsr_wavefront_per_row_multipass_kernelILj256ELj16ELj4EdliEEv20rocsparse_direction_T4_S2_S2_S2_S2_21rocsparse_index_base_PKT2_PKT3_PKS2_S3_PS4_PS7_PS2_ ; -- Begin function _ZN9rocsparseL42csr2bsr_wavefront_per_row_multipass_kernelILj256ELj16ELj4EdliEEv20rocsparse_direction_T4_S2_S2_S2_S2_21rocsparse_index_base_PKT2_PKT3_PKS2_S3_PS4_PS7_PS2_
	.p2align	8
	.type	_ZN9rocsparseL42csr2bsr_wavefront_per_row_multipass_kernelILj256ELj16ELj4EdliEEv20rocsparse_direction_T4_S2_S2_S2_S2_21rocsparse_index_base_PKT2_PKT3_PKS2_S3_PS4_PS7_PS2_,@function
_ZN9rocsparseL42csr2bsr_wavefront_per_row_multipass_kernelILj256ELj16ELj4EdliEEv20rocsparse_direction_T4_S2_S2_S2_S2_21rocsparse_index_base_PKT2_PKT3_PKS2_S3_PS4_PS7_PS2_: ; @_ZN9rocsparseL42csr2bsr_wavefront_per_row_multipass_kernelILj256ELj16ELj4EdliEEv20rocsparse_direction_T4_S2_S2_S2_S2_21rocsparse_index_base_PKT2_PKT3_PKS2_S3_PS4_PS7_PS2_
; %bb.0:
	s_load_dwordx2 s[14:15], s[0:1], 0x0
	s_load_dwordx4 s[4:7], s[0:1], 0xc
	s_load_dwordx2 s[8:9], s[0:1], 0x28
	v_lshrrev_b32_e32 v24, 4, v0
	v_bfe_u32 v8, v0, 2, 2
	v_lshl_or_b32 v6, s2, 4, v24
	s_waitcnt lgkmcnt(0)
	v_mad_u64_u32 v[4:5], s[2:3], v6, s6, v[8:9]
	v_cmp_gt_i32_e64 s[2:3], s15, v4
	v_cmp_gt_i32_e32 vcc, s6, v8
	v_mov_b64_e32 v[2:3], 0
	s_and_b64 s[10:11], vcc, s[2:3]
	v_mov_b64_e32 v[10:11], v[2:3]
	s_and_saveexec_b64 s[12:13], s[10:11]
	s_cbranch_execz .LBB118_2
; %bb.1:
	v_ashrrev_i32_e32 v5, 31, v4
	v_lshl_add_u64 v[10:11], v[4:5], 3, s[8:9]
	global_load_dwordx2 v[10:11], v[10:11], off
	s_waitcnt vmcnt(0)
	v_subrev_co_u32_e64 v10, s[2:3], s7, v10
	s_nop 1
	v_subbrev_co_u32_e64 v11, s[2:3], 0, v11, s[2:3]
.LBB118_2:
	s_or_b64 exec, exec, s[12:13]
	s_and_saveexec_b64 s[12:13], s[10:11]
	s_cbranch_execz .LBB118_4
; %bb.3:
	v_ashrrev_i32_e32 v5, 31, v4
	v_lshl_add_u64 v[2:3], v[4:5], 3, s[8:9]
	global_load_dwordx2 v[2:3], v[2:3], off offset:8
	s_waitcnt vmcnt(0)
	v_subrev_co_u32_e64 v2, s[2:3], s7, v2
	s_nop 1
	v_subbrev_co_u32_e64 v3, s[2:3], 0, v3, s[2:3]
.LBB118_4:
	s_or_b64 exec, exec, s[12:13]
	s_load_dword s20, s[0:1], 0x38
	v_cmp_gt_i32_e64 s[2:3], s4, v6
	v_mov_b64_e32 v[4:5], 0
	s_and_saveexec_b64 s[8:9], s[2:3]
	s_cbranch_execz .LBB118_6
; %bb.5:
	s_load_dwordx2 s[2:3], s[0:1], 0x48
	v_ashrrev_i32_e32 v7, 31, v6
	s_waitcnt lgkmcnt(0)
	v_lshl_add_u64 v[4:5], v[6:7], 3, s[2:3]
	global_load_dwordx2 v[4:5], v[4:5], off
	s_waitcnt vmcnt(0)
	v_subrev_co_u32_e64 v4, s[2:3], s20, v4
	s_nop 1
	v_subbrev_co_u32_e64 v5, s[2:3], 0, v5, s[2:3]
.LBB118_6:
	s_or_b64 exec, exec, s[8:9]
	s_cmp_lt_i32 s5, 1
	s_cbranch_scc1 .LBB118_21
; %bb.7:
	v_and_b32_e32 v6, 3, v0
	v_and_b32_e32 v0, 0xf0, v0
	s_load_dwordx2 s[2:3], s[0:1], 0x20
	s_load_dwordx2 s[8:9], s[0:1], 0x50
	;; [unrolled: 1-line block ×4, first 2 shown]
	v_lshl_or_b32 v25, v8, 2, v0
	v_or_b32_e32 v0, v25, v6
	v_lshlrev_b32_e32 v26, 3, v0
	v_mov_b32_e32 v7, 0
	v_mbcnt_lo_u32_b32 v0, -1, 0
	v_cmp_gt_u32_e64 s[0:1], s6, v6
	v_mbcnt_hi_u32_b32 v14, -1, v0
	s_and_b64 s[12:13], vcc, s[0:1]
	v_mul_lo_u32 v0, v6, s6
	v_mov_b32_e32 v1, v7
	s_cmp_eq_u32 s14, 0
	s_waitcnt lgkmcnt(0)
	v_lshl_add_u64 v[0:1], v[0:1], 3, s[16:17]
	v_lshlrev_b32_e32 v12, 3, v8
	v_mov_b32_e32 v13, v7
	v_mul_lo_u32 v8, v8, s6
	v_mov_b32_e32 v9, v7
	v_lshl_add_u64 v[0:1], v[0:1], 0, v[12:13]
	v_lshl_add_u64 v[8:9], v[8:9], 3, s[16:17]
	v_lshlrev_b32_e32 v12, 3, v6
	s_cselect_b64 vcc, -1, 0
	s_abs_i32 s4, s6
	v_lshl_add_u64 v[8:9], v[8:9], 0, v[12:13]
	v_cvt_f32_u32_e32 v12, s4
	v_cndmask_b32_e32 v1, v1, v9, vcc
	s_sub_i32 s0, 0, s4
	v_cndmask_b32_e32 v0, v0, v8, vcc
	v_rcp_iflag_f32_e32 v12, v12
	v_lshlrev_b32_e32 v13, 2, v14
	v_or_b32_e32 v27, 12, v13
	s_mul_hi_u32 s21, s6, s6
	v_mul_f32_e32 v9, 0x4f7ffffe, v12
	v_cvt_u32_f32_e32 v9, v9
	s_mul_i32 s22, s6, s6
	v_or_b32_e32 v28, 60, v13
	s_ashr_i32 s23, s6, 31
	v_mul_lo_u32 v8, s0, v9
	v_mul_hi_u32 v8, v9, v8
	v_add_u32_e32 v29, v9, v8
	s_mov_b64 s[14:15], 0
	v_mov_b64_e32 v[12:13], 0
	v_mov_b32_e32 v8, v7
	v_mov_b32_e32 v9, v7
	;; [unrolled: 1-line block ×3, first 2 shown]
	s_branch .LBB118_10
.LBB118_8:                              ;   in Loop: Header=BB118_10 Depth=1
	s_or_b64 exec, exec, s[16:17]
	v_mov_b64_e32 v[14:15], 1
.LBB118_9:                              ;   in Loop: Header=BB118_10 Depth=1
	s_or_b64 exec, exec, s[0:1]
	v_mov_b32_dpp v12, v31 row_shr:1 row_mask:0xf bank_mask:0xf
	v_min_i32_e32 v12, v12, v31
	v_lshl_add_u64 v[4:5], v[14:15], 0, v[4:5]
	s_waitcnt lgkmcnt(0)
	v_mov_b32_dpp v13, v12 row_shr:2 row_mask:0xf bank_mask:0xf
	v_min_i32_e32 v12, v13, v12
	s_nop 1
	v_mov_b32_dpp v13, v12 row_shr:4 row_mask:0xf bank_mask:0xe
	v_min_i32_e32 v12, v13, v12
	s_nop 1
	v_mov_b32_dpp v13, v12 row_shr:8 row_mask:0xf bank_mask:0xc
	v_min_i32_e32 v12, v13, v12
	ds_bpermute_b32 v12, v28, v12
	s_waitcnt lgkmcnt(0)
	v_cmp_le_i32_e32 vcc, s5, v12
	v_ashrrev_i32_e32 v13, 31, v12
	s_or_b64 s[14:15], vcc, s[14:15]
	s_andn2_b64 exec, exec, s[14:15]
	s_cbranch_execz .LBB118_21
.LBB118_10:                             ; =>This Loop Header: Depth=1
                                        ;     Child Loop BB118_13 Depth 2
	v_lshl_add_u64 v[10:11], v[10:11], 0, v[6:7]
	v_cmp_lt_i64_e32 vcc, v[10:11], v[2:3]
	v_mov_b32_e32 v31, s5
	v_mov_b64_e32 v[18:19], v[2:3]
	ds_write_b8 v24, v7 offset:2048
	ds_write_b64 v26, v[8:9]
	s_waitcnt lgkmcnt(0)
	s_and_saveexec_b64 s[16:17], vcc
	s_cbranch_execz .LBB118_18
; %bb.11:                               ;   in Loop: Header=BB118_10 Depth=1
	v_lshl_add_u64 v[14:15], v[10:11], 3, s[2:3]
	v_lshl_add_u64 v[16:17], v[10:11], 2, s[10:11]
	s_mov_b64 s[18:19], 0
	v_mov_b32_e32 v31, s5
	v_mov_b64_e32 v[18:19], v[2:3]
	s_branch .LBB118_13
.LBB118_12:                             ;   in Loop: Header=BB118_13 Depth=2
	s_or_b64 exec, exec, s[0:1]
	v_lshl_add_u64 v[10:11], v[10:11], 0, 4
	v_cmp_ge_i64_e64 s[0:1], v[10:11], v[2:3]
	s_xor_b64 s[24:25], vcc, -1
	s_or_b64 s[0:1], s[24:25], s[0:1]
	s_and_b64 s[0:1], exec, s[0:1]
	v_lshl_add_u64 v[14:15], v[14:15], 0, 32
	s_or_b64 s[18:19], s[0:1], s[18:19]
	v_lshl_add_u64 v[16:17], v[16:17], 0, 16
	s_andn2_b64 exec, exec, s[18:19]
	s_cbranch_execz .LBB118_17
.LBB118_13:                             ;   Parent Loop BB118_10 Depth=1
                                        ; =>  This Inner Loop Header: Depth=2
	global_load_dword v20, v[16:17], off
	s_waitcnt vmcnt(0)
	v_subrev_u32_e32 v32, s7, v20
	v_sub_u32_e32 v21, 0, v32
	v_max_i32_e32 v21, v32, v21
	v_mul_hi_u32 v22, v21, v29
	v_mul_lo_u32 v23, v22, s4
	v_sub_u32_e32 v21, v21, v23
	v_add_u32_e32 v33, 1, v22
	v_cmp_le_u32_e32 vcc, s4, v21
	v_subrev_u32_e32 v23, s4, v21
	v_ashrrev_i32_e32 v20, 31, v32
	v_cndmask_b32_e32 v22, v22, v33, vcc
	v_cndmask_b32_e32 v21, v21, v23, vcc
	v_add_u32_e32 v23, 1, v22
	v_cmp_le_u32_e32 vcc, s4, v21
	v_xor_b32_e32 v20, s23, v20
	s_nop 0
	v_cndmask_b32_e32 v21, v22, v23, vcc
	v_xor_b32_e32 v21, v21, v20
	v_sub_u32_e32 v20, v21, v20
	v_ashrrev_i32_e32 v21, 31, v20
	v_cmp_eq_u64_e32 vcc, v[12:13], v[20:21]
	v_cmp_ne_u64_e64 s[0:1], v[12:13], v[20:21]
	v_mov_b64_e32 v[22:23], v[18:19]
	s_and_saveexec_b64 s[24:25], s[0:1]
	s_xor_b64 s[0:1], exec, s[24:25]
; %bb.14:                               ;   in Loop: Header=BB118_13 Depth=2
	v_min_i32_e32 v31, v20, v31
                                        ; implicit-def: $vgpr20
                                        ; implicit-def: $vgpr32
                                        ; implicit-def: $vgpr22_vgpr23
; %bb.15:                               ;   in Loop: Header=BB118_13 Depth=2
	s_or_saveexec_b64 s[0:1], s[0:1]
	v_mov_b64_e32 v[18:19], v[10:11]
	s_xor_b64 exec, exec, s[0:1]
	s_cbranch_execz .LBB118_12
; %bb.16:                               ;   in Loop: Header=BB118_13 Depth=2
	global_load_dwordx2 v[18:19], v[14:15], off
	v_mul_lo_u32 v20, v20, s6
	v_sub_u32_e32 v20, v32, v20
	v_add_lshl_u32 v20, v20, v25, 3
	ds_write_b8 v24, v30 offset:2048
	s_waitcnt vmcnt(0)
	ds_write_b64 v20, v[18:19]
	v_mov_b64_e32 v[18:19], v[22:23]
	s_branch .LBB118_12
.LBB118_17:                             ;   in Loop: Header=BB118_10 Depth=1
	s_or_b64 exec, exec, s[18:19]
.LBB118_18:                             ;   in Loop: Header=BB118_10 Depth=1
	s_or_b64 exec, exec, s[16:17]
	v_mov_b32_dpp v10, v18 row_shr:1 row_mask:0xf bank_mask:0xf
	v_mov_b32_dpp v11, v19 row_shr:1 row_mask:0xf bank_mask:0xf
	v_cmp_lt_i64_e32 vcc, v[10:11], v[18:19]
	s_waitcnt lgkmcnt(0)
	ds_read_u8 v13, v24 offset:2048
	v_cndmask_b32_e32 v11, v19, v11, vcc
	v_cndmask_b32_e32 v10, v18, v10, vcc
	s_waitcnt lgkmcnt(0)
	v_and_b32_e32 v13, 1, v13
	v_mov_b32_dpp v14, v10 row_shr:2 row_mask:0xf bank_mask:0xf
	v_mov_b32_dpp v15, v11 row_shr:2 row_mask:0xf bank_mask:0xf
	v_cmp_lt_i64_e32 vcc, v[14:15], v[10:11]
	s_nop 1
	v_cndmask_b32_e32 v11, v11, v15, vcc
	v_cndmask_b32_e32 v10, v10, v14, vcc
	ds_bpermute_b32 v10, v27, v10
	ds_bpermute_b32 v11, v27, v11
	v_cmp_eq_u32_e32 vcc, 1, v13
	v_mov_b64_e32 v[14:15], 0
	s_and_saveexec_b64 s[0:1], vcc
	s_cbranch_execz .LBB118_9
; %bb.19:                               ;   in Loop: Header=BB118_10 Depth=1
	v_add_u32_e32 v14, s20, v12
	v_lshl_add_u64 v[12:13], v[4:5], 2, s[8:9]
	global_store_dword v[12:13], v14, off
	s_and_saveexec_b64 s[16:17], s[12:13]
	s_cbranch_execz .LBB118_8
; %bb.20:                               ;   in Loop: Header=BB118_10 Depth=1
	ds_read_b64 v[12:13], v26
	v_mul_lo_u32 v16, s21, v4
	v_mul_lo_u32 v17, s22, v5
	v_mad_u64_u32 v[14:15], s[18:19], s22, v4, 0
	v_add3_u32 v15, v15, v17, v16
	v_lshl_add_u64 v[14:15], v[14:15], 3, v[0:1]
	s_waitcnt lgkmcnt(0)
	global_store_dwordx2 v[14:15], v[12:13], off
	s_branch .LBB118_8
.LBB118_21:
	s_endpgm
	.section	.rodata,"a",@progbits
	.p2align	6, 0x0
	.amdhsa_kernel _ZN9rocsparseL42csr2bsr_wavefront_per_row_multipass_kernelILj256ELj16ELj4EdliEEv20rocsparse_direction_T4_S2_S2_S2_S2_21rocsparse_index_base_PKT2_PKT3_PKS2_S3_PS4_PS7_PS2_
		.amdhsa_group_segment_fixed_size 2064
		.amdhsa_private_segment_fixed_size 0
		.amdhsa_kernarg_size 88
		.amdhsa_user_sgpr_count 2
		.amdhsa_user_sgpr_dispatch_ptr 0
		.amdhsa_user_sgpr_queue_ptr 0
		.amdhsa_user_sgpr_kernarg_segment_ptr 1
		.amdhsa_user_sgpr_dispatch_id 0
		.amdhsa_user_sgpr_kernarg_preload_length 0
		.amdhsa_user_sgpr_kernarg_preload_offset 0
		.amdhsa_user_sgpr_private_segment_size 0
		.amdhsa_uses_dynamic_stack 0
		.amdhsa_enable_private_segment 0
		.amdhsa_system_sgpr_workgroup_id_x 1
		.amdhsa_system_sgpr_workgroup_id_y 0
		.amdhsa_system_sgpr_workgroup_id_z 0
		.amdhsa_system_sgpr_workgroup_info 0
		.amdhsa_system_vgpr_workitem_id 0
		.amdhsa_next_free_vgpr 34
		.amdhsa_next_free_sgpr 26
		.amdhsa_accum_offset 36
		.amdhsa_reserve_vcc 1
		.amdhsa_float_round_mode_32 0
		.amdhsa_float_round_mode_16_64 0
		.amdhsa_float_denorm_mode_32 3
		.amdhsa_float_denorm_mode_16_64 3
		.amdhsa_dx10_clamp 1
		.amdhsa_ieee_mode 1
		.amdhsa_fp16_overflow 0
		.amdhsa_tg_split 0
		.amdhsa_exception_fp_ieee_invalid_op 0
		.amdhsa_exception_fp_denorm_src 0
		.amdhsa_exception_fp_ieee_div_zero 0
		.amdhsa_exception_fp_ieee_overflow 0
		.amdhsa_exception_fp_ieee_underflow 0
		.amdhsa_exception_fp_ieee_inexact 0
		.amdhsa_exception_int_div_zero 0
	.end_amdhsa_kernel
	.section	.text._ZN9rocsparseL42csr2bsr_wavefront_per_row_multipass_kernelILj256ELj16ELj4EdliEEv20rocsparse_direction_T4_S2_S2_S2_S2_21rocsparse_index_base_PKT2_PKT3_PKS2_S3_PS4_PS7_PS2_,"axG",@progbits,_ZN9rocsparseL42csr2bsr_wavefront_per_row_multipass_kernelILj256ELj16ELj4EdliEEv20rocsparse_direction_T4_S2_S2_S2_S2_21rocsparse_index_base_PKT2_PKT3_PKS2_S3_PS4_PS7_PS2_,comdat
.Lfunc_end118:
	.size	_ZN9rocsparseL42csr2bsr_wavefront_per_row_multipass_kernelILj256ELj16ELj4EdliEEv20rocsparse_direction_T4_S2_S2_S2_S2_21rocsparse_index_base_PKT2_PKT3_PKS2_S3_PS4_PS7_PS2_, .Lfunc_end118-_ZN9rocsparseL42csr2bsr_wavefront_per_row_multipass_kernelILj256ELj16ELj4EdliEEv20rocsparse_direction_T4_S2_S2_S2_S2_21rocsparse_index_base_PKT2_PKT3_PKS2_S3_PS4_PS7_PS2_
                                        ; -- End function
	.section	.AMDGPU.csdata,"",@progbits
; Kernel info:
; codeLenInByte = 1232
; NumSgprs: 32
; NumVgprs: 34
; NumAgprs: 0
; TotalNumVgprs: 34
; ScratchSize: 0
; MemoryBound: 0
; FloatMode: 240
; IeeeMode: 1
; LDSByteSize: 2064 bytes/workgroup (compile time only)
; SGPRBlocks: 3
; VGPRBlocks: 4
; NumSGPRsForWavesPerEU: 32
; NumVGPRsForWavesPerEU: 34
; AccumOffset: 36
; Occupancy: 8
; WaveLimiterHint : 0
; COMPUTE_PGM_RSRC2:SCRATCH_EN: 0
; COMPUTE_PGM_RSRC2:USER_SGPR: 2
; COMPUTE_PGM_RSRC2:TRAP_HANDLER: 0
; COMPUTE_PGM_RSRC2:TGID_X_EN: 1
; COMPUTE_PGM_RSRC2:TGID_Y_EN: 0
; COMPUTE_PGM_RSRC2:TGID_Z_EN: 0
; COMPUTE_PGM_RSRC2:TIDIG_COMP_CNT: 0
; COMPUTE_PGM_RSRC3_GFX90A:ACCUM_OFFSET: 8
; COMPUTE_PGM_RSRC3_GFX90A:TG_SPLIT: 0
	.section	.text._ZN9rocsparseL42csr2bsr_wavefront_per_row_multipass_kernelILj256ELj64ELj8EdliEEv20rocsparse_direction_T4_S2_S2_S2_S2_21rocsparse_index_base_PKT2_PKT3_PKS2_S3_PS4_PS7_PS2_,"axG",@progbits,_ZN9rocsparseL42csr2bsr_wavefront_per_row_multipass_kernelILj256ELj64ELj8EdliEEv20rocsparse_direction_T4_S2_S2_S2_S2_21rocsparse_index_base_PKT2_PKT3_PKS2_S3_PS4_PS7_PS2_,comdat
	.globl	_ZN9rocsparseL42csr2bsr_wavefront_per_row_multipass_kernelILj256ELj64ELj8EdliEEv20rocsparse_direction_T4_S2_S2_S2_S2_21rocsparse_index_base_PKT2_PKT3_PKS2_S3_PS4_PS7_PS2_ ; -- Begin function _ZN9rocsparseL42csr2bsr_wavefront_per_row_multipass_kernelILj256ELj64ELj8EdliEEv20rocsparse_direction_T4_S2_S2_S2_S2_21rocsparse_index_base_PKT2_PKT3_PKS2_S3_PS4_PS7_PS2_
	.p2align	8
	.type	_ZN9rocsparseL42csr2bsr_wavefront_per_row_multipass_kernelILj256ELj64ELj8EdliEEv20rocsparse_direction_T4_S2_S2_S2_S2_21rocsparse_index_base_PKT2_PKT3_PKS2_S3_PS4_PS7_PS2_,@function
_ZN9rocsparseL42csr2bsr_wavefront_per_row_multipass_kernelILj256ELj64ELj8EdliEEv20rocsparse_direction_T4_S2_S2_S2_S2_21rocsparse_index_base_PKT2_PKT3_PKS2_S3_PS4_PS7_PS2_: ; @_ZN9rocsparseL42csr2bsr_wavefront_per_row_multipass_kernelILj256ELj64ELj8EdliEEv20rocsparse_direction_T4_S2_S2_S2_S2_21rocsparse_index_base_PKT2_PKT3_PKS2_S3_PS4_PS7_PS2_
; %bb.0:
	s_load_dwordx2 s[14:15], s[0:1], 0x0
	s_load_dwordx4 s[4:7], s[0:1], 0xc
	s_load_dwordx2 s[8:9], s[0:1], 0x28
	v_lshrrev_b32_e32 v24, 6, v0
	v_bfe_u32 v8, v0, 3, 3
	v_lshl_or_b32 v6, s2, 2, v24
	s_waitcnt lgkmcnt(0)
	v_mad_u64_u32 v[4:5], s[2:3], v6, s6, v[8:9]
	v_cmp_gt_i32_e64 s[2:3], s15, v4
	v_cmp_gt_i32_e32 vcc, s6, v8
	v_mov_b64_e32 v[2:3], 0
	s_and_b64 s[10:11], vcc, s[2:3]
	v_mov_b64_e32 v[10:11], v[2:3]
	s_and_saveexec_b64 s[12:13], s[10:11]
	s_cbranch_execz .LBB119_2
; %bb.1:
	v_ashrrev_i32_e32 v5, 31, v4
	v_lshl_add_u64 v[10:11], v[4:5], 3, s[8:9]
	global_load_dwordx2 v[10:11], v[10:11], off
	s_waitcnt vmcnt(0)
	v_subrev_co_u32_e64 v10, s[2:3], s7, v10
	s_nop 1
	v_subbrev_co_u32_e64 v11, s[2:3], 0, v11, s[2:3]
.LBB119_2:
	s_or_b64 exec, exec, s[12:13]
	s_and_saveexec_b64 s[12:13], s[10:11]
	s_cbranch_execz .LBB119_4
; %bb.3:
	v_ashrrev_i32_e32 v5, 31, v4
	v_lshl_add_u64 v[2:3], v[4:5], 3, s[8:9]
	global_load_dwordx2 v[2:3], v[2:3], off offset:8
	s_waitcnt vmcnt(0)
	v_subrev_co_u32_e64 v2, s[2:3], s7, v2
	s_nop 1
	v_subbrev_co_u32_e64 v3, s[2:3], 0, v3, s[2:3]
.LBB119_4:
	s_or_b64 exec, exec, s[12:13]
	s_load_dword s20, s[0:1], 0x38
	v_cmp_gt_i32_e64 s[2:3], s4, v6
	v_mov_b64_e32 v[4:5], 0
	s_and_saveexec_b64 s[8:9], s[2:3]
	s_cbranch_execz .LBB119_6
; %bb.5:
	s_load_dwordx2 s[2:3], s[0:1], 0x48
	v_ashrrev_i32_e32 v7, 31, v6
	s_waitcnt lgkmcnt(0)
	v_lshl_add_u64 v[4:5], v[6:7], 3, s[2:3]
	global_load_dwordx2 v[4:5], v[4:5], off
	s_waitcnt vmcnt(0)
	v_subrev_co_u32_e64 v4, s[2:3], s20, v4
	s_nop 1
	v_subbrev_co_u32_e64 v5, s[2:3], 0, v5, s[2:3]
.LBB119_6:
	s_or_b64 exec, exec, s[8:9]
	s_cmp_lt_i32 s5, 1
	s_cbranch_scc1 .LBB119_21
; %bb.7:
	s_load_dwordx2 s[2:3], s[0:1], 0x20
	s_load_dwordx2 s[8:9], s[0:1], 0x50
	;; [unrolled: 1-line block ×4, first 2 shown]
	v_lshlrev_b32_e32 v12, 3, v8
	s_movk_i32 s0, 0xc0
	v_and_b32_e32 v6, 7, v0
	v_and_or_b32 v25, v0, s0, v12
	v_or_b32_e32 v0, v25, v6
	v_lshlrev_b32_e32 v26, 3, v0
	v_mov_b32_e32 v7, 0
	v_mbcnt_lo_u32_b32 v0, -1, 0
	v_cmp_gt_u32_e64 s[0:1], s6, v6
	v_mbcnt_hi_u32_b32 v14, -1, v0
	s_and_b64 s[12:13], vcc, s[0:1]
	v_mul_lo_u32 v0, v6, s6
	v_mov_b32_e32 v1, v7
	s_cmp_eq_u32 s14, 0
	s_waitcnt lgkmcnt(0)
	v_lshl_add_u64 v[0:1], v[0:1], 3, s[16:17]
	v_mov_b32_e32 v13, v7
	v_mul_lo_u32 v8, v8, s6
	v_mov_b32_e32 v9, v7
	v_lshl_add_u64 v[0:1], v[0:1], 0, v[12:13]
	v_lshl_add_u64 v[8:9], v[8:9], 3, s[16:17]
	v_lshlrev_b32_e32 v12, 3, v6
	s_cselect_b64 vcc, -1, 0
	s_abs_i32 s4, s6
	v_lshl_add_u64 v[8:9], v[8:9], 0, v[12:13]
	v_cvt_f32_u32_e32 v12, s4
	v_cndmask_b32_e32 v1, v1, v9, vcc
	s_sub_i32 s0, 0, s4
	v_cndmask_b32_e32 v0, v0, v8, vcc
	v_rcp_iflag_f32_e32 v12, v12
	v_lshlrev_b32_e32 v13, 2, v14
	v_or_b32_e32 v27, 28, v13
	s_mul_hi_u32 s21, s6, s6
	v_mul_f32_e32 v9, 0x4f7ffffe, v12
	v_cvt_u32_f32_e32 v9, v9
	s_mul_i32 s22, s6, s6
	v_or_b32_e32 v28, 0xfc, v13
	s_ashr_i32 s23, s6, 31
	v_mul_lo_u32 v8, s0, v9
	v_mul_hi_u32 v8, v9, v8
	v_add_u32_e32 v29, v9, v8
	s_mov_b64 s[14:15], 0
	v_mov_b64_e32 v[12:13], 0
	v_mov_b32_e32 v8, v7
	v_mov_b32_e32 v9, v7
	;; [unrolled: 1-line block ×3, first 2 shown]
	s_branch .LBB119_10
.LBB119_8:                              ;   in Loop: Header=BB119_10 Depth=1
	s_or_b64 exec, exec, s[16:17]
	v_mov_b64_e32 v[14:15], 1
.LBB119_9:                              ;   in Loop: Header=BB119_10 Depth=1
	s_or_b64 exec, exec, s[0:1]
	v_mov_b32_dpp v12, v31 row_shr:1 row_mask:0xf bank_mask:0xf
	v_min_i32_e32 v12, v12, v31
	v_lshl_add_u64 v[4:5], v[14:15], 0, v[4:5]
	s_waitcnt lgkmcnt(0)
	v_mov_b32_dpp v13, v12 row_shr:2 row_mask:0xf bank_mask:0xf
	v_min_i32_e32 v12, v13, v12
	s_nop 1
	v_mov_b32_dpp v13, v12 row_shr:4 row_mask:0xf bank_mask:0xe
	v_min_i32_e32 v12, v13, v12
	s_nop 1
	;; [unrolled: 3-line block ×3, first 2 shown]
	v_mov_b32_dpp v13, v12 row_bcast:15 row_mask:0xa bank_mask:0xf
	v_min_i32_e32 v12, v13, v12
	s_nop 1
	v_mov_b32_dpp v13, v12 row_bcast:31 row_mask:0xc bank_mask:0xf
	v_min_i32_e32 v12, v13, v12
	ds_bpermute_b32 v12, v28, v12
	s_waitcnt lgkmcnt(0)
	v_cmp_le_i32_e32 vcc, s5, v12
	v_ashrrev_i32_e32 v13, 31, v12
	s_or_b64 s[14:15], vcc, s[14:15]
	s_andn2_b64 exec, exec, s[14:15]
	s_cbranch_execz .LBB119_21
.LBB119_10:                             ; =>This Loop Header: Depth=1
                                        ;     Child Loop BB119_13 Depth 2
	v_lshl_add_u64 v[10:11], v[10:11], 0, v[6:7]
	v_cmp_lt_i64_e32 vcc, v[10:11], v[2:3]
	v_mov_b32_e32 v31, s5
	v_mov_b64_e32 v[18:19], v[2:3]
	ds_write_b8 v24, v7 offset:2048
	ds_write_b64 v26, v[8:9]
	s_waitcnt lgkmcnt(0)
	s_and_saveexec_b64 s[16:17], vcc
	s_cbranch_execz .LBB119_18
; %bb.11:                               ;   in Loop: Header=BB119_10 Depth=1
	v_lshl_add_u64 v[14:15], v[10:11], 3, s[2:3]
	v_lshl_add_u64 v[16:17], v[10:11], 2, s[10:11]
	s_mov_b64 s[18:19], 0
	v_mov_b32_e32 v31, s5
	v_mov_b64_e32 v[18:19], v[2:3]
	s_branch .LBB119_13
.LBB119_12:                             ;   in Loop: Header=BB119_13 Depth=2
	s_or_b64 exec, exec, s[0:1]
	v_lshl_add_u64 v[10:11], v[10:11], 0, 8
	v_cmp_ge_i64_e64 s[0:1], v[10:11], v[2:3]
	s_xor_b64 s[24:25], vcc, -1
	s_or_b64 s[0:1], s[24:25], s[0:1]
	s_and_b64 s[0:1], exec, s[0:1]
	v_lshl_add_u64 v[14:15], v[14:15], 0, 64
	s_or_b64 s[18:19], s[0:1], s[18:19]
	v_lshl_add_u64 v[16:17], v[16:17], 0, 32
	s_andn2_b64 exec, exec, s[18:19]
	s_cbranch_execz .LBB119_17
.LBB119_13:                             ;   Parent Loop BB119_10 Depth=1
                                        ; =>  This Inner Loop Header: Depth=2
	global_load_dword v20, v[16:17], off
	s_waitcnt vmcnt(0)
	v_subrev_u32_e32 v32, s7, v20
	v_sub_u32_e32 v21, 0, v32
	v_max_i32_e32 v21, v32, v21
	v_mul_hi_u32 v22, v21, v29
	v_mul_lo_u32 v23, v22, s4
	v_sub_u32_e32 v21, v21, v23
	v_add_u32_e32 v33, 1, v22
	v_cmp_le_u32_e32 vcc, s4, v21
	v_subrev_u32_e32 v23, s4, v21
	v_ashrrev_i32_e32 v20, 31, v32
	v_cndmask_b32_e32 v22, v22, v33, vcc
	v_cndmask_b32_e32 v21, v21, v23, vcc
	v_add_u32_e32 v23, 1, v22
	v_cmp_le_u32_e32 vcc, s4, v21
	v_xor_b32_e32 v20, s23, v20
	s_nop 0
	v_cndmask_b32_e32 v21, v22, v23, vcc
	v_xor_b32_e32 v21, v21, v20
	v_sub_u32_e32 v20, v21, v20
	v_ashrrev_i32_e32 v21, 31, v20
	v_cmp_eq_u64_e32 vcc, v[12:13], v[20:21]
	v_cmp_ne_u64_e64 s[0:1], v[12:13], v[20:21]
	v_mov_b64_e32 v[22:23], v[18:19]
	s_and_saveexec_b64 s[24:25], s[0:1]
	s_xor_b64 s[0:1], exec, s[24:25]
; %bb.14:                               ;   in Loop: Header=BB119_13 Depth=2
	v_min_i32_e32 v31, v20, v31
                                        ; implicit-def: $vgpr20
                                        ; implicit-def: $vgpr32
                                        ; implicit-def: $vgpr22_vgpr23
; %bb.15:                               ;   in Loop: Header=BB119_13 Depth=2
	s_or_saveexec_b64 s[0:1], s[0:1]
	v_mov_b64_e32 v[18:19], v[10:11]
	s_xor_b64 exec, exec, s[0:1]
	s_cbranch_execz .LBB119_12
; %bb.16:                               ;   in Loop: Header=BB119_13 Depth=2
	global_load_dwordx2 v[18:19], v[14:15], off
	v_mul_lo_u32 v20, v20, s6
	v_sub_u32_e32 v20, v32, v20
	v_add_lshl_u32 v20, v20, v25, 3
	ds_write_b8 v24, v30 offset:2048
	s_waitcnt vmcnt(0)
	ds_write_b64 v20, v[18:19]
	v_mov_b64_e32 v[18:19], v[22:23]
	s_branch .LBB119_12
.LBB119_17:                             ;   in Loop: Header=BB119_10 Depth=1
	s_or_b64 exec, exec, s[18:19]
.LBB119_18:                             ;   in Loop: Header=BB119_10 Depth=1
	s_or_b64 exec, exec, s[16:17]
	v_mov_b32_dpp v10, v18 row_shr:1 row_mask:0xf bank_mask:0xf
	v_mov_b32_dpp v11, v19 row_shr:1 row_mask:0xf bank_mask:0xf
	v_cmp_lt_i64_e32 vcc, v[10:11], v[18:19]
	s_waitcnt lgkmcnt(0)
	ds_read_u8 v13, v24 offset:2048
	v_cndmask_b32_e32 v11, v19, v11, vcc
	v_cndmask_b32_e32 v10, v18, v10, vcc
	s_waitcnt lgkmcnt(0)
	v_and_b32_e32 v13, 1, v13
	v_mov_b32_dpp v14, v10 row_shr:2 row_mask:0xf bank_mask:0xf
	v_mov_b32_dpp v15, v11 row_shr:2 row_mask:0xf bank_mask:0xf
	v_cmp_lt_i64_e32 vcc, v[14:15], v[10:11]
	s_nop 1
	v_cndmask_b32_e32 v11, v11, v15, vcc
	v_cndmask_b32_e32 v10, v10, v14, vcc
	s_nop 0
	v_mov_b32_dpp v15, v11 row_shr:4 row_mask:0xf bank_mask:0xe
	v_mov_b32_dpp v14, v10 row_shr:4 row_mask:0xf bank_mask:0xe
	v_cmp_lt_i64_e32 vcc, v[14:15], v[10:11]
	s_nop 1
	v_cndmask_b32_e32 v11, v11, v15, vcc
	v_cndmask_b32_e32 v10, v10, v14, vcc
	ds_bpermute_b32 v10, v27, v10
	ds_bpermute_b32 v11, v27, v11
	v_cmp_eq_u32_e32 vcc, 1, v13
	v_mov_b64_e32 v[14:15], 0
	s_and_saveexec_b64 s[0:1], vcc
	s_cbranch_execz .LBB119_9
; %bb.19:                               ;   in Loop: Header=BB119_10 Depth=1
	v_add_u32_e32 v14, s20, v12
	v_lshl_add_u64 v[12:13], v[4:5], 2, s[8:9]
	global_store_dword v[12:13], v14, off
	s_and_saveexec_b64 s[16:17], s[12:13]
	s_cbranch_execz .LBB119_8
; %bb.20:                               ;   in Loop: Header=BB119_10 Depth=1
	ds_read_b64 v[12:13], v26
	v_mul_lo_u32 v16, s21, v4
	v_mul_lo_u32 v17, s22, v5
	v_mad_u64_u32 v[14:15], s[18:19], s22, v4, 0
	v_add3_u32 v15, v15, v17, v16
	v_lshl_add_u64 v[14:15], v[14:15], 3, v[0:1]
	s_waitcnt lgkmcnt(0)
	global_store_dwordx2 v[14:15], v[12:13], off
	s_branch .LBB119_8
.LBB119_21:
	s_endpgm
	.section	.rodata,"a",@progbits
	.p2align	6, 0x0
	.amdhsa_kernel _ZN9rocsparseL42csr2bsr_wavefront_per_row_multipass_kernelILj256ELj64ELj8EdliEEv20rocsparse_direction_T4_S2_S2_S2_S2_21rocsparse_index_base_PKT2_PKT3_PKS2_S3_PS4_PS7_PS2_
		.amdhsa_group_segment_fixed_size 2056
		.amdhsa_private_segment_fixed_size 0
		.amdhsa_kernarg_size 88
		.amdhsa_user_sgpr_count 2
		.amdhsa_user_sgpr_dispatch_ptr 0
		.amdhsa_user_sgpr_queue_ptr 0
		.amdhsa_user_sgpr_kernarg_segment_ptr 1
		.amdhsa_user_sgpr_dispatch_id 0
		.amdhsa_user_sgpr_kernarg_preload_length 0
		.amdhsa_user_sgpr_kernarg_preload_offset 0
		.amdhsa_user_sgpr_private_segment_size 0
		.amdhsa_uses_dynamic_stack 0
		.amdhsa_enable_private_segment 0
		.amdhsa_system_sgpr_workgroup_id_x 1
		.amdhsa_system_sgpr_workgroup_id_y 0
		.amdhsa_system_sgpr_workgroup_id_z 0
		.amdhsa_system_sgpr_workgroup_info 0
		.amdhsa_system_vgpr_workitem_id 0
		.amdhsa_next_free_vgpr 34
		.amdhsa_next_free_sgpr 26
		.amdhsa_accum_offset 36
		.amdhsa_reserve_vcc 1
		.amdhsa_float_round_mode_32 0
		.amdhsa_float_round_mode_16_64 0
		.amdhsa_float_denorm_mode_32 3
		.amdhsa_float_denorm_mode_16_64 3
		.amdhsa_dx10_clamp 1
		.amdhsa_ieee_mode 1
		.amdhsa_fp16_overflow 0
		.amdhsa_tg_split 0
		.amdhsa_exception_fp_ieee_invalid_op 0
		.amdhsa_exception_fp_denorm_src 0
		.amdhsa_exception_fp_ieee_div_zero 0
		.amdhsa_exception_fp_ieee_overflow 0
		.amdhsa_exception_fp_ieee_underflow 0
		.amdhsa_exception_fp_ieee_inexact 0
		.amdhsa_exception_int_div_zero 0
	.end_amdhsa_kernel
	.section	.text._ZN9rocsparseL42csr2bsr_wavefront_per_row_multipass_kernelILj256ELj64ELj8EdliEEv20rocsparse_direction_T4_S2_S2_S2_S2_21rocsparse_index_base_PKT2_PKT3_PKS2_S3_PS4_PS7_PS2_,"axG",@progbits,_ZN9rocsparseL42csr2bsr_wavefront_per_row_multipass_kernelILj256ELj64ELj8EdliEEv20rocsparse_direction_T4_S2_S2_S2_S2_21rocsparse_index_base_PKT2_PKT3_PKS2_S3_PS4_PS7_PS2_,comdat
.Lfunc_end119:
	.size	_ZN9rocsparseL42csr2bsr_wavefront_per_row_multipass_kernelILj256ELj64ELj8EdliEEv20rocsparse_direction_T4_S2_S2_S2_S2_21rocsparse_index_base_PKT2_PKT3_PKS2_S3_PS4_PS7_PS2_, .Lfunc_end119-_ZN9rocsparseL42csr2bsr_wavefront_per_row_multipass_kernelILj256ELj64ELj8EdliEEv20rocsparse_direction_T4_S2_S2_S2_S2_21rocsparse_index_base_PKT2_PKT3_PKS2_S3_PS4_PS7_PS2_
                                        ; -- End function
	.section	.AMDGPU.csdata,"",@progbits
; Kernel info:
; codeLenInByte = 1300
; NumSgprs: 32
; NumVgprs: 34
; NumAgprs: 0
; TotalNumVgprs: 34
; ScratchSize: 0
; MemoryBound: 0
; FloatMode: 240
; IeeeMode: 1
; LDSByteSize: 2056 bytes/workgroup (compile time only)
; SGPRBlocks: 3
; VGPRBlocks: 4
; NumSGPRsForWavesPerEU: 32
; NumVGPRsForWavesPerEU: 34
; AccumOffset: 36
; Occupancy: 8
; WaveLimiterHint : 0
; COMPUTE_PGM_RSRC2:SCRATCH_EN: 0
; COMPUTE_PGM_RSRC2:USER_SGPR: 2
; COMPUTE_PGM_RSRC2:TRAP_HANDLER: 0
; COMPUTE_PGM_RSRC2:TGID_X_EN: 1
; COMPUTE_PGM_RSRC2:TGID_Y_EN: 0
; COMPUTE_PGM_RSRC2:TGID_Z_EN: 0
; COMPUTE_PGM_RSRC2:TIDIG_COMP_CNT: 0
; COMPUTE_PGM_RSRC3_GFX90A:ACCUM_OFFSET: 8
; COMPUTE_PGM_RSRC3_GFX90A:TG_SPLIT: 0
	.section	.text._ZN9rocsparseL42csr2bsr_wavefront_per_row_multipass_kernelILj256ELj32ELj8EdliEEv20rocsparse_direction_T4_S2_S2_S2_S2_21rocsparse_index_base_PKT2_PKT3_PKS2_S3_PS4_PS7_PS2_,"axG",@progbits,_ZN9rocsparseL42csr2bsr_wavefront_per_row_multipass_kernelILj256ELj32ELj8EdliEEv20rocsparse_direction_T4_S2_S2_S2_S2_21rocsparse_index_base_PKT2_PKT3_PKS2_S3_PS4_PS7_PS2_,comdat
	.globl	_ZN9rocsparseL42csr2bsr_wavefront_per_row_multipass_kernelILj256ELj32ELj8EdliEEv20rocsparse_direction_T4_S2_S2_S2_S2_21rocsparse_index_base_PKT2_PKT3_PKS2_S3_PS4_PS7_PS2_ ; -- Begin function _ZN9rocsparseL42csr2bsr_wavefront_per_row_multipass_kernelILj256ELj32ELj8EdliEEv20rocsparse_direction_T4_S2_S2_S2_S2_21rocsparse_index_base_PKT2_PKT3_PKS2_S3_PS4_PS7_PS2_
	.p2align	8
	.type	_ZN9rocsparseL42csr2bsr_wavefront_per_row_multipass_kernelILj256ELj32ELj8EdliEEv20rocsparse_direction_T4_S2_S2_S2_S2_21rocsparse_index_base_PKT2_PKT3_PKS2_S3_PS4_PS7_PS2_,@function
_ZN9rocsparseL42csr2bsr_wavefront_per_row_multipass_kernelILj256ELj32ELj8EdliEEv20rocsparse_direction_T4_S2_S2_S2_S2_21rocsparse_index_base_PKT2_PKT3_PKS2_S3_PS4_PS7_PS2_: ; @_ZN9rocsparseL42csr2bsr_wavefront_per_row_multipass_kernelILj256ELj32ELj8EdliEEv20rocsparse_direction_T4_S2_S2_S2_S2_21rocsparse_index_base_PKT2_PKT3_PKS2_S3_PS4_PS7_PS2_
; %bb.0:
	s_load_dwordx2 s[14:15], s[0:1], 0x0
	s_load_dwordx4 s[4:7], s[0:1], 0xc
	s_load_dwordx2 s[8:9], s[0:1], 0x28
	v_lshrrev_b32_e32 v32, 5, v0
	v_bfe_u32 v10, v0, 2, 3
	v_lshl_or_b32 v6, s2, 3, v32
	s_waitcnt lgkmcnt(0)
	v_mad_u64_u32 v[4:5], s[2:3], v6, s6, v[10:11]
	v_cmp_gt_i32_e64 s[2:3], s15, v4
	v_cmp_gt_i32_e32 vcc, s6, v10
	v_mov_b64_e32 v[2:3], 0
	s_and_b64 s[10:11], vcc, s[2:3]
	v_mov_b64_e32 v[18:19], v[2:3]
	s_and_saveexec_b64 s[12:13], s[10:11]
	s_cbranch_execz .LBB120_2
; %bb.1:
	v_ashrrev_i32_e32 v5, 31, v4
	v_lshl_add_u64 v[8:9], v[4:5], 3, s[8:9]
	global_load_dwordx2 v[8:9], v[8:9], off
	s_waitcnt vmcnt(0)
	v_subrev_co_u32_e64 v18, s[2:3], s7, v8
	s_nop 1
	v_subbrev_co_u32_e64 v19, s[2:3], 0, v9, s[2:3]
.LBB120_2:
	s_or_b64 exec, exec, s[12:13]
	s_and_saveexec_b64 s[12:13], s[10:11]
	s_cbranch_execz .LBB120_4
; %bb.3:
	v_ashrrev_i32_e32 v5, 31, v4
	v_lshl_add_u64 v[2:3], v[4:5], 3, s[8:9]
	global_load_dwordx2 v[2:3], v[2:3], off offset:8
	s_waitcnt vmcnt(0)
	v_subrev_co_u32_e64 v2, s[2:3], s7, v2
	s_nop 1
	v_subbrev_co_u32_e64 v3, s[2:3], 0, v3, s[2:3]
.LBB120_4:
	s_or_b64 exec, exec, s[12:13]
	s_load_dword s26, s[0:1], 0x38
	v_cmp_gt_i32_e64 s[2:3], s4, v6
	v_mov_b64_e32 v[4:5], 0
	s_and_saveexec_b64 s[8:9], s[2:3]
	s_cbranch_execz .LBB120_6
; %bb.5:
	s_load_dwordx2 s[2:3], s[0:1], 0x48
	v_ashrrev_i32_e32 v7, 31, v6
	s_waitcnt lgkmcnt(0)
	v_lshl_add_u64 v[4:5], v[6:7], 3, s[2:3]
	global_load_dwordx2 v[4:5], v[4:5], off
	s_waitcnt vmcnt(0)
	v_subrev_co_u32_e64 v4, s[2:3], s26, v4
	s_nop 1
	v_subbrev_co_u32_e64 v5, s[2:3], 0, v5, s[2:3]
.LBB120_6:
	s_or_b64 exec, exec, s[8:9]
	s_cmp_lt_i32 s5, 1
	s_cbranch_scc1 .LBB120_30
; %bb.7:
	s_load_dwordx2 s[8:9], s[0:1], 0x20
	s_load_dwordx2 s[10:11], s[0:1], 0x50
	;; [unrolled: 1-line block ×4, first 2 shown]
	v_mbcnt_lo_u32_b32 v8, -1, 0
	v_lshlrev_b32_e32 v6, 3, v10
	v_mov_b32_e32 v7, 0
	v_mbcnt_hi_u32_b32 v8, -1, v8
	v_and_b32_e32 v0, 3, v0
	v_lshl_or_b32 v33, v32, 6, v6
	v_lshlrev_b32_e32 v12, 2, v8
	s_cmp_lg_u32 s14, 0
	s_waitcnt lgkmcnt(0)
	v_lshl_add_u64 v[8:9], s[2:3], 0, v[6:7]
	v_mul_lo_u32 v6, v10, s6
	s_cselect_b64 s[14:15], -1, 0
	v_lshl_add_u64 v[10:11], v[6:7], 3, s[2:3]
	v_or_b32_e32 v6, v33, v0
	s_abs_i32 s28, s6
	v_lshlrev_b32_e32 v36, 3, v6
	v_cvt_f32_u32_e32 v6, s28
	v_cmp_gt_u32_e64 s[0:1], s6, v0
	s_and_b64 s[16:17], s[0:1], vcc
	s_sub_i32 s0, 0, s28
	v_rcp_iflag_f32_e32 v6, v6
	s_mov_b32 s20, 0
	v_or_b32_e32 v14, 4, v0
	v_or_b32_e32 v34, 12, v12
	v_mul_f32_e32 v6, 0x4f7ffffe, v6
	v_cvt_u32_f32_e32 v6, v6
	v_or_b32_e32 v35, 0x7c, v12
	v_mul_lo_u32 v12, v0, s6
	v_cmp_gt_u32_e64 s[2:3], s6, v14
	v_mul_lo_u32 v16, s0, v6
	v_mul_hi_u32 v16, v6, v16
	s_mov_b32 s21, s20
	v_mov_b32_e32 v1, v7
	s_mul_hi_u32 s4, s6, s6
	s_mul_i32 s27, s6, s6
	v_mov_b32_e32 v13, v7
	v_lshl_add_u32 v14, s6, 2, v12
	v_mov_b32_e32 v15, v7
	s_and_b64 s[2:3], vcc, s[2:3]
	s_ashr_i32 s29, s6, 31
	v_add_u32_e32 v37, v6, v16
	s_mov_b64 s[18:19], 0
	v_mov_b64_e32 v[20:21], 0
	v_mov_b64_e32 v[16:17], s[20:21]
	v_mov_b32_e32 v38, 1
	s_branch .LBB120_11
.LBB120_8:                              ;   in Loop: Header=BB120_11 Depth=1
	v_mov_b64_e32 v[24:25], s[22:23]
.LBB120_9:                              ;   in Loop: Header=BB120_11 Depth=1
	s_or_b64 exec, exec, s[20:21]
.LBB120_10:                             ;   in Loop: Header=BB120_11 Depth=1
	s_or_b64 exec, exec, s[0:1]
	v_mov_b32_dpp v6, v39 row_shr:1 row_mask:0xf bank_mask:0xf
	v_min_i32_e32 v6, v6, v39
	v_lshl_add_u64 v[4:5], v[24:25], 0, v[4:5]
	s_waitcnt lgkmcnt(0)
	v_mov_b32_dpp v20, v6 row_shr:2 row_mask:0xf bank_mask:0xf
	v_min_i32_e32 v6, v20, v6
	s_nop 1
	v_mov_b32_dpp v20, v6 row_shr:4 row_mask:0xf bank_mask:0xe
	v_min_i32_e32 v6, v20, v6
	s_nop 1
	;; [unrolled: 3-line block ×3, first 2 shown]
	v_mov_b32_dpp v20, v6 row_bcast:15 row_mask:0xa bank_mask:0xf
	v_min_i32_e32 v6, v20, v6
	ds_bpermute_b32 v20, v35, v6
	s_waitcnt lgkmcnt(0)
	v_cmp_le_i32_e32 vcc, s5, v20
	v_ashrrev_i32_e32 v21, 31, v20
	s_or_b64 s[18:19], vcc, s[18:19]
	s_andn2_b64 exec, exec, s[18:19]
	s_cbranch_execz .LBB120_30
.LBB120_11:                             ; =>This Loop Header: Depth=1
                                        ;     Child Loop BB120_14 Depth 2
	v_lshl_add_u64 v[18:19], v[18:19], 0, v[0:1]
	v_cmp_lt_i64_e32 vcc, v[18:19], v[2:3]
	v_mov_b32_e32 v39, s5
	v_mov_b64_e32 v[26:27], v[2:3]
	ds_write_b8 v32, v7 offset:4096
	ds_write2_b64 v36, v[16:17], v[16:17] offset1:4
	s_waitcnt lgkmcnt(0)
	s_and_saveexec_b64 s[20:21], vcc
	s_cbranch_execz .LBB120_19
; %bb.12:                               ;   in Loop: Header=BB120_11 Depth=1
	v_lshl_add_u64 v[22:23], v[18:19], 3, s[8:9]
	v_lshl_add_u64 v[24:25], v[18:19], 2, s[12:13]
	s_mov_b64 s[22:23], 0
	v_mov_b32_e32 v39, s5
	v_mov_b64_e32 v[26:27], v[2:3]
	s_branch .LBB120_14
.LBB120_13:                             ;   in Loop: Header=BB120_14 Depth=2
	s_or_b64 exec, exec, s[0:1]
	v_lshl_add_u64 v[18:19], v[18:19], 0, 4
	v_cmp_ge_i64_e64 s[0:1], v[18:19], v[2:3]
	s_xor_b64 s[24:25], vcc, -1
	s_or_b64 s[0:1], s[24:25], s[0:1]
	s_and_b64 s[0:1], exec, s[0:1]
	v_lshl_add_u64 v[22:23], v[22:23], 0, 32
	s_or_b64 s[22:23], s[0:1], s[22:23]
	v_lshl_add_u64 v[24:25], v[24:25], 0, 16
	s_andn2_b64 exec, exec, s[22:23]
	s_cbranch_execz .LBB120_18
.LBB120_14:                             ;   Parent Loop BB120_11 Depth=1
                                        ; =>  This Inner Loop Header: Depth=2
	global_load_dword v6, v[24:25], off
	s_waitcnt vmcnt(0)
	v_subrev_u32_e32 v6, s7, v6
	v_sub_u32_e32 v29, 0, v6
	v_max_i32_e32 v29, v6, v29
	v_mul_hi_u32 v30, v29, v37
	v_mul_lo_u32 v31, v30, s28
	v_sub_u32_e32 v29, v29, v31
	v_add_u32_e32 v40, 1, v30
	v_cmp_le_u32_e32 vcc, s28, v29
	v_subrev_u32_e32 v31, s28, v29
	v_ashrrev_i32_e32 v28, 31, v6
	v_cndmask_b32_e32 v30, v30, v40, vcc
	v_cndmask_b32_e32 v29, v29, v31, vcc
	v_add_u32_e32 v31, 1, v30
	v_cmp_le_u32_e32 vcc, s28, v29
	v_xor_b32_e32 v28, s29, v28
	s_nop 0
	v_cndmask_b32_e32 v29, v30, v31, vcc
	v_xor_b32_e32 v29, v29, v28
	v_sub_u32_e32 v28, v29, v28
	v_ashrrev_i32_e32 v29, 31, v28
	v_cmp_eq_u64_e32 vcc, v[20:21], v[28:29]
	v_cmp_ne_u64_e64 s[0:1], v[20:21], v[28:29]
	v_mov_b64_e32 v[30:31], v[26:27]
	s_and_saveexec_b64 s[24:25], s[0:1]
	s_xor_b64 s[0:1], exec, s[24:25]
; %bb.15:                               ;   in Loop: Header=BB120_14 Depth=2
	v_min_i32_e32 v39, v28, v39
                                        ; implicit-def: $vgpr28
                                        ; implicit-def: $vgpr6
                                        ; implicit-def: $vgpr30_vgpr31
; %bb.16:                               ;   in Loop: Header=BB120_14 Depth=2
	s_or_saveexec_b64 s[0:1], s[0:1]
	v_mov_b64_e32 v[26:27], v[18:19]
	s_xor_b64 exec, exec, s[0:1]
	s_cbranch_execz .LBB120_13
; %bb.17:                               ;   in Loop: Header=BB120_14 Depth=2
	global_load_dwordx2 v[26:27], v[22:23], off
	v_mul_lo_u32 v28, v28, s6
	v_sub_u32_e32 v6, v6, v28
	v_add_lshl_u32 v6, v33, v6, 3
	ds_write_b8 v32, v38 offset:4096
	s_waitcnt vmcnt(0)
	ds_write_b64 v6, v[26:27]
	v_mov_b64_e32 v[26:27], v[30:31]
	s_branch .LBB120_13
.LBB120_18:                             ;   in Loop: Header=BB120_11 Depth=1
	s_or_b64 exec, exec, s[22:23]
.LBB120_19:                             ;   in Loop: Header=BB120_11 Depth=1
	s_or_b64 exec, exec, s[20:21]
	v_mov_b32_dpp v18, v26 row_shr:1 row_mask:0xf bank_mask:0xf
	v_mov_b32_dpp v19, v27 row_shr:1 row_mask:0xf bank_mask:0xf
	v_cmp_lt_i64_e32 vcc, v[18:19], v[26:27]
	s_waitcnt lgkmcnt(0)
	ds_read_u8 v21, v32 offset:4096
	v_cndmask_b32_e32 v19, v27, v19, vcc
	v_cndmask_b32_e32 v18, v26, v18, vcc
	v_mov_b64_e32 v[24:25], 0
	v_mov_b32_dpp v23, v19 row_shr:2 row_mask:0xf bank_mask:0xf
	v_mov_b32_dpp v22, v18 row_shr:2 row_mask:0xf bank_mask:0xf
	v_cmp_lt_i64_e32 vcc, v[22:23], v[18:19]
	s_nop 1
	v_cndmask_b32_e32 v6, v19, v23, vcc
	v_cndmask_b32_e32 v18, v18, v22, vcc
	ds_bpermute_b32 v18, v34, v18
	ds_bpermute_b32 v19, v34, v6
	s_waitcnt lgkmcnt(2)
	v_and_b32_e32 v6, 1, v21
	v_cmp_eq_u32_e32 vcc, 1, v6
	s_and_saveexec_b64 s[0:1], vcc
	s_cbranch_execz .LBB120_10
; %bb.20:                               ;   in Loop: Header=BB120_11 Depth=1
	v_add_u32_e32 v6, s26, v20
	v_lshl_add_u64 v[20:21], v[4:5], 2, s[10:11]
	global_store_dword v[20:21], v6, off
	v_mul_lo_u32 v6, s4, v4
	v_mul_lo_u32 v22, s27, v5
	v_mad_u64_u32 v[20:21], s[20:21], s27, v4, 0
	v_add3_u32 v21, v21, v22, v6
	v_lshlrev_b64 v[20:21], 3, v[20:21]
	v_lshl_add_u64 v[22:23], v[8:9], 0, v[20:21]
	v_lshl_add_u64 v[20:21], v[10:11], 0, v[20:21]
	s_and_saveexec_b64 s[20:21], s[16:17]
	s_cbranch_execz .LBB120_24
; %bb.21:                               ;   in Loop: Header=BB120_11 Depth=1
	s_and_b64 vcc, exec, s[14:15]
	s_cbranch_vccz .LBB120_27
; %bb.22:                               ;   in Loop: Header=BB120_11 Depth=1
	ds_read_b64 v[24:25], v36
	v_lshl_add_u64 v[26:27], v[12:13], 3, v[22:23]
	s_waitcnt lgkmcnt(0)
	global_store_dwordx2 v[26:27], v[24:25], off
	s_cbranch_execnz .LBB120_24
.LBB120_23:                             ;   in Loop: Header=BB120_11 Depth=1
	ds_read_b64 v[24:25], v36
	v_lshlrev_b32_e32 v6, 3, v0
	v_lshl_add_u64 v[26:27], v[20:21], 0, v[6:7]
	s_waitcnt lgkmcnt(0)
	global_store_dwordx2 v[26:27], v[24:25], off
.LBB120_24:                             ;   in Loop: Header=BB120_11 Depth=1
	s_or_b64 exec, exec, s[20:21]
	v_mov_b64_e32 v[24:25], 1
	s_and_saveexec_b64 s[20:21], s[2:3]
	s_cbranch_execz .LBB120_9
; %bb.25:                               ;   in Loop: Header=BB120_11 Depth=1
	s_andn2_b64 vcc, exec, s[14:15]
	s_cbranch_vccnz .LBB120_28
; %bb.26:                               ;   in Loop: Header=BB120_11 Depth=1
	ds_read_b64 v[24:25], v36 offset:32
	v_lshl_add_u64 v[22:23], v[14:15], 3, v[22:23]
	s_mov_b64 s[22:23], 1
	s_waitcnt lgkmcnt(0)
	global_store_dwordx2 v[22:23], v[24:25], off
	s_cbranch_execnz .LBB120_8
	s_branch .LBB120_29
.LBB120_27:                             ;   in Loop: Header=BB120_11 Depth=1
	s_branch .LBB120_23
.LBB120_28:                             ;   in Loop: Header=BB120_11 Depth=1
                                        ; implicit-def: $sgpr22_sgpr23
.LBB120_29:                             ;   in Loop: Header=BB120_11 Depth=1
	ds_read_b64 v[22:23], v36 offset:32
	v_lshlrev_b32_e32 v6, 3, v0
	v_lshl_add_u64 v[20:21], v[20:21], 0, v[6:7]
	s_mov_b64 s[22:23], 1
	s_waitcnt lgkmcnt(0)
	global_store_dwordx2 v[20:21], v[22:23], off offset:32
	s_branch .LBB120_8
.LBB120_30:
	s_endpgm
	.section	.rodata,"a",@progbits
	.p2align	6, 0x0
	.amdhsa_kernel _ZN9rocsparseL42csr2bsr_wavefront_per_row_multipass_kernelILj256ELj32ELj8EdliEEv20rocsparse_direction_T4_S2_S2_S2_S2_21rocsparse_index_base_PKT2_PKT3_PKS2_S3_PS4_PS7_PS2_
		.amdhsa_group_segment_fixed_size 4104
		.amdhsa_private_segment_fixed_size 0
		.amdhsa_kernarg_size 88
		.amdhsa_user_sgpr_count 2
		.amdhsa_user_sgpr_dispatch_ptr 0
		.amdhsa_user_sgpr_queue_ptr 0
		.amdhsa_user_sgpr_kernarg_segment_ptr 1
		.amdhsa_user_sgpr_dispatch_id 0
		.amdhsa_user_sgpr_kernarg_preload_length 0
		.amdhsa_user_sgpr_kernarg_preload_offset 0
		.amdhsa_user_sgpr_private_segment_size 0
		.amdhsa_uses_dynamic_stack 0
		.amdhsa_enable_private_segment 0
		.amdhsa_system_sgpr_workgroup_id_x 1
		.amdhsa_system_sgpr_workgroup_id_y 0
		.amdhsa_system_sgpr_workgroup_id_z 0
		.amdhsa_system_sgpr_workgroup_info 0
		.amdhsa_system_vgpr_workitem_id 0
		.amdhsa_next_free_vgpr 41
		.amdhsa_next_free_sgpr 30
		.amdhsa_accum_offset 44
		.amdhsa_reserve_vcc 1
		.amdhsa_float_round_mode_32 0
		.amdhsa_float_round_mode_16_64 0
		.amdhsa_float_denorm_mode_32 3
		.amdhsa_float_denorm_mode_16_64 3
		.amdhsa_dx10_clamp 1
		.amdhsa_ieee_mode 1
		.amdhsa_fp16_overflow 0
		.amdhsa_tg_split 0
		.amdhsa_exception_fp_ieee_invalid_op 0
		.amdhsa_exception_fp_denorm_src 0
		.amdhsa_exception_fp_ieee_div_zero 0
		.amdhsa_exception_fp_ieee_overflow 0
		.amdhsa_exception_fp_ieee_underflow 0
		.amdhsa_exception_fp_ieee_inexact 0
		.amdhsa_exception_int_div_zero 0
	.end_amdhsa_kernel
	.section	.text._ZN9rocsparseL42csr2bsr_wavefront_per_row_multipass_kernelILj256ELj32ELj8EdliEEv20rocsparse_direction_T4_S2_S2_S2_S2_21rocsparse_index_base_PKT2_PKT3_PKS2_S3_PS4_PS7_PS2_,"axG",@progbits,_ZN9rocsparseL42csr2bsr_wavefront_per_row_multipass_kernelILj256ELj32ELj8EdliEEv20rocsparse_direction_T4_S2_S2_S2_S2_21rocsparse_index_base_PKT2_PKT3_PKS2_S3_PS4_PS7_PS2_,comdat
.Lfunc_end120:
	.size	_ZN9rocsparseL42csr2bsr_wavefront_per_row_multipass_kernelILj256ELj32ELj8EdliEEv20rocsparse_direction_T4_S2_S2_S2_S2_21rocsparse_index_base_PKT2_PKT3_PKS2_S3_PS4_PS7_PS2_, .Lfunc_end120-_ZN9rocsparseL42csr2bsr_wavefront_per_row_multipass_kernelILj256ELj32ELj8EdliEEv20rocsparse_direction_T4_S2_S2_S2_S2_21rocsparse_index_base_PKT2_PKT3_PKS2_S3_PS4_PS7_PS2_
                                        ; -- End function
	.section	.AMDGPU.csdata,"",@progbits
; Kernel info:
; codeLenInByte = 1416
; NumSgprs: 36
; NumVgprs: 41
; NumAgprs: 0
; TotalNumVgprs: 41
; ScratchSize: 0
; MemoryBound: 0
; FloatMode: 240
; IeeeMode: 1
; LDSByteSize: 4104 bytes/workgroup (compile time only)
; SGPRBlocks: 4
; VGPRBlocks: 5
; NumSGPRsForWavesPerEU: 36
; NumVGPRsForWavesPerEU: 41
; AccumOffset: 44
; Occupancy: 8
; WaveLimiterHint : 0
; COMPUTE_PGM_RSRC2:SCRATCH_EN: 0
; COMPUTE_PGM_RSRC2:USER_SGPR: 2
; COMPUTE_PGM_RSRC2:TRAP_HANDLER: 0
; COMPUTE_PGM_RSRC2:TGID_X_EN: 1
; COMPUTE_PGM_RSRC2:TGID_Y_EN: 0
; COMPUTE_PGM_RSRC2:TGID_Z_EN: 0
; COMPUTE_PGM_RSRC2:TIDIG_COMP_CNT: 0
; COMPUTE_PGM_RSRC3_GFX90A:ACCUM_OFFSET: 10
; COMPUTE_PGM_RSRC3_GFX90A:TG_SPLIT: 0
	.section	.text._ZN9rocsparseL42csr2bsr_wavefront_per_row_multipass_kernelILj256ELj64ELj16EdliEEv20rocsparse_direction_T4_S2_S2_S2_S2_21rocsparse_index_base_PKT2_PKT3_PKS2_S3_PS4_PS7_PS2_,"axG",@progbits,_ZN9rocsparseL42csr2bsr_wavefront_per_row_multipass_kernelILj256ELj64ELj16EdliEEv20rocsparse_direction_T4_S2_S2_S2_S2_21rocsparse_index_base_PKT2_PKT3_PKS2_S3_PS4_PS7_PS2_,comdat
	.globl	_ZN9rocsparseL42csr2bsr_wavefront_per_row_multipass_kernelILj256ELj64ELj16EdliEEv20rocsparse_direction_T4_S2_S2_S2_S2_21rocsparse_index_base_PKT2_PKT3_PKS2_S3_PS4_PS7_PS2_ ; -- Begin function _ZN9rocsparseL42csr2bsr_wavefront_per_row_multipass_kernelILj256ELj64ELj16EdliEEv20rocsparse_direction_T4_S2_S2_S2_S2_21rocsparse_index_base_PKT2_PKT3_PKS2_S3_PS4_PS7_PS2_
	.p2align	8
	.type	_ZN9rocsparseL42csr2bsr_wavefront_per_row_multipass_kernelILj256ELj64ELj16EdliEEv20rocsparse_direction_T4_S2_S2_S2_S2_21rocsparse_index_base_PKT2_PKT3_PKS2_S3_PS4_PS7_PS2_,@function
_ZN9rocsparseL42csr2bsr_wavefront_per_row_multipass_kernelILj256ELj64ELj16EdliEEv20rocsparse_direction_T4_S2_S2_S2_S2_21rocsparse_index_base_PKT2_PKT3_PKS2_S3_PS4_PS7_PS2_: ; @_ZN9rocsparseL42csr2bsr_wavefront_per_row_multipass_kernelILj256ELj64ELj16EdliEEv20rocsparse_direction_T4_S2_S2_S2_S2_21rocsparse_index_base_PKT2_PKT3_PKS2_S3_PS4_PS7_PS2_
; %bb.0:
	s_load_dwordx2 s[4:5], s[0:1], 0x0
	s_load_dwordx4 s[8:11], s[0:1], 0xc
	s_load_dwordx2 s[6:7], s[0:1], 0x28
	v_lshrrev_b32_e32 v36, 6, v0
	v_bfe_u32 v10, v0, 2, 4
	v_lshl_or_b32 v6, s2, 2, v36
	s_waitcnt lgkmcnt(0)
	v_mad_u64_u32 v[4:5], s[2:3], v6, s10, v[10:11]
	v_cmp_gt_i32_e64 s[2:3], s5, v4
	v_cmp_gt_i32_e32 vcc, s10, v10
	v_mov_b64_e32 v[2:3], 0
	s_and_b64 s[12:13], vcc, s[2:3]
	v_mov_b64_e32 v[22:23], v[2:3]
	s_and_saveexec_b64 s[14:15], s[12:13]
	s_cbranch_execz .LBB121_2
; %bb.1:
	v_ashrrev_i32_e32 v5, 31, v4
	v_lshl_add_u64 v[8:9], v[4:5], 3, s[6:7]
	global_load_dwordx2 v[8:9], v[8:9], off
	s_waitcnt vmcnt(0)
	v_subrev_co_u32_e64 v22, s[2:3], s11, v8
	s_nop 1
	v_subbrev_co_u32_e64 v23, s[2:3], 0, v9, s[2:3]
.LBB121_2:
	s_or_b64 exec, exec, s[14:15]
	s_and_saveexec_b64 s[14:15], s[12:13]
	s_cbranch_execz .LBB121_4
; %bb.3:
	v_ashrrev_i32_e32 v5, 31, v4
	v_lshl_add_u64 v[2:3], v[4:5], 3, s[6:7]
	global_load_dwordx2 v[2:3], v[2:3], off offset:8
	s_waitcnt vmcnt(0)
	v_subrev_co_u32_e64 v2, s[2:3], s11, v2
	s_nop 1
	v_subbrev_co_u32_e64 v3, s[2:3], 0, v3, s[2:3]
.LBB121_4:
	s_or_b64 exec, exec, s[14:15]
	s_load_dword s30, s[0:1], 0x38
	v_cmp_gt_i32_e64 s[2:3], s8, v6
	v_mov_b64_e32 v[4:5], 0
	s_and_saveexec_b64 s[6:7], s[2:3]
	s_cbranch_execz .LBB121_6
; %bb.5:
	s_load_dwordx2 s[2:3], s[0:1], 0x48
	v_ashrrev_i32_e32 v7, 31, v6
	s_waitcnt lgkmcnt(0)
	v_lshl_add_u64 v[4:5], v[6:7], 3, s[2:3]
	global_load_dwordx2 v[4:5], v[4:5], off
	s_waitcnt vmcnt(0)
	v_subrev_co_u32_e64 v4, s[2:3], s30, v4
	s_nop 1
	v_subbrev_co_u32_e64 v5, s[2:3], 0, v5, s[2:3]
.LBB121_6:
	s_or_b64 exec, exec, s[6:7]
	s_cmp_lt_i32 s9, 1
	s_cbranch_scc1 .LBB121_40
; %bb.7:
	s_load_dwordx2 s[12:13], s[0:1], 0x20
	s_load_dwordx2 s[14:15], s[0:1], 0x50
	;; [unrolled: 1-line block ×4, first 2 shown]
	v_mbcnt_lo_u32_b32 v6, -1, 0
	v_mbcnt_hi_u32_b32 v6, -1, v6
	v_lshlrev_b32_e32 v1, 8, v36
	v_mov_b32_e32 v7, 0
	v_lshlrev_b32_e32 v12, 2, v6
	s_cmp_lg_u32 s4, 0
	v_lshlrev_b32_e32 v6, 3, v10
	v_and_b32_e32 v0, 3, v0
	v_lshl_or_b32 v37, v10, 4, v1
	s_cselect_b64 s[18:19], -1, 0
	s_waitcnt lgkmcnt(0)
	v_lshl_add_u64 v[8:9], s[2:3], 0, v[6:7]
	v_mul_lo_u32 v6, v10, s10
	s_abs_i32 s33, s10
	v_lshl_add_u64 v[10:11], v[6:7], 3, s[2:3]
	v_or_b32_e32 v6, v37, v0
	v_cvt_f32_u32_e32 v20, s33
	v_lshlrev_b32_e32 v40, 3, v6
	v_or_b32_e32 v6, 4, v0
	v_cmp_gt_u32_e64 s[2:3], s10, v6
	v_or_b32_e32 v6, 8, v0
	v_cmp_gt_u32_e64 s[4:5], s10, v6
	v_or_b32_e32 v6, 12, v0
	v_cmp_gt_u32_e64 s[6:7], s10, v6
	v_rcp_iflag_f32_e32 v6, v20
	v_or_b32_e32 v38, 12, v12
	v_or_b32_e32 v39, 0xfc, v12
	v_mul_lo_u32 v12, v0, s10
	v_mul_f32_e32 v6, 0x4f7ffffe, v6
	s_lshl_b32 s20, s10, 2
	v_cvt_u32_f32_e32 v6, v6
	v_add_u32_e32 v14, s20, v12
	v_cmp_gt_u32_e64 s[0:1], s10, v0
	v_add_u32_e32 v16, s20, v14
	v_add_u32_e32 v18, s20, v16
	s_and_b64 s[20:21], s[0:1], vcc
	s_sub_i32 s0, 0, s33
	s_mov_b32 s24, 0
	v_mul_lo_u32 v20, s0, v6
	v_mul_hi_u32 v20, v6, v20
	s_mov_b32 s25, s24
	v_mov_b32_e32 v1, v7
	s_mul_hi_u32 s8, s10, s10
	s_mul_i32 s31, s10, s10
	v_mov_b32_e32 v13, v7
	v_mov_b32_e32 v15, v7
	v_mov_b32_e32 v17, v7
	v_mov_b32_e32 v19, v7
	s_and_b64 s[2:3], vcc, s[2:3]
	s_and_b64 s[4:5], vcc, s[4:5]
	;; [unrolled: 1-line block ×3, first 2 shown]
	s_ashr_i32 s34, s10, 31
	v_add_u32_e32 v41, v6, v20
	s_mov_b64 s[22:23], 0
	v_mov_b64_e32 v[24:25], 0
	v_mov_b64_e32 v[20:21], s[24:25]
	v_mov_b32_e32 v42, 1
	s_branch .LBB121_11
.LBB121_8:                              ;   in Loop: Header=BB121_11 Depth=1
	v_mov_b64_e32 v[28:29], s[0:1]
.LBB121_9:                              ;   in Loop: Header=BB121_11 Depth=1
	s_or_b64 exec, exec, s[26:27]
.LBB121_10:                             ;   in Loop: Header=BB121_11 Depth=1
	s_or_b64 exec, exec, s[24:25]
	v_mov_b32_dpp v6, v43 row_shr:1 row_mask:0xf bank_mask:0xf
	v_min_i32_e32 v6, v6, v43
	v_lshl_add_u64 v[4:5], v[28:29], 0, v[4:5]
	s_waitcnt lgkmcnt(0)
	v_mov_b32_dpp v24, v6 row_shr:2 row_mask:0xf bank_mask:0xf
	v_min_i32_e32 v6, v24, v6
	s_nop 1
	v_mov_b32_dpp v24, v6 row_shr:4 row_mask:0xf bank_mask:0xe
	v_min_i32_e32 v6, v24, v6
	s_nop 1
	;; [unrolled: 3-line block ×3, first 2 shown]
	v_mov_b32_dpp v24, v6 row_bcast:15 row_mask:0xa bank_mask:0xf
	v_min_i32_e32 v6, v24, v6
	s_nop 1
	v_mov_b32_dpp v24, v6 row_bcast:31 row_mask:0xc bank_mask:0xf
	v_min_i32_e32 v6, v24, v6
	ds_bpermute_b32 v24, v39, v6
	s_waitcnt lgkmcnt(0)
	v_cmp_le_i32_e32 vcc, s9, v24
	v_ashrrev_i32_e32 v25, 31, v24
	s_or_b64 s[22:23], vcc, s[22:23]
	s_andn2_b64 exec, exec, s[22:23]
	s_cbranch_execz .LBB121_40
.LBB121_11:                             ; =>This Loop Header: Depth=1
                                        ;     Child Loop BB121_14 Depth 2
	v_lshl_add_u64 v[22:23], v[22:23], 0, v[0:1]
	v_cmp_lt_i64_e32 vcc, v[22:23], v[2:3]
	v_mov_b32_e32 v43, s9
	v_mov_b64_e32 v[30:31], v[2:3]
	ds_write_b8 v36, v7 offset:8192
	ds_write2_b64 v40, v[20:21], v[20:21] offset1:4
	ds_write2_b64 v40, v[20:21], v[20:21] offset0:8 offset1:12
	s_waitcnt lgkmcnt(0)
	s_and_saveexec_b64 s[24:25], vcc
	s_cbranch_execz .LBB121_19
; %bb.12:                               ;   in Loop: Header=BB121_11 Depth=1
	v_lshl_add_u64 v[26:27], v[22:23], 3, s[12:13]
	v_lshl_add_u64 v[28:29], v[22:23], 2, s[16:17]
	s_mov_b64 s[26:27], 0
	v_mov_b32_e32 v43, s9
	v_mov_b64_e32 v[30:31], v[2:3]
	s_branch .LBB121_14
.LBB121_13:                             ;   in Loop: Header=BB121_14 Depth=2
	s_or_b64 exec, exec, s[0:1]
	v_lshl_add_u64 v[22:23], v[22:23], 0, 4
	v_cmp_ge_i64_e64 s[0:1], v[22:23], v[2:3]
	s_xor_b64 s[28:29], vcc, -1
	s_or_b64 s[0:1], s[28:29], s[0:1]
	s_and_b64 s[0:1], exec, s[0:1]
	v_lshl_add_u64 v[26:27], v[26:27], 0, 32
	s_or_b64 s[26:27], s[0:1], s[26:27]
	v_lshl_add_u64 v[28:29], v[28:29], 0, 16
	s_andn2_b64 exec, exec, s[26:27]
	s_cbranch_execz .LBB121_18
.LBB121_14:                             ;   Parent Loop BB121_11 Depth=1
                                        ; =>  This Inner Loop Header: Depth=2
	global_load_dword v6, v[28:29], off
	s_waitcnt vmcnt(0)
	v_subrev_u32_e32 v6, s11, v6
	v_sub_u32_e32 v33, 0, v6
	v_max_i32_e32 v33, v6, v33
	v_mul_hi_u32 v34, v33, v41
	v_mul_lo_u32 v35, v34, s33
	v_sub_u32_e32 v33, v33, v35
	v_add_u32_e32 v44, 1, v34
	v_cmp_le_u32_e32 vcc, s33, v33
	v_subrev_u32_e32 v35, s33, v33
	v_ashrrev_i32_e32 v32, 31, v6
	v_cndmask_b32_e32 v34, v34, v44, vcc
	v_cndmask_b32_e32 v33, v33, v35, vcc
	v_add_u32_e32 v35, 1, v34
	v_cmp_le_u32_e32 vcc, s33, v33
	v_xor_b32_e32 v32, s34, v32
	s_nop 0
	v_cndmask_b32_e32 v33, v34, v35, vcc
	v_xor_b32_e32 v33, v33, v32
	v_sub_u32_e32 v32, v33, v32
	v_ashrrev_i32_e32 v33, 31, v32
	v_cmp_eq_u64_e32 vcc, v[24:25], v[32:33]
	v_cmp_ne_u64_e64 s[0:1], v[24:25], v[32:33]
	v_mov_b64_e32 v[34:35], v[30:31]
	s_and_saveexec_b64 s[28:29], s[0:1]
	s_xor_b64 s[0:1], exec, s[28:29]
; %bb.15:                               ;   in Loop: Header=BB121_14 Depth=2
	v_min_i32_e32 v43, v32, v43
                                        ; implicit-def: $vgpr32
                                        ; implicit-def: $vgpr6
                                        ; implicit-def: $vgpr34_vgpr35
; %bb.16:                               ;   in Loop: Header=BB121_14 Depth=2
	s_or_saveexec_b64 s[0:1], s[0:1]
	v_mov_b64_e32 v[30:31], v[22:23]
	s_xor_b64 exec, exec, s[0:1]
	s_cbranch_execz .LBB121_13
; %bb.17:                               ;   in Loop: Header=BB121_14 Depth=2
	global_load_dwordx2 v[30:31], v[26:27], off
	v_mul_lo_u32 v32, v32, s10
	v_sub_u32_e32 v6, v6, v32
	v_add_lshl_u32 v6, v37, v6, 3
	ds_write_b8 v36, v42 offset:8192
	s_waitcnt vmcnt(0)
	ds_write_b64 v6, v[30:31]
	v_mov_b64_e32 v[30:31], v[34:35]
	s_branch .LBB121_13
.LBB121_18:                             ;   in Loop: Header=BB121_11 Depth=1
	s_or_b64 exec, exec, s[26:27]
.LBB121_19:                             ;   in Loop: Header=BB121_11 Depth=1
	s_or_b64 exec, exec, s[24:25]
	v_mov_b32_dpp v22, v30 row_shr:1 row_mask:0xf bank_mask:0xf
	v_mov_b32_dpp v23, v31 row_shr:1 row_mask:0xf bank_mask:0xf
	v_cmp_lt_i64_e32 vcc, v[22:23], v[30:31]
	s_waitcnt lgkmcnt(0)
	ds_read_u8 v25, v36 offset:8192
	v_cndmask_b32_e32 v23, v31, v23, vcc
	v_cndmask_b32_e32 v22, v30, v22, vcc
	v_mov_b64_e32 v[28:29], 0
	v_mov_b32_dpp v27, v23 row_shr:2 row_mask:0xf bank_mask:0xf
	v_mov_b32_dpp v26, v22 row_shr:2 row_mask:0xf bank_mask:0xf
	v_cmp_lt_i64_e32 vcc, v[26:27], v[22:23]
	s_nop 1
	v_cndmask_b32_e32 v6, v23, v27, vcc
	v_cndmask_b32_e32 v22, v22, v26, vcc
	ds_bpermute_b32 v22, v38, v22
	ds_bpermute_b32 v23, v38, v6
	s_waitcnt lgkmcnt(2)
	v_and_b32_e32 v6, 1, v25
	v_cmp_eq_u32_e32 vcc, 1, v6
	s_and_saveexec_b64 s[24:25], vcc
	s_cbranch_execz .LBB121_10
; %bb.20:                               ;   in Loop: Header=BB121_11 Depth=1
	v_add_u32_e32 v6, s30, v24
	v_lshl_add_u64 v[24:25], v[4:5], 2, s[14:15]
	global_store_dword v[24:25], v6, off
	v_mul_lo_u32 v6, s8, v4
	v_mul_lo_u32 v26, s31, v5
	v_mad_u64_u32 v[24:25], s[0:1], s31, v4, 0
	v_add3_u32 v25, v25, v26, v6
	v_lshlrev_b64 v[24:25], 3, v[24:25]
	v_lshl_add_u64 v[26:27], v[8:9], 0, v[24:25]
	v_lshl_add_u64 v[24:25], v[10:11], 0, v[24:25]
	s_and_saveexec_b64 s[0:1], s[20:21]
	s_cbranch_execz .LBB121_24
; %bb.21:                               ;   in Loop: Header=BB121_11 Depth=1
	s_and_b64 vcc, exec, s[18:19]
	s_cbranch_vccz .LBB121_35
; %bb.22:                               ;   in Loop: Header=BB121_11 Depth=1
	ds_read_b64 v[28:29], v40
	v_lshl_add_u64 v[30:31], v[12:13], 3, v[26:27]
	s_waitcnt lgkmcnt(0)
	global_store_dwordx2 v[30:31], v[28:29], off
	s_cbranch_execnz .LBB121_24
.LBB121_23:                             ;   in Loop: Header=BB121_11 Depth=1
	ds_read_b64 v[28:29], v40
	v_lshlrev_b32_e32 v6, 3, v0
	v_lshl_add_u64 v[30:31], v[24:25], 0, v[6:7]
	s_waitcnt lgkmcnt(0)
	global_store_dwordx2 v[30:31], v[28:29], off
.LBB121_24:                             ;   in Loop: Header=BB121_11 Depth=1
	s_or_b64 exec, exec, s[0:1]
	v_cndmask_b32_e64 v6, 0, 1, s[18:19]
	v_cmp_ne_u32_e64 s[0:1], 1, v6
	s_and_saveexec_b64 s[26:27], s[2:3]
	s_cbranch_execz .LBB121_28
; %bb.25:                               ;   in Loop: Header=BB121_11 Depth=1
	s_and_b64 vcc, exec, s[0:1]
	s_cbranch_vccnz .LBB121_36
; %bb.26:                               ;   in Loop: Header=BB121_11 Depth=1
	ds_read_b64 v[28:29], v40 offset:32
	v_lshl_add_u64 v[30:31], v[14:15], 3, v[26:27]
	s_waitcnt lgkmcnt(0)
	global_store_dwordx2 v[30:31], v[28:29], off
	s_cbranch_execnz .LBB121_28
.LBB121_27:                             ;   in Loop: Header=BB121_11 Depth=1
	ds_read_b64 v[28:29], v40 offset:32
	v_lshlrev_b32_e32 v6, 3, v0
	v_lshl_add_u64 v[30:31], v[24:25], 0, v[6:7]
	s_waitcnt lgkmcnt(0)
	global_store_dwordx2 v[30:31], v[28:29], off offset:32
.LBB121_28:                             ;   in Loop: Header=BB121_11 Depth=1
	s_or_b64 exec, exec, s[26:27]
	s_and_saveexec_b64 s[26:27], s[4:5]
	s_cbranch_execz .LBB121_32
; %bb.29:                               ;   in Loop: Header=BB121_11 Depth=1
	s_and_b64 vcc, exec, s[0:1]
	s_cbranch_vccnz .LBB121_37
; %bb.30:                               ;   in Loop: Header=BB121_11 Depth=1
	ds_read_b64 v[28:29], v40 offset:64
	v_lshl_add_u64 v[30:31], v[16:17], 3, v[26:27]
	s_waitcnt lgkmcnt(0)
	global_store_dwordx2 v[30:31], v[28:29], off
	s_cbranch_execnz .LBB121_32
.LBB121_31:                             ;   in Loop: Header=BB121_11 Depth=1
	ds_read_b64 v[28:29], v40 offset:64
	v_lshlrev_b32_e32 v6, 3, v0
	v_lshl_add_u64 v[30:31], v[24:25], 0, v[6:7]
	s_waitcnt lgkmcnt(0)
	global_store_dwordx2 v[30:31], v[28:29], off offset:64
.LBB121_32:                             ;   in Loop: Header=BB121_11 Depth=1
	s_or_b64 exec, exec, s[26:27]
	v_mov_b64_e32 v[28:29], 1
	s_and_saveexec_b64 s[26:27], s[6:7]
	s_cbranch_execz .LBB121_9
; %bb.33:                               ;   in Loop: Header=BB121_11 Depth=1
	s_and_b64 vcc, exec, s[0:1]
	s_cbranch_vccnz .LBB121_38
; %bb.34:                               ;   in Loop: Header=BB121_11 Depth=1
	ds_read_b64 v[28:29], v40 offset:96
	v_lshl_add_u64 v[26:27], v[18:19], 3, v[26:27]
	s_mov_b64 s[0:1], 1
	s_waitcnt lgkmcnt(0)
	global_store_dwordx2 v[26:27], v[28:29], off
	s_cbranch_execnz .LBB121_8
	s_branch .LBB121_39
.LBB121_35:                             ;   in Loop: Header=BB121_11 Depth=1
	s_branch .LBB121_23
.LBB121_36:                             ;   in Loop: Header=BB121_11 Depth=1
	s_branch .LBB121_27
.LBB121_37:                             ;   in Loop: Header=BB121_11 Depth=1
	s_branch .LBB121_31
.LBB121_38:                             ;   in Loop: Header=BB121_11 Depth=1
                                        ; implicit-def: $sgpr0_sgpr1
.LBB121_39:                             ;   in Loop: Header=BB121_11 Depth=1
	ds_read_b64 v[26:27], v40 offset:96
	v_lshlrev_b32_e32 v6, 3, v0
	v_lshl_add_u64 v[24:25], v[24:25], 0, v[6:7]
	s_mov_b64 s[0:1], 1
	s_waitcnt lgkmcnt(0)
	global_store_dwordx2 v[24:25], v[26:27], off offset:96
	s_branch .LBB121_8
.LBB121_40:
	s_endpgm
	.section	.rodata,"a",@progbits
	.p2align	6, 0x0
	.amdhsa_kernel _ZN9rocsparseL42csr2bsr_wavefront_per_row_multipass_kernelILj256ELj64ELj16EdliEEv20rocsparse_direction_T4_S2_S2_S2_S2_21rocsparse_index_base_PKT2_PKT3_PKS2_S3_PS4_PS7_PS2_
		.amdhsa_group_segment_fixed_size 8200
		.amdhsa_private_segment_fixed_size 0
		.amdhsa_kernarg_size 88
		.amdhsa_user_sgpr_count 2
		.amdhsa_user_sgpr_dispatch_ptr 0
		.amdhsa_user_sgpr_queue_ptr 0
		.amdhsa_user_sgpr_kernarg_segment_ptr 1
		.amdhsa_user_sgpr_dispatch_id 0
		.amdhsa_user_sgpr_kernarg_preload_length 0
		.amdhsa_user_sgpr_kernarg_preload_offset 0
		.amdhsa_user_sgpr_private_segment_size 0
		.amdhsa_uses_dynamic_stack 0
		.amdhsa_enable_private_segment 0
		.amdhsa_system_sgpr_workgroup_id_x 1
		.amdhsa_system_sgpr_workgroup_id_y 0
		.amdhsa_system_sgpr_workgroup_id_z 0
		.amdhsa_system_sgpr_workgroup_info 0
		.amdhsa_system_vgpr_workitem_id 0
		.amdhsa_next_free_vgpr 45
		.amdhsa_next_free_sgpr 35
		.amdhsa_accum_offset 48
		.amdhsa_reserve_vcc 1
		.amdhsa_float_round_mode_32 0
		.amdhsa_float_round_mode_16_64 0
		.amdhsa_float_denorm_mode_32 3
		.amdhsa_float_denorm_mode_16_64 3
		.amdhsa_dx10_clamp 1
		.amdhsa_ieee_mode 1
		.amdhsa_fp16_overflow 0
		.amdhsa_tg_split 0
		.amdhsa_exception_fp_ieee_invalid_op 0
		.amdhsa_exception_fp_denorm_src 0
		.amdhsa_exception_fp_ieee_div_zero 0
		.amdhsa_exception_fp_ieee_overflow 0
		.amdhsa_exception_fp_ieee_underflow 0
		.amdhsa_exception_fp_ieee_inexact 0
		.amdhsa_exception_int_div_zero 0
	.end_amdhsa_kernel
	.section	.text._ZN9rocsparseL42csr2bsr_wavefront_per_row_multipass_kernelILj256ELj64ELj16EdliEEv20rocsparse_direction_T4_S2_S2_S2_S2_21rocsparse_index_base_PKT2_PKT3_PKS2_S3_PS4_PS7_PS2_,"axG",@progbits,_ZN9rocsparseL42csr2bsr_wavefront_per_row_multipass_kernelILj256ELj64ELj16EdliEEv20rocsparse_direction_T4_S2_S2_S2_S2_21rocsparse_index_base_PKT2_PKT3_PKS2_S3_PS4_PS7_PS2_,comdat
.Lfunc_end121:
	.size	_ZN9rocsparseL42csr2bsr_wavefront_per_row_multipass_kernelILj256ELj64ELj16EdliEEv20rocsparse_direction_T4_S2_S2_S2_S2_21rocsparse_index_base_PKT2_PKT3_PKS2_S3_PS4_PS7_PS2_, .Lfunc_end121-_ZN9rocsparseL42csr2bsr_wavefront_per_row_multipass_kernelILj256ELj64ELj16EdliEEv20rocsparse_direction_T4_S2_S2_S2_S2_21rocsparse_index_base_PKT2_PKT3_PKS2_S3_PS4_PS7_PS2_
                                        ; -- End function
	.section	.AMDGPU.csdata,"",@progbits
; Kernel info:
; codeLenInByte = 1684
; NumSgprs: 41
; NumVgprs: 45
; NumAgprs: 0
; TotalNumVgprs: 45
; ScratchSize: 0
; MemoryBound: 0
; FloatMode: 240
; IeeeMode: 1
; LDSByteSize: 8200 bytes/workgroup (compile time only)
; SGPRBlocks: 5
; VGPRBlocks: 5
; NumSGPRsForWavesPerEU: 41
; NumVGPRsForWavesPerEU: 45
; AccumOffset: 48
; Occupancy: 7
; WaveLimiterHint : 0
; COMPUTE_PGM_RSRC2:SCRATCH_EN: 0
; COMPUTE_PGM_RSRC2:USER_SGPR: 2
; COMPUTE_PGM_RSRC2:TRAP_HANDLER: 0
; COMPUTE_PGM_RSRC2:TGID_X_EN: 1
; COMPUTE_PGM_RSRC2:TGID_Y_EN: 0
; COMPUTE_PGM_RSRC2:TGID_Z_EN: 0
; COMPUTE_PGM_RSRC2:TIDIG_COMP_CNT: 0
; COMPUTE_PGM_RSRC3_GFX90A:ACCUM_OFFSET: 11
; COMPUTE_PGM_RSRC3_GFX90A:TG_SPLIT: 0
	.section	.text._ZN9rocsparseL42csr2bsr_wavefront_per_row_multipass_kernelILj256ELj32ELj16EdliEEv20rocsparse_direction_T4_S2_S2_S2_S2_21rocsparse_index_base_PKT2_PKT3_PKS2_S3_PS4_PS7_PS2_,"axG",@progbits,_ZN9rocsparseL42csr2bsr_wavefront_per_row_multipass_kernelILj256ELj32ELj16EdliEEv20rocsparse_direction_T4_S2_S2_S2_S2_21rocsparse_index_base_PKT2_PKT3_PKS2_S3_PS4_PS7_PS2_,comdat
	.globl	_ZN9rocsparseL42csr2bsr_wavefront_per_row_multipass_kernelILj256ELj32ELj16EdliEEv20rocsparse_direction_T4_S2_S2_S2_S2_21rocsparse_index_base_PKT2_PKT3_PKS2_S3_PS4_PS7_PS2_ ; -- Begin function _ZN9rocsparseL42csr2bsr_wavefront_per_row_multipass_kernelILj256ELj32ELj16EdliEEv20rocsparse_direction_T4_S2_S2_S2_S2_21rocsparse_index_base_PKT2_PKT3_PKS2_S3_PS4_PS7_PS2_
	.p2align	8
	.type	_ZN9rocsparseL42csr2bsr_wavefront_per_row_multipass_kernelILj256ELj32ELj16EdliEEv20rocsparse_direction_T4_S2_S2_S2_S2_21rocsparse_index_base_PKT2_PKT3_PKS2_S3_PS4_PS7_PS2_,@function
_ZN9rocsparseL42csr2bsr_wavefront_per_row_multipass_kernelILj256ELj32ELj16EdliEEv20rocsparse_direction_T4_S2_S2_S2_S2_21rocsparse_index_base_PKT2_PKT3_PKS2_S3_PS4_PS7_PS2_: ; @_ZN9rocsparseL42csr2bsr_wavefront_per_row_multipass_kernelILj256ELj32ELj16EdliEEv20rocsparse_direction_T4_S2_S2_S2_S2_21rocsparse_index_base_PKT2_PKT3_PKS2_S3_PS4_PS7_PS2_
; %bb.0:
	s_load_dwordx2 s[4:5], s[0:1], 0x0
	s_load_dwordx4 s[16:19], s[0:1], 0xc
	s_load_dwordx2 s[6:7], s[0:1], 0x28
	v_lshrrev_b32_e32 v44, 5, v0
	v_bfe_u32 v10, v0, 1, 4
	v_lshl_or_b32 v6, s2, 3, v44
	s_waitcnt lgkmcnt(0)
	v_mad_u64_u32 v[4:5], s[2:3], v6, s18, v[10:11]
	v_cmp_gt_i32_e64 s[2:3], s5, v4
	v_cmp_gt_i32_e32 vcc, s18, v10
	v_mov_b64_e32 v[2:3], 0
	s_and_b64 s[8:9], vcc, s[2:3]
	v_mov_b64_e32 v[28:29], v[2:3]
	s_and_saveexec_b64 s[10:11], s[8:9]
	s_cbranch_execz .LBB122_2
; %bb.1:
	v_ashrrev_i32_e32 v5, 31, v4
	v_lshl_add_u64 v[8:9], v[4:5], 3, s[6:7]
	global_load_dwordx2 v[8:9], v[8:9], off
	s_waitcnt vmcnt(0)
	v_subrev_co_u32_e64 v28, s[2:3], s19, v8
	s_nop 1
	v_subbrev_co_u32_e64 v29, s[2:3], 0, v9, s[2:3]
.LBB122_2:
	s_or_b64 exec, exec, s[10:11]
	s_and_saveexec_b64 s[10:11], s[8:9]
	s_cbranch_execz .LBB122_4
; %bb.3:
	v_ashrrev_i32_e32 v5, 31, v4
	v_lshl_add_u64 v[2:3], v[4:5], 3, s[6:7]
	global_load_dwordx2 v[2:3], v[2:3], off offset:8
	s_waitcnt vmcnt(0)
	v_subrev_co_u32_e64 v2, s[2:3], s19, v2
	s_nop 1
	v_subbrev_co_u32_e64 v3, s[2:3], 0, v3, s[2:3]
.LBB122_4:
	s_or_b64 exec, exec, s[10:11]
	s_load_dword s33, s[0:1], 0x38
	v_cmp_gt_i32_e64 s[2:3], s16, v6
	v_mov_b64_e32 v[4:5], 0
	s_and_saveexec_b64 s[6:7], s[2:3]
	s_cbranch_execz .LBB122_6
; %bb.5:
	s_load_dwordx2 s[2:3], s[0:1], 0x48
	v_ashrrev_i32_e32 v7, 31, v6
	s_waitcnt lgkmcnt(0)
	v_lshl_add_u64 v[4:5], v[6:7], 3, s[2:3]
	global_load_dwordx2 v[4:5], v[4:5], off
	s_waitcnt vmcnt(0)
	v_subrev_co_u32_e64 v4, s[2:3], s33, v4
	s_nop 1
	v_subbrev_co_u32_e64 v5, s[2:3], 0, v5, s[2:3]
.LBB122_6:
	s_or_b64 exec, exec, s[6:7]
	s_cmp_lt_i32 s17, 1
	s_cbranch_scc1 .LBB122_60
; %bb.7:
	s_load_dwordx2 s[20:21], s[0:1], 0x20
	s_load_dwordx2 s[22:23], s[0:1], 0x50
	;; [unrolled: 1-line block ×4, first 2 shown]
	v_mbcnt_lo_u32_b32 v6, -1, 0
	v_mbcnt_hi_u32_b32 v6, -1, v6
	v_lshlrev_b32_e32 v1, 8, v44
	v_mov_b32_e32 v7, 0
	v_lshlrev_b32_e32 v12, 2, v6
	v_lshlrev_b32_e32 v6, 3, v10
	v_and_b32_e32 v0, 1, v0
	v_lshl_or_b32 v45, v10, 4, v1
	s_waitcnt lgkmcnt(0)
	v_lshl_add_u64 v[8:9], s[2:3], 0, v[6:7]
	v_mul_lo_u32 v6, v10, s18
	v_lshl_add_u64 v[10:11], v[6:7], 3, s[2:3]
	v_or_b32_e32 v6, v45, v0
	v_lshlrev_b32_e32 v48, 3, v6
	v_or_b32_e32 v6, 2, v0
	v_cmp_gt_u32_e64 s[2:3], s18, v6
	v_or_b32_e32 v6, 4, v0
	s_cmp_lg_u32 s4, 0
	v_cmp_gt_u32_e64 s[4:5], s18, v6
	v_or_b32_e32 v6, 6, v0
	v_cmp_gt_u32_e64 s[6:7], s18, v6
	v_or_b32_e32 v6, 8, v0
	;; [unrolled: 2-line block ×4, first 2 shown]
	s_cselect_b64 s[26:27], -1, 0
	v_cmp_gt_u32_e64 s[12:13], s18, v6
	v_or_b32_e32 v6, 14, v0
	s_abs_i32 s43, s18
	v_cmp_gt_u32_e64 s[14:15], s18, v6
	v_cvt_f32_u32_e32 v6, s43
	v_or_b32_e32 v46, 4, v12
	v_or_b32_e32 v47, 0x7c, v12
	v_mul_lo_u32 v12, v0, s18
	v_rcp_iflag_f32_e32 v6, v6
	s_lshl_b32 s28, s18, 1
	v_add_u32_e32 v14, s28, v12
	v_add_u32_e32 v16, s28, v14
	;; [unrolled: 1-line block ×3, first 2 shown]
	v_mul_f32_e32 v6, 0x4f7ffffe, v6
	v_add_u32_e32 v20, s28, v18
	v_cvt_u32_f32_e32 v6, v6
	v_add_u32_e32 v22, s28, v20
	v_cmp_gt_u32_e64 s[0:1], s18, v0
	v_add_u32_e32 v24, s28, v22
	v_add_u32_e32 v26, s28, v24
	s_and_b64 s[28:29], s[0:1], vcc
	s_sub_i32 s0, 0, s43
	v_mul_lo_u32 v30, s0, v6
	s_mov_b32 s36, 0
	v_mul_hi_u32 v30, v6, v30
	v_add_u32_e32 v49, v6, v30
	s_mov_b32 s37, s36
	v_cndmask_b32_e64 v6, 0, 1, s[26:27]
	v_mov_b32_e32 v1, v7
	s_mul_hi_u32 s16, s18, s18
	s_mul_i32 s42, s18, s18
	v_mov_b32_e32 v13, v7
	v_mov_b32_e32 v15, v7
	;; [unrolled: 1-line block ×8, first 2 shown]
	s_and_b64 s[30:31], vcc, s[2:3]
	s_and_b64 s[4:5], vcc, s[4:5]
	;; [unrolled: 1-line block ×7, first 2 shown]
	s_ashr_i32 s44, s18, 31
	s_mov_b64 s[34:35], 0
	v_mov_b64_e32 v[32:33], 0
	v_mov_b64_e32 v[30:31], s[36:37]
	v_cmp_ne_u32_e64 s[0:1], 1, v6
	v_mov_b32_e32 v50, 1
	v_lshlrev_b32_e32 v6, 3, v0
	s_branch .LBB122_11
.LBB122_8:                              ;   in Loop: Header=BB122_11 Depth=1
	v_mov_b64_e32 v[36:37], s[38:39]
.LBB122_9:                              ;   in Loop: Header=BB122_11 Depth=1
	s_or_b64 exec, exec, s[36:37]
.LBB122_10:                             ;   in Loop: Header=BB122_11 Depth=1
	s_or_b64 exec, exec, s[2:3]
	v_mov_b32_dpp v32, v51 row_shr:1 row_mask:0xf bank_mask:0xf
	v_min_i32_e32 v32, v32, v51
	v_lshl_add_u64 v[4:5], v[36:37], 0, v[4:5]
	s_waitcnt lgkmcnt(0)
	v_mov_b32_dpp v33, v32 row_shr:2 row_mask:0xf bank_mask:0xf
	v_min_i32_e32 v32, v33, v32
	s_nop 1
	v_mov_b32_dpp v33, v32 row_shr:4 row_mask:0xf bank_mask:0xe
	v_min_i32_e32 v32, v33, v32
	s_nop 1
	;; [unrolled: 3-line block ×3, first 2 shown]
	v_mov_b32_dpp v33, v32 row_bcast:15 row_mask:0xa bank_mask:0xf
	v_min_i32_e32 v32, v33, v32
	ds_bpermute_b32 v32, v47, v32
	s_waitcnt lgkmcnt(0)
	v_cmp_le_i32_e32 vcc, s17, v32
	v_ashrrev_i32_e32 v33, 31, v32
	s_or_b64 s[34:35], vcc, s[34:35]
	s_andn2_b64 exec, exec, s[34:35]
	s_cbranch_execz .LBB122_60
.LBB122_11:                             ; =>This Loop Header: Depth=1
                                        ;     Child Loop BB122_14 Depth 2
	v_lshl_add_u64 v[28:29], v[28:29], 0, v[0:1]
	v_cmp_lt_i64_e32 vcc, v[28:29], v[2:3]
	v_mov_b32_e32 v51, s17
	v_mov_b64_e32 v[38:39], v[2:3]
	ds_write_b8 v44, v7 offset:16384
	ds_write2_b64 v48, v[30:31], v[30:31] offset1:2
	ds_write2_b64 v48, v[30:31], v[30:31] offset0:4 offset1:6
	ds_write2_b64 v48, v[30:31], v[30:31] offset0:8 offset1:10
	;; [unrolled: 1-line block ×3, first 2 shown]
	s_waitcnt lgkmcnt(0)
	s_and_saveexec_b64 s[36:37], vcc
	s_cbranch_execz .LBB122_19
; %bb.12:                               ;   in Loop: Header=BB122_11 Depth=1
	v_lshl_add_u64 v[34:35], v[28:29], 3, s[20:21]
	v_lshl_add_u64 v[36:37], v[28:29], 2, s[24:25]
	s_mov_b64 s[38:39], 0
	v_mov_b32_e32 v51, s17
	v_mov_b64_e32 v[38:39], v[2:3]
	s_branch .LBB122_14
.LBB122_13:                             ;   in Loop: Header=BB122_14 Depth=2
	s_or_b64 exec, exec, s[2:3]
	v_lshl_add_u64 v[28:29], v[28:29], 0, 2
	v_cmp_ge_i64_e64 s[2:3], v[28:29], v[2:3]
	s_xor_b64 s[40:41], vcc, -1
	s_or_b64 s[2:3], s[40:41], s[2:3]
	s_and_b64 s[2:3], exec, s[2:3]
	v_lshl_add_u64 v[34:35], v[34:35], 0, 16
	s_or_b64 s[38:39], s[2:3], s[38:39]
	v_lshl_add_u64 v[36:37], v[36:37], 0, 8
	s_andn2_b64 exec, exec, s[38:39]
	s_cbranch_execz .LBB122_18
.LBB122_14:                             ;   Parent Loop BB122_11 Depth=1
                                        ; =>  This Inner Loop Header: Depth=2
	global_load_dword v40, v[36:37], off
	s_waitcnt vmcnt(0)
	v_subrev_u32_e32 v52, s19, v40
	v_sub_u32_e32 v41, 0, v52
	v_max_i32_e32 v41, v52, v41
	v_mul_hi_u32 v42, v41, v49
	v_mul_lo_u32 v43, v42, s43
	v_sub_u32_e32 v41, v41, v43
	v_add_u32_e32 v53, 1, v42
	v_cmp_le_u32_e32 vcc, s43, v41
	v_subrev_u32_e32 v43, s43, v41
	v_ashrrev_i32_e32 v40, 31, v52
	v_cndmask_b32_e32 v42, v42, v53, vcc
	v_cndmask_b32_e32 v41, v41, v43, vcc
	v_add_u32_e32 v43, 1, v42
	v_cmp_le_u32_e32 vcc, s43, v41
	v_xor_b32_e32 v40, s44, v40
	s_nop 0
	v_cndmask_b32_e32 v41, v42, v43, vcc
	v_xor_b32_e32 v41, v41, v40
	v_sub_u32_e32 v40, v41, v40
	v_ashrrev_i32_e32 v41, 31, v40
	v_cmp_eq_u64_e32 vcc, v[32:33], v[40:41]
	v_cmp_ne_u64_e64 s[2:3], v[32:33], v[40:41]
	v_mov_b64_e32 v[42:43], v[38:39]
	s_and_saveexec_b64 s[40:41], s[2:3]
	s_xor_b64 s[2:3], exec, s[40:41]
; %bb.15:                               ;   in Loop: Header=BB122_14 Depth=2
	v_min_i32_e32 v51, v40, v51
                                        ; implicit-def: $vgpr40
                                        ; implicit-def: $vgpr52
                                        ; implicit-def: $vgpr42_vgpr43
; %bb.16:                               ;   in Loop: Header=BB122_14 Depth=2
	s_or_saveexec_b64 s[2:3], s[2:3]
	v_mov_b64_e32 v[38:39], v[28:29]
	s_xor_b64 exec, exec, s[2:3]
	s_cbranch_execz .LBB122_13
; %bb.17:                               ;   in Loop: Header=BB122_14 Depth=2
	global_load_dwordx2 v[38:39], v[34:35], off
	v_mul_lo_u32 v40, v40, s18
	v_sub_u32_e32 v40, v52, v40
	v_add_lshl_u32 v40, v45, v40, 3
	ds_write_b8 v44, v50 offset:16384
	s_waitcnt vmcnt(0)
	ds_write_b64 v40, v[38:39]
	v_mov_b64_e32 v[38:39], v[42:43]
	s_branch .LBB122_13
.LBB122_18:                             ;   in Loop: Header=BB122_11 Depth=1
	s_or_b64 exec, exec, s[38:39]
.LBB122_19:                             ;   in Loop: Header=BB122_11 Depth=1
	s_or_b64 exec, exec, s[36:37]
	v_mov_b32_dpp v28, v38 row_shr:1 row_mask:0xf bank_mask:0xf
	v_mov_b32_dpp v29, v39 row_shr:1 row_mask:0xf bank_mask:0xf
	s_waitcnt lgkmcnt(0)
	v_cmp_lt_i64_e32 vcc, v[28:29], v[38:39]
	ds_read_u8 v33, v44 offset:16384
	v_mov_b64_e32 v[36:37], 0
	v_cndmask_b32_e32 v29, v39, v29, vcc
	v_cndmask_b32_e32 v28, v38, v28, vcc
	ds_bpermute_b32 v28, v46, v28
	ds_bpermute_b32 v29, v46, v29
	s_waitcnt lgkmcnt(2)
	v_and_b32_e32 v33, 1, v33
	v_cmp_eq_u32_e32 vcc, 1, v33
	s_and_saveexec_b64 s[2:3], vcc
	s_cbranch_execz .LBB122_10
; %bb.20:                               ;   in Loop: Header=BB122_11 Depth=1
	v_add_u32_e32 v34, s33, v32
	v_lshl_add_u64 v[32:33], v[4:5], 2, s[22:23]
	global_store_dword v[32:33], v34, off
	v_mul_lo_u32 v34, s16, v4
	v_mul_lo_u32 v35, s42, v5
	v_mad_u64_u32 v[32:33], s[36:37], s42, v4, 0
	v_add3_u32 v33, v33, v35, v34
	v_lshlrev_b64 v[32:33], 3, v[32:33]
	v_lshl_add_u64 v[34:35], v[8:9], 0, v[32:33]
	v_lshl_add_u64 v[32:33], v[10:11], 0, v[32:33]
	s_and_saveexec_b64 s[36:37], s[28:29]
	s_cbranch_execz .LBB122_24
; %bb.21:                               ;   in Loop: Header=BB122_11 Depth=1
	s_and_b64 vcc, exec, s[26:27]
	s_cbranch_vccz .LBB122_51
; %bb.22:                               ;   in Loop: Header=BB122_11 Depth=1
	ds_read_b64 v[36:37], v48
	v_lshl_add_u64 v[38:39], v[12:13], 3, v[34:35]
	s_waitcnt lgkmcnt(0)
	global_store_dwordx2 v[38:39], v[36:37], off
	s_cbranch_execnz .LBB122_24
.LBB122_23:                             ;   in Loop: Header=BB122_11 Depth=1
	ds_read_b64 v[36:37], v48
	v_lshl_add_u64 v[38:39], v[32:33], 0, v[6:7]
	s_waitcnt lgkmcnt(0)
	global_store_dwordx2 v[38:39], v[36:37], off
.LBB122_24:                             ;   in Loop: Header=BB122_11 Depth=1
	s_or_b64 exec, exec, s[36:37]
	s_and_saveexec_b64 s[36:37], s[30:31]
	s_cbranch_execz .LBB122_28
; %bb.25:                               ;   in Loop: Header=BB122_11 Depth=1
	s_and_b64 vcc, exec, s[0:1]
	s_cbranch_vccnz .LBB122_52
; %bb.26:                               ;   in Loop: Header=BB122_11 Depth=1
	ds_read_b64 v[36:37], v48 offset:16
	v_lshl_add_u64 v[38:39], v[14:15], 3, v[34:35]
	s_waitcnt lgkmcnt(0)
	global_store_dwordx2 v[38:39], v[36:37], off
	s_cbranch_execnz .LBB122_28
.LBB122_27:                             ;   in Loop: Header=BB122_11 Depth=1
	ds_read_b64 v[36:37], v48 offset:16
	v_lshl_add_u64 v[38:39], v[32:33], 0, v[6:7]
	s_waitcnt lgkmcnt(0)
	global_store_dwordx2 v[38:39], v[36:37], off offset:16
.LBB122_28:                             ;   in Loop: Header=BB122_11 Depth=1
	s_or_b64 exec, exec, s[36:37]
	s_and_saveexec_b64 s[36:37], s[4:5]
	s_cbranch_execz .LBB122_32
; %bb.29:                               ;   in Loop: Header=BB122_11 Depth=1
	s_and_b64 vcc, exec, s[0:1]
	s_cbranch_vccnz .LBB122_53
; %bb.30:                               ;   in Loop: Header=BB122_11 Depth=1
	ds_read_b64 v[36:37], v48 offset:32
	v_lshl_add_u64 v[38:39], v[16:17], 3, v[34:35]
	s_waitcnt lgkmcnt(0)
	global_store_dwordx2 v[38:39], v[36:37], off
	s_cbranch_execnz .LBB122_32
.LBB122_31:                             ;   in Loop: Header=BB122_11 Depth=1
	ds_read_b64 v[36:37], v48 offset:32
	v_lshl_add_u64 v[38:39], v[32:33], 0, v[6:7]
	s_waitcnt lgkmcnt(0)
	global_store_dwordx2 v[38:39], v[36:37], off offset:32
.LBB122_32:                             ;   in Loop: Header=BB122_11 Depth=1
	s_or_b64 exec, exec, s[36:37]
	s_and_saveexec_b64 s[36:37], s[6:7]
	s_cbranch_execz .LBB122_36
; %bb.33:                               ;   in Loop: Header=BB122_11 Depth=1
	s_and_b64 vcc, exec, s[0:1]
	s_cbranch_vccnz .LBB122_54
; %bb.34:                               ;   in Loop: Header=BB122_11 Depth=1
	ds_read_b64 v[36:37], v48 offset:48
	v_lshl_add_u64 v[38:39], v[18:19], 3, v[34:35]
	s_waitcnt lgkmcnt(0)
	global_store_dwordx2 v[38:39], v[36:37], off
	s_cbranch_execnz .LBB122_36
.LBB122_35:                             ;   in Loop: Header=BB122_11 Depth=1
	ds_read_b64 v[36:37], v48 offset:48
	v_lshl_add_u64 v[38:39], v[32:33], 0, v[6:7]
	s_waitcnt lgkmcnt(0)
	global_store_dwordx2 v[38:39], v[36:37], off offset:48
.LBB122_36:                             ;   in Loop: Header=BB122_11 Depth=1
	s_or_b64 exec, exec, s[36:37]
	s_and_saveexec_b64 s[36:37], s[8:9]
	s_cbranch_execz .LBB122_40
; %bb.37:                               ;   in Loop: Header=BB122_11 Depth=1
	s_and_b64 vcc, exec, s[0:1]
	s_cbranch_vccnz .LBB122_55
; %bb.38:                               ;   in Loop: Header=BB122_11 Depth=1
	ds_read_b64 v[36:37], v48 offset:64
	v_lshl_add_u64 v[38:39], v[20:21], 3, v[34:35]
	s_waitcnt lgkmcnt(0)
	global_store_dwordx2 v[38:39], v[36:37], off
	s_cbranch_execnz .LBB122_40
.LBB122_39:                             ;   in Loop: Header=BB122_11 Depth=1
	ds_read_b64 v[36:37], v48 offset:64
	v_lshl_add_u64 v[38:39], v[32:33], 0, v[6:7]
	s_waitcnt lgkmcnt(0)
	global_store_dwordx2 v[38:39], v[36:37], off offset:64
.LBB122_40:                             ;   in Loop: Header=BB122_11 Depth=1
	s_or_b64 exec, exec, s[36:37]
	s_and_saveexec_b64 s[36:37], s[10:11]
	s_cbranch_execz .LBB122_44
; %bb.41:                               ;   in Loop: Header=BB122_11 Depth=1
	s_and_b64 vcc, exec, s[0:1]
	s_cbranch_vccnz .LBB122_56
; %bb.42:                               ;   in Loop: Header=BB122_11 Depth=1
	ds_read_b64 v[36:37], v48 offset:80
	v_lshl_add_u64 v[38:39], v[22:23], 3, v[34:35]
	s_waitcnt lgkmcnt(0)
	global_store_dwordx2 v[38:39], v[36:37], off
	s_cbranch_execnz .LBB122_44
.LBB122_43:                             ;   in Loop: Header=BB122_11 Depth=1
	ds_read_b64 v[36:37], v48 offset:80
	v_lshl_add_u64 v[38:39], v[32:33], 0, v[6:7]
	s_waitcnt lgkmcnt(0)
	global_store_dwordx2 v[38:39], v[36:37], off offset:80
.LBB122_44:                             ;   in Loop: Header=BB122_11 Depth=1
	s_or_b64 exec, exec, s[36:37]
	s_and_saveexec_b64 s[36:37], s[12:13]
	s_cbranch_execz .LBB122_48
; %bb.45:                               ;   in Loop: Header=BB122_11 Depth=1
	s_and_b64 vcc, exec, s[0:1]
	s_cbranch_vccnz .LBB122_57
; %bb.46:                               ;   in Loop: Header=BB122_11 Depth=1
	ds_read_b64 v[36:37], v48 offset:96
	v_lshl_add_u64 v[38:39], v[24:25], 3, v[34:35]
	s_waitcnt lgkmcnt(0)
	global_store_dwordx2 v[38:39], v[36:37], off
	s_cbranch_execnz .LBB122_48
.LBB122_47:                             ;   in Loop: Header=BB122_11 Depth=1
	ds_read_b64 v[36:37], v48 offset:96
	v_lshl_add_u64 v[38:39], v[32:33], 0, v[6:7]
	s_waitcnt lgkmcnt(0)
	global_store_dwordx2 v[38:39], v[36:37], off offset:96
.LBB122_48:                             ;   in Loop: Header=BB122_11 Depth=1
	s_or_b64 exec, exec, s[36:37]
	v_mov_b64_e32 v[36:37], 1
	s_and_saveexec_b64 s[36:37], s[14:15]
	s_cbranch_execz .LBB122_9
; %bb.49:                               ;   in Loop: Header=BB122_11 Depth=1
	s_and_b64 vcc, exec, s[0:1]
	s_cbranch_vccnz .LBB122_58
; %bb.50:                               ;   in Loop: Header=BB122_11 Depth=1
	ds_read_b64 v[36:37], v48 offset:112
	v_lshl_add_u64 v[34:35], v[26:27], 3, v[34:35]
	s_mov_b64 s[38:39], 1
	s_waitcnt lgkmcnt(0)
	global_store_dwordx2 v[34:35], v[36:37], off
	s_cbranch_execnz .LBB122_8
	s_branch .LBB122_59
.LBB122_51:                             ;   in Loop: Header=BB122_11 Depth=1
	s_branch .LBB122_23
.LBB122_52:                             ;   in Loop: Header=BB122_11 Depth=1
	s_branch .LBB122_27
.LBB122_53:                             ;   in Loop: Header=BB122_11 Depth=1
	s_branch .LBB122_31
.LBB122_54:                             ;   in Loop: Header=BB122_11 Depth=1
	s_branch .LBB122_35
.LBB122_55:                             ;   in Loop: Header=BB122_11 Depth=1
	s_branch .LBB122_39
.LBB122_56:                             ;   in Loop: Header=BB122_11 Depth=1
	s_branch .LBB122_43
.LBB122_57:                             ;   in Loop: Header=BB122_11 Depth=1
	s_branch .LBB122_47
.LBB122_58:                             ;   in Loop: Header=BB122_11 Depth=1
                                        ; implicit-def: $sgpr38_sgpr39
.LBB122_59:                             ;   in Loop: Header=BB122_11 Depth=1
	ds_read_b64 v[34:35], v48 offset:112
	v_lshl_add_u64 v[32:33], v[32:33], 0, v[6:7]
	s_mov_b64 s[38:39], 1
	s_waitcnt lgkmcnt(0)
	global_store_dwordx2 v[32:33], v[34:35], off offset:112
	s_branch .LBB122_8
.LBB122_60:
	s_endpgm
	.section	.rodata,"a",@progbits
	.p2align	6, 0x0
	.amdhsa_kernel _ZN9rocsparseL42csr2bsr_wavefront_per_row_multipass_kernelILj256ELj32ELj16EdliEEv20rocsparse_direction_T4_S2_S2_S2_S2_21rocsparse_index_base_PKT2_PKT3_PKS2_S3_PS4_PS7_PS2_
		.amdhsa_group_segment_fixed_size 16392
		.amdhsa_private_segment_fixed_size 0
		.amdhsa_kernarg_size 88
		.amdhsa_user_sgpr_count 2
		.amdhsa_user_sgpr_dispatch_ptr 0
		.amdhsa_user_sgpr_queue_ptr 0
		.amdhsa_user_sgpr_kernarg_segment_ptr 1
		.amdhsa_user_sgpr_dispatch_id 0
		.amdhsa_user_sgpr_kernarg_preload_length 0
		.amdhsa_user_sgpr_kernarg_preload_offset 0
		.amdhsa_user_sgpr_private_segment_size 0
		.amdhsa_uses_dynamic_stack 0
		.amdhsa_enable_private_segment 0
		.amdhsa_system_sgpr_workgroup_id_x 1
		.amdhsa_system_sgpr_workgroup_id_y 0
		.amdhsa_system_sgpr_workgroup_id_z 0
		.amdhsa_system_sgpr_workgroup_info 0
		.amdhsa_system_vgpr_workitem_id 0
		.amdhsa_next_free_vgpr 54
		.amdhsa_next_free_sgpr 45
		.amdhsa_accum_offset 56
		.amdhsa_reserve_vcc 1
		.amdhsa_float_round_mode_32 0
		.amdhsa_float_round_mode_16_64 0
		.amdhsa_float_denorm_mode_32 3
		.amdhsa_float_denorm_mode_16_64 3
		.amdhsa_dx10_clamp 1
		.amdhsa_ieee_mode 1
		.amdhsa_fp16_overflow 0
		.amdhsa_tg_split 0
		.amdhsa_exception_fp_ieee_invalid_op 0
		.amdhsa_exception_fp_denorm_src 0
		.amdhsa_exception_fp_ieee_div_zero 0
		.amdhsa_exception_fp_ieee_overflow 0
		.amdhsa_exception_fp_ieee_underflow 0
		.amdhsa_exception_fp_ieee_inexact 0
		.amdhsa_exception_int_div_zero 0
	.end_amdhsa_kernel
	.section	.text._ZN9rocsparseL42csr2bsr_wavefront_per_row_multipass_kernelILj256ELj32ELj16EdliEEv20rocsparse_direction_T4_S2_S2_S2_S2_21rocsparse_index_base_PKT2_PKT3_PKS2_S3_PS4_PS7_PS2_,"axG",@progbits,_ZN9rocsparseL42csr2bsr_wavefront_per_row_multipass_kernelILj256ELj32ELj16EdliEEv20rocsparse_direction_T4_S2_S2_S2_S2_21rocsparse_index_base_PKT2_PKT3_PKS2_S3_PS4_PS7_PS2_,comdat
.Lfunc_end122:
	.size	_ZN9rocsparseL42csr2bsr_wavefront_per_row_multipass_kernelILj256ELj32ELj16EdliEEv20rocsparse_direction_T4_S2_S2_S2_S2_21rocsparse_index_base_PKT2_PKT3_PKS2_S3_PS4_PS7_PS2_, .Lfunc_end122-_ZN9rocsparseL42csr2bsr_wavefront_per_row_multipass_kernelILj256ELj32ELj16EdliEEv20rocsparse_direction_T4_S2_S2_S2_S2_21rocsparse_index_base_PKT2_PKT3_PKS2_S3_PS4_PS7_PS2_
                                        ; -- End function
	.section	.AMDGPU.csdata,"",@progbits
; Kernel info:
; codeLenInByte = 2072
; NumSgprs: 51
; NumVgprs: 54
; NumAgprs: 0
; TotalNumVgprs: 54
; ScratchSize: 0
; MemoryBound: 0
; FloatMode: 240
; IeeeMode: 1
; LDSByteSize: 16392 bytes/workgroup (compile time only)
; SGPRBlocks: 6
; VGPRBlocks: 6
; NumSGPRsForWavesPerEU: 51
; NumVGPRsForWavesPerEU: 54
; AccumOffset: 56
; Occupancy: 3
; WaveLimiterHint : 0
; COMPUTE_PGM_RSRC2:SCRATCH_EN: 0
; COMPUTE_PGM_RSRC2:USER_SGPR: 2
; COMPUTE_PGM_RSRC2:TRAP_HANDLER: 0
; COMPUTE_PGM_RSRC2:TGID_X_EN: 1
; COMPUTE_PGM_RSRC2:TGID_Y_EN: 0
; COMPUTE_PGM_RSRC2:TGID_Z_EN: 0
; COMPUTE_PGM_RSRC2:TIDIG_COMP_CNT: 0
; COMPUTE_PGM_RSRC3_GFX90A:ACCUM_OFFSET: 13
; COMPUTE_PGM_RSRC3_GFX90A:TG_SPLIT: 0
	.section	.text._ZN9rocsparseL38csr2bsr_block_per_row_multipass_kernelILj256ELj32EdliEEv20rocsparse_direction_T3_S2_S2_S2_S2_21rocsparse_index_base_PKT1_PKT2_PKS2_S3_PS4_PS7_PS2_,"axG",@progbits,_ZN9rocsparseL38csr2bsr_block_per_row_multipass_kernelILj256ELj32EdliEEv20rocsparse_direction_T3_S2_S2_S2_S2_21rocsparse_index_base_PKT1_PKT2_PKS2_S3_PS4_PS7_PS2_,comdat
	.globl	_ZN9rocsparseL38csr2bsr_block_per_row_multipass_kernelILj256ELj32EdliEEv20rocsparse_direction_T3_S2_S2_S2_S2_21rocsparse_index_base_PKT1_PKT2_PKS2_S3_PS4_PS7_PS2_ ; -- Begin function _ZN9rocsparseL38csr2bsr_block_per_row_multipass_kernelILj256ELj32EdliEEv20rocsparse_direction_T3_S2_S2_S2_S2_21rocsparse_index_base_PKT1_PKT2_PKS2_S3_PS4_PS7_PS2_
	.p2align	8
	.type	_ZN9rocsparseL38csr2bsr_block_per_row_multipass_kernelILj256ELj32EdliEEv20rocsparse_direction_T3_S2_S2_S2_S2_21rocsparse_index_base_PKT1_PKT2_PKS2_S3_PS4_PS7_PS2_,@function
_ZN9rocsparseL38csr2bsr_block_per_row_multipass_kernelILj256ELj32EdliEEv20rocsparse_direction_T3_S2_S2_S2_S2_21rocsparse_index_base_PKT1_PKT2_PKS2_S3_PS4_PS7_PS2_: ; @_ZN9rocsparseL38csr2bsr_block_per_row_multipass_kernelILj256ELj32EdliEEv20rocsparse_direction_T3_S2_S2_S2_S2_21rocsparse_index_base_PKT1_PKT2_PKS2_S3_PS4_PS7_PS2_
; %bb.0:
	s_load_dwordx4 s[20:23], s[0:1], 0x10
	s_load_dwordx2 s[6:7], s[0:1], 0x0
	s_load_dwordx2 s[8:9], s[0:1], 0x28
	v_lshrrev_b32_e32 v1, 3, v0
	v_mov_b64_e32 v[2:3], 0
	s_waitcnt lgkmcnt(0)
	s_mul_i32 s3, s2, s21
	v_add_u32_e32 v4, s3, v1
	v_cmp_gt_i32_e64 s[4:5], s7, v4
	v_cmp_gt_i32_e32 vcc, s21, v1
	s_and_b64 s[10:11], vcc, s[4:5]
	v_mov_b64_e32 v[18:19], v[2:3]
	s_and_saveexec_b64 s[12:13], s[10:11]
	s_cbranch_execnz .LBB123_3
; %bb.1:
	s_or_b64 exec, exec, s[12:13]
	s_and_saveexec_b64 s[12:13], s[10:11]
	s_cbranch_execnz .LBB123_4
.LBB123_2:
	s_or_b64 exec, exec, s[12:13]
	s_cmp_lt_i32 s20, 1
	s_cbranch_scc0 .LBB123_5
	s_branch .LBB123_41
.LBB123_3:
	v_ashrrev_i32_e32 v5, 31, v4
	v_lshl_add_u64 v[6:7], v[4:5], 3, s[8:9]
	global_load_dwordx2 v[6:7], v[6:7], off
	s_waitcnt vmcnt(0)
	v_subrev_co_u32_e64 v18, s[4:5], s22, v6
	s_nop 1
	v_subbrev_co_u32_e64 v19, s[4:5], 0, v7, s[4:5]
	s_or_b64 exec, exec, s[12:13]
	s_and_saveexec_b64 s[12:13], s[10:11]
	s_cbranch_execz .LBB123_2
.LBB123_4:
	v_ashrrev_i32_e32 v5, 31, v4
	v_lshl_add_u64 v[2:3], v[4:5], 3, s[8:9]
	global_load_dwordx2 v[2:3], v[2:3], off offset:8
	s_waitcnt vmcnt(0)
	v_subrev_co_u32_e64 v2, s[4:5], s22, v2
	s_nop 1
	v_subbrev_co_u32_e64 v3, s[4:5], 0, v3, s[4:5]
	s_or_b64 exec, exec, s[12:13]
	s_cmp_lt_i32 s20, 1
	s_cbranch_scc1 .LBB123_41
.LBB123_5:
	s_load_dwordx4 s[8:11], s[0:1], 0x40
	s_load_dwordx2 s[24:25], s[0:1], 0x50
	s_load_dword s23, s[0:1], 0x38
	s_ashr_i32 s3, s2, 31
	s_lshl_b64 s[2:3], s[2:3], 3
	s_waitcnt lgkmcnt(0)
	s_add_u32 s2, s10, s2
	s_addc_u32 s3, s11, s3
	s_load_dwordx2 s[4:5], s[2:3], 0x0
	s_load_dwordx2 s[26:27], s[0:1], 0x20
	;; [unrolled: 1-line block ×3, first 2 shown]
	v_mov_b32_e32 v5, 0
	v_and_b32_e32 v4, 7, v0
	s_waitcnt lgkmcnt(0)
	s_sub_u32 s30, s4, s23
	s_subb_u32 s31, s5, 0
	s_cmp_eq_u32 s6, 0
	s_cselect_b64 s[0:1], -1, 0
	s_abs_i32 s51, s21
	v_cvt_f32_u32_e32 v14, s51
	v_mul_lo_u32 v8, v1, s21
	v_mov_b32_e32 v9, v5
	v_lshl_add_u64 v[8:9], v[8:9], 3, s[8:9]
	v_lshlrev_b32_e32 v10, 3, v4
	v_mov_b32_e32 v11, v5
	v_rcp_iflag_f32_e32 v16, v14
	v_lshl_add_u64 v[8:9], v[8:9], 0, v[10:11]
	v_cmp_gt_u32_e64 s[18:19], s21, v4
	v_or_b32_e32 v10, 8, v4
	s_and_b64 s[34:35], vcc, s[18:19]
	v_cmp_gt_u32_e64 s[18:19], s21, v10
	v_or_b32_e32 v12, 16, v4
	v_mbcnt_lo_u32_b32 v6, -1, 0
	s_and_b64 s[36:37], vcc, s[18:19]
	v_cmp_gt_u32_e64 s[18:19], s21, v12
	v_or_b32_e32 v15, 24, v4
	v_mbcnt_hi_u32_b32 v6, -1, v6
	s_and_b64 s[38:39], vcc, s[18:19]
	v_cmp_gt_u32_e64 s[18:19], s21, v15
	v_mul_f32_e32 v15, 0x4f7ffffe, v16
	v_lshlrev_b32_e32 v32, 5, v1
	v_lshl_or_b32 v33, v6, 2, 28
	v_lshlrev_b32_e32 v6, 3, v1
	v_mov_b32_e32 v7, v5
	s_movk_i32 s2, 0x80
	v_cvt_u32_f32_e32 v16, v15
	v_lshl_add_u64 v[6:7], s[8:9], 0, v[6:7]
	v_lshlrev_b32_e32 v34, 2, v0
	v_cmp_gt_u32_e64 s[2:3], s2, v0
	v_cmp_gt_u32_e64 s[4:5], 64, v0
	;; [unrolled: 1-line block ×7, first 2 shown]
	v_cmp_eq_u32_e64 s[16:17], 0, v0
	v_or_b32_e32 v0, v32, v4
	v_lshlrev_b32_e32 v35, 3, v0
	v_mul_lo_u32 v0, v4, s21
	s_lshl_b32 s43, s21, 3
	v_add_u32_e32 v10, s43, v0
	s_and_b64 s[40:41], vcc, s[18:19]
	s_sub_i32 s18, 0, s51
	s_mov_b32 s42, 0
	v_add_u32_e32 v12, s43, v10
	v_mul_lo_u32 v17, s18, v16
	v_add_u32_e32 v14, s43, v12
	v_mul_hi_u32 v17, v16, v17
	s_mov_b32 s43, s42
	s_mul_hi_u32 s33, s21, s21
	s_mul_i32 s50, s21, s21
	v_mov_b32_e32 v1, v5
	v_mov_b32_e32 v13, v5
	;; [unrolled: 1-line block ×3, first 2 shown]
	s_ashr_i32 s52, s21, 31
	v_add_u32_e32 v36, v16, v17
	v_mov_b64_e32 v[20:21], 0
	v_mov_b64_e32 v[16:17], s[42:43]
	s_mov_b64 s[42:43], 0x80
	s_mov_b64 s[44:45], 0xc0
	v_mov_b32_e32 v37, 1
	s_branch .LBB123_7
.LBB123_6:                              ;   in Loop: Header=BB123_7 Depth=1
	s_or_b64 exec, exec, s[46:47]
	s_waitcnt lgkmcnt(0)
	s_barrier
	ds_read_b32 v20, v5
	s_add_u32 s30, s18, s30
	s_addc_u32 s31, s19, s31
	s_waitcnt lgkmcnt(0)
	s_barrier
	v_cmp_gt_i32_e32 vcc, s20, v20
	v_ashrrev_i32_e32 v21, 31, v20
	s_cbranch_vccz .LBB123_41
.LBB123_7:                              ; =>This Loop Header: Depth=1
                                        ;     Child Loop BB123_10 Depth 2
	v_lshl_add_u64 v[18:19], v[18:19], 0, v[4:5]
	v_cmp_lt_i64_e32 vcc, v[18:19], v[2:3]
	v_mov_b32_e32 v38, s20
	v_mov_b64_e32 v[26:27], v[2:3]
	ds_write_b8 v5, v5 offset:8192
	ds_write2_b64 v35, v[16:17], v[16:17] offset1:8
	ds_write2_b64 v35, v[16:17], v[16:17] offset0:16 offset1:24
	s_waitcnt lgkmcnt(0)
	s_barrier
	s_and_saveexec_b64 s[46:47], vcc
	s_cbranch_execz .LBB123_15
; %bb.8:                                ;   in Loop: Header=BB123_7 Depth=1
	v_lshl_add_u64 v[22:23], v[18:19], 3, s[26:27]
	v_lshl_add_u64 v[24:25], v[18:19], 2, s[28:29]
	s_mov_b64 s[48:49], 0
	v_mov_b32_e32 v38, s20
	v_mov_b64_e32 v[26:27], v[2:3]
	s_branch .LBB123_10
.LBB123_9:                              ;   in Loop: Header=BB123_10 Depth=2
	s_or_b64 exec, exec, s[18:19]
	v_lshl_add_u64 v[18:19], v[18:19], 0, 8
	v_cmp_ge_i64_e64 s[18:19], v[18:19], v[2:3]
	s_xor_b64 s[54:55], vcc, -1
	s_or_b64 s[18:19], s[54:55], s[18:19]
	s_and_b64 s[18:19], exec, s[18:19]
	v_lshl_add_u64 v[22:23], v[22:23], 0, 64
	s_or_b64 s[48:49], s[18:19], s[48:49]
	v_lshl_add_u64 v[24:25], v[24:25], 0, 32
	s_andn2_b64 exec, exec, s[48:49]
	s_cbranch_execz .LBB123_14
.LBB123_10:                             ;   Parent Loop BB123_7 Depth=1
                                        ; =>  This Inner Loop Header: Depth=2
	global_load_dword v28, v[24:25], off
	s_waitcnt vmcnt(0)
	v_subrev_u32_e32 v39, s22, v28
	v_sub_u32_e32 v29, 0, v39
	v_max_i32_e32 v29, v39, v29
	v_mul_hi_u32 v30, v29, v36
	v_mul_lo_u32 v31, v30, s51
	v_sub_u32_e32 v29, v29, v31
	v_add_u32_e32 v40, 1, v30
	v_cmp_le_u32_e32 vcc, s51, v29
	v_subrev_u32_e32 v31, s51, v29
	v_ashrrev_i32_e32 v28, 31, v39
	v_cndmask_b32_e32 v30, v30, v40, vcc
	v_cndmask_b32_e32 v29, v29, v31, vcc
	v_add_u32_e32 v31, 1, v30
	v_cmp_le_u32_e32 vcc, s51, v29
	v_xor_b32_e32 v28, s52, v28
	s_nop 0
	v_cndmask_b32_e32 v29, v30, v31, vcc
	v_xor_b32_e32 v29, v29, v28
	v_sub_u32_e32 v28, v29, v28
	v_ashrrev_i32_e32 v29, 31, v28
	v_cmp_eq_u64_e32 vcc, v[20:21], v[28:29]
	v_cmp_ne_u64_e64 s[18:19], v[20:21], v[28:29]
	v_mov_b64_e32 v[30:31], v[26:27]
	s_and_saveexec_b64 s[54:55], s[18:19]
	s_xor_b64 s[18:19], exec, s[54:55]
; %bb.11:                               ;   in Loop: Header=BB123_10 Depth=2
	v_min_i32_e32 v38, v28, v38
                                        ; implicit-def: $vgpr28
                                        ; implicit-def: $vgpr39
                                        ; implicit-def: $vgpr30_vgpr31
; %bb.12:                               ;   in Loop: Header=BB123_10 Depth=2
	s_or_saveexec_b64 s[18:19], s[18:19]
	v_mov_b64_e32 v[26:27], v[18:19]
	s_xor_b64 exec, exec, s[18:19]
	s_cbranch_execz .LBB123_9
; %bb.13:                               ;   in Loop: Header=BB123_10 Depth=2
	global_load_dwordx2 v[26:27], v[22:23], off
	v_mul_lo_u32 v28, v28, s21
	v_sub_u32_e32 v28, v39, v28
	v_add_lshl_u32 v28, v28, v32, 3
	ds_write_b8 v5, v37 offset:8192
	s_waitcnt vmcnt(0)
	ds_write_b64 v28, v[26:27]
	v_mov_b64_e32 v[26:27], v[30:31]
	s_branch .LBB123_9
.LBB123_14:                             ;   in Loop: Header=BB123_7 Depth=1
	s_or_b64 exec, exec, s[48:49]
.LBB123_15:                             ;   in Loop: Header=BB123_7 Depth=1
	s_or_b64 exec, exec, s[46:47]
	v_mov_b32_dpp v18, v26 row_shr:1 row_mask:0xf bank_mask:0xf
	v_mov_b32_dpp v19, v27 row_shr:1 row_mask:0xf bank_mask:0xf
	v_cmp_lt_i64_e32 vcc, v[18:19], v[26:27]
	s_waitcnt lgkmcnt(0)
	s_barrier
	v_cndmask_b32_e32 v19, v27, v19, vcc
	v_cndmask_b32_e32 v18, v26, v18, vcc
	s_nop 0
	v_mov_b32_dpp v23, v19 row_shr:2 row_mask:0xf bank_mask:0xf
	v_mov_b32_dpp v22, v18 row_shr:2 row_mask:0xf bank_mask:0xf
	v_cmp_lt_i64_e32 vcc, v[22:23], v[18:19]
	ds_read_u8 v21, v5 offset:8192
	s_mov_b64 s[18:19], 0
	v_cndmask_b32_e32 v19, v19, v23, vcc
	v_cndmask_b32_e32 v18, v18, v22, vcc
	s_nop 0
	v_mov_b32_dpp v23, v19 row_shr:4 row_mask:0xf bank_mask:0xe
	v_mov_b32_dpp v22, v18 row_shr:4 row_mask:0xf bank_mask:0xe
	v_cmp_lt_i64_e32 vcc, v[22:23], v[18:19]
	s_nop 1
	v_cndmask_b32_e32 v19, v19, v23, vcc
	v_cndmask_b32_e32 v18, v18, v22, vcc
	ds_bpermute_b32 v18, v33, v18
	ds_bpermute_b32 v19, v33, v19
	s_waitcnt lgkmcnt(2)
	v_cmp_eq_u32_e32 vcc, 0, v21
	s_cbranch_vccnz .LBB123_22
; %bb.16:                               ;   in Loop: Header=BB123_7 Depth=1
	s_lshl_b64 s[18:19], s[30:31], 2
	s_add_u32 s18, s24, s18
	v_add_u32_e32 v20, s23, v20
	s_addc_u32 s19, s25, s19
	global_store_dword v5, v20, s[18:19]
	s_mul_i32 s18, s50, s31
	s_mul_hi_u32 s19, s50, s30
	s_add_i32 s18, s19, s18
	s_mul_i32 s19, s33, s30
	s_add_i32 s19, s18, s19
	s_mul_i32 s18, s50, s30
	s_lshl_b64 s[18:19], s[18:19], 3
	v_lshl_add_u64 v[20:21], v[6:7], 0, s[18:19]
	v_lshl_add_u64 v[22:23], v[8:9], 0, s[18:19]
	s_and_saveexec_b64 s[18:19], s[34:35]
	s_cbranch_execnz .LBB123_38
; %bb.17:                               ;   in Loop: Header=BB123_7 Depth=1
	s_or_b64 exec, exec, s[18:19]
	s_and_saveexec_b64 s[18:19], s[36:37]
	s_cbranch_execnz .LBB123_39
.LBB123_18:                             ;   in Loop: Header=BB123_7 Depth=1
	s_or_b64 exec, exec, s[18:19]
	s_and_saveexec_b64 s[18:19], s[38:39]
	s_cbranch_execnz .LBB123_40
.LBB123_19:                             ;   in Loop: Header=BB123_7 Depth=1
	s_or_b64 exec, exec, s[18:19]
	s_and_saveexec_b64 s[18:19], s[40:41]
	s_cbranch_execz .LBB123_21
.LBB123_20:                             ;   in Loop: Header=BB123_7 Depth=1
	ds_read_b64 v[24:25], v35 offset:192
	v_lshl_add_u64 v[22:23], v[22:23], 0, s[44:45]
	v_lshl_add_u64 v[20:21], v[14:15], 3, v[20:21]
	v_cndmask_b32_e64 v21, v21, v23, s[0:1]
	v_cndmask_b32_e64 v20, v20, v22, s[0:1]
	s_waitcnt lgkmcnt(0)
	global_store_dwordx2 v[20:21], v[24:25], off
.LBB123_21:                             ;   in Loop: Header=BB123_7 Depth=1
	s_or_b64 exec, exec, s[18:19]
	s_mov_b64 s[18:19], 1
.LBB123_22:                             ;   in Loop: Header=BB123_7 Depth=1
	s_waitcnt lgkmcnt(0)
	s_barrier
	ds_write_b32 v34, v38
	s_waitcnt lgkmcnt(0)
	s_barrier
	s_and_saveexec_b64 s[46:47], s[2:3]
	s_cbranch_execz .LBB123_24
; %bb.23:                               ;   in Loop: Header=BB123_7 Depth=1
	ds_read2st64_b32 v[20:21], v34 offset1:2
	s_waitcnt lgkmcnt(0)
	v_min_i32_e32 v20, v21, v20
	ds_write_b32 v34, v20
.LBB123_24:                             ;   in Loop: Header=BB123_7 Depth=1
	s_or_b64 exec, exec, s[46:47]
	s_waitcnt lgkmcnt(0)
	s_barrier
	s_and_saveexec_b64 s[46:47], s[4:5]
	s_cbranch_execz .LBB123_26
; %bb.25:                               ;   in Loop: Header=BB123_7 Depth=1
	ds_read2st64_b32 v[20:21], v34 offset1:1
	s_waitcnt lgkmcnt(0)
	v_min_i32_e32 v20, v21, v20
	ds_write_b32 v34, v20
.LBB123_26:                             ;   in Loop: Header=BB123_7 Depth=1
	s_or_b64 exec, exec, s[46:47]
	s_waitcnt lgkmcnt(0)
	s_barrier
	s_and_saveexec_b64 s[46:47], s[6:7]
	s_cbranch_execz .LBB123_28
; %bb.27:                               ;   in Loop: Header=BB123_7 Depth=1
	ds_read2_b32 v[20:21], v34 offset1:32
	s_waitcnt lgkmcnt(0)
	v_min_i32_e32 v20, v21, v20
	ds_write_b32 v34, v20
.LBB123_28:                             ;   in Loop: Header=BB123_7 Depth=1
	s_or_b64 exec, exec, s[46:47]
	s_waitcnt lgkmcnt(0)
	s_barrier
	s_and_saveexec_b64 s[46:47], s[8:9]
	s_cbranch_execz .LBB123_30
; %bb.29:                               ;   in Loop: Header=BB123_7 Depth=1
	ds_read2_b32 v[20:21], v34 offset1:16
	s_waitcnt lgkmcnt(0)
	v_min_i32_e32 v20, v21, v20
	ds_write_b32 v34, v20
.LBB123_30:                             ;   in Loop: Header=BB123_7 Depth=1
	;; [unrolled: 11-line block ×5, first 2 shown]
	s_or_b64 exec, exec, s[46:47]
	s_waitcnt lgkmcnt(0)
	s_barrier
	s_and_saveexec_b64 s[46:47], s[16:17]
	s_cbranch_execz .LBB123_6
; %bb.37:                               ;   in Loop: Header=BB123_7 Depth=1
	ds_read_b64 v[20:21], v5
	s_waitcnt lgkmcnt(0)
	v_min_i32_e32 v20, v21, v20
	ds_write_b32 v5, v20
	s_branch .LBB123_6
.LBB123_38:                             ;   in Loop: Header=BB123_7 Depth=1
	ds_read_b64 v[24:25], v35
	v_lshl_add_u64 v[26:27], v[0:1], 3, v[20:21]
	v_cndmask_b32_e64 v27, v27, v23, s[0:1]
	v_cndmask_b32_e64 v26, v26, v22, s[0:1]
	s_waitcnt lgkmcnt(0)
	global_store_dwordx2 v[26:27], v[24:25], off
	s_or_b64 exec, exec, s[18:19]
	s_and_saveexec_b64 s[18:19], s[36:37]
	s_cbranch_execz .LBB123_18
.LBB123_39:                             ;   in Loop: Header=BB123_7 Depth=1
	ds_read_b64 v[24:25], v35 offset:64
	v_lshl_add_u64 v[26:27], v[22:23], 0, 64
	v_lshl_add_u64 v[28:29], v[10:11], 3, v[20:21]
	v_cndmask_b32_e64 v27, v29, v27, s[0:1]
	v_cndmask_b32_e64 v26, v28, v26, s[0:1]
	s_waitcnt lgkmcnt(0)
	global_store_dwordx2 v[26:27], v[24:25], off
	s_or_b64 exec, exec, s[18:19]
	s_and_saveexec_b64 s[18:19], s[38:39]
	s_cbranch_execz .LBB123_19
.LBB123_40:                             ;   in Loop: Header=BB123_7 Depth=1
	ds_read_b64 v[24:25], v35 offset:128
	v_lshl_add_u64 v[26:27], v[22:23], 0, s[42:43]
	v_lshl_add_u64 v[28:29], v[12:13], 3, v[20:21]
	v_cndmask_b32_e64 v27, v29, v27, s[0:1]
	v_cndmask_b32_e64 v26, v28, v26, s[0:1]
	s_waitcnt lgkmcnt(0)
	global_store_dwordx2 v[26:27], v[24:25], off
	s_or_b64 exec, exec, s[18:19]
	s_and_saveexec_b64 s[18:19], s[40:41]
	s_cbranch_execnz .LBB123_20
	s_branch .LBB123_21
.LBB123_41:
	s_endpgm
	.section	.rodata,"a",@progbits
	.p2align	6, 0x0
	.amdhsa_kernel _ZN9rocsparseL38csr2bsr_block_per_row_multipass_kernelILj256ELj32EdliEEv20rocsparse_direction_T3_S2_S2_S2_S2_21rocsparse_index_base_PKT1_PKT2_PKS2_S3_PS4_PS7_PS2_
		.amdhsa_group_segment_fixed_size 8200
		.amdhsa_private_segment_fixed_size 0
		.amdhsa_kernarg_size 88
		.amdhsa_user_sgpr_count 2
		.amdhsa_user_sgpr_dispatch_ptr 0
		.amdhsa_user_sgpr_queue_ptr 0
		.amdhsa_user_sgpr_kernarg_segment_ptr 1
		.amdhsa_user_sgpr_dispatch_id 0
		.amdhsa_user_sgpr_kernarg_preload_length 0
		.amdhsa_user_sgpr_kernarg_preload_offset 0
		.amdhsa_user_sgpr_private_segment_size 0
		.amdhsa_uses_dynamic_stack 0
		.amdhsa_enable_private_segment 0
		.amdhsa_system_sgpr_workgroup_id_x 1
		.amdhsa_system_sgpr_workgroup_id_y 0
		.amdhsa_system_sgpr_workgroup_id_z 0
		.amdhsa_system_sgpr_workgroup_info 0
		.amdhsa_system_vgpr_workitem_id 0
		.amdhsa_next_free_vgpr 41
		.amdhsa_next_free_sgpr 56
		.amdhsa_accum_offset 44
		.amdhsa_reserve_vcc 1
		.amdhsa_float_round_mode_32 0
		.amdhsa_float_round_mode_16_64 0
		.amdhsa_float_denorm_mode_32 3
		.amdhsa_float_denorm_mode_16_64 3
		.amdhsa_dx10_clamp 1
		.amdhsa_ieee_mode 1
		.amdhsa_fp16_overflow 0
		.amdhsa_tg_split 0
		.amdhsa_exception_fp_ieee_invalid_op 0
		.amdhsa_exception_fp_denorm_src 0
		.amdhsa_exception_fp_ieee_div_zero 0
		.amdhsa_exception_fp_ieee_overflow 0
		.amdhsa_exception_fp_ieee_underflow 0
		.amdhsa_exception_fp_ieee_inexact 0
		.amdhsa_exception_int_div_zero 0
	.end_amdhsa_kernel
	.section	.text._ZN9rocsparseL38csr2bsr_block_per_row_multipass_kernelILj256ELj32EdliEEv20rocsparse_direction_T3_S2_S2_S2_S2_21rocsparse_index_base_PKT1_PKT2_PKS2_S3_PS4_PS7_PS2_,"axG",@progbits,_ZN9rocsparseL38csr2bsr_block_per_row_multipass_kernelILj256ELj32EdliEEv20rocsparse_direction_T3_S2_S2_S2_S2_21rocsparse_index_base_PKT1_PKT2_PKS2_S3_PS4_PS7_PS2_,comdat
.Lfunc_end123:
	.size	_ZN9rocsparseL38csr2bsr_block_per_row_multipass_kernelILj256ELj32EdliEEv20rocsparse_direction_T3_S2_S2_S2_S2_21rocsparse_index_base_PKT1_PKT2_PKS2_S3_PS4_PS7_PS2_, .Lfunc_end123-_ZN9rocsparseL38csr2bsr_block_per_row_multipass_kernelILj256ELj32EdliEEv20rocsparse_direction_T3_S2_S2_S2_S2_21rocsparse_index_base_PKT1_PKT2_PKS2_S3_PS4_PS7_PS2_
                                        ; -- End function
	.section	.AMDGPU.csdata,"",@progbits
; Kernel info:
; codeLenInByte = 1948
; NumSgprs: 62
; NumVgprs: 41
; NumAgprs: 0
; TotalNumVgprs: 41
; ScratchSize: 0
; MemoryBound: 0
; FloatMode: 240
; IeeeMode: 1
; LDSByteSize: 8200 bytes/workgroup (compile time only)
; SGPRBlocks: 7
; VGPRBlocks: 5
; NumSGPRsForWavesPerEU: 62
; NumVGPRsForWavesPerEU: 41
; AccumOffset: 44
; Occupancy: 7
; WaveLimiterHint : 0
; COMPUTE_PGM_RSRC2:SCRATCH_EN: 0
; COMPUTE_PGM_RSRC2:USER_SGPR: 2
; COMPUTE_PGM_RSRC2:TRAP_HANDLER: 0
; COMPUTE_PGM_RSRC2:TGID_X_EN: 1
; COMPUTE_PGM_RSRC2:TGID_Y_EN: 0
; COMPUTE_PGM_RSRC2:TGID_Z_EN: 0
; COMPUTE_PGM_RSRC2:TIDIG_COMP_CNT: 0
; COMPUTE_PGM_RSRC3_GFX90A:ACCUM_OFFSET: 10
; COMPUTE_PGM_RSRC3_GFX90A:TG_SPLIT: 0
	.section	.text._ZN9rocsparseL38csr2bsr_block_per_row_multipass_kernelILj256ELj64EdliEEv20rocsparse_direction_T3_S2_S2_S2_S2_21rocsparse_index_base_PKT1_PKT2_PKS2_S3_PS4_PS7_PS2_,"axG",@progbits,_ZN9rocsparseL38csr2bsr_block_per_row_multipass_kernelILj256ELj64EdliEEv20rocsparse_direction_T3_S2_S2_S2_S2_21rocsparse_index_base_PKT1_PKT2_PKS2_S3_PS4_PS7_PS2_,comdat
	.globl	_ZN9rocsparseL38csr2bsr_block_per_row_multipass_kernelILj256ELj64EdliEEv20rocsparse_direction_T3_S2_S2_S2_S2_21rocsparse_index_base_PKT1_PKT2_PKS2_S3_PS4_PS7_PS2_ ; -- Begin function _ZN9rocsparseL38csr2bsr_block_per_row_multipass_kernelILj256ELj64EdliEEv20rocsparse_direction_T3_S2_S2_S2_S2_21rocsparse_index_base_PKT1_PKT2_PKS2_S3_PS4_PS7_PS2_
	.p2align	8
	.type	_ZN9rocsparseL38csr2bsr_block_per_row_multipass_kernelILj256ELj64EdliEEv20rocsparse_direction_T3_S2_S2_S2_S2_21rocsparse_index_base_PKT1_PKT2_PKS2_S3_PS4_PS7_PS2_,@function
_ZN9rocsparseL38csr2bsr_block_per_row_multipass_kernelILj256ELj64EdliEEv20rocsparse_direction_T3_S2_S2_S2_S2_21rocsparse_index_base_PKT1_PKT2_PKS2_S3_PS4_PS7_PS2_: ; @_ZN9rocsparseL38csr2bsr_block_per_row_multipass_kernelILj256ELj64EdliEEv20rocsparse_direction_T3_S2_S2_S2_S2_21rocsparse_index_base_PKT1_PKT2_PKS2_S3_PS4_PS7_PS2_
; %bb.0:
	s_load_dwordx4 s[20:23], s[0:1], 0x10
	s_load_dwordx2 s[6:7], s[0:1], 0x0
	s_load_dwordx2 s[8:9], s[0:1], 0x28
	v_lshrrev_b32_e32 v1, 2, v0
	v_mov_b64_e32 v[2:3], 0
	s_waitcnt lgkmcnt(0)
	s_mul_i32 s3, s2, s21
	v_add_u32_e32 v4, s3, v1
	v_cmp_gt_i32_e64 s[4:5], s7, v4
	v_cmp_gt_i32_e32 vcc, s21, v1
	s_and_b64 s[10:11], vcc, s[4:5]
	v_mov_b64_e32 v[28:29], v[2:3]
	s_and_saveexec_b64 s[12:13], s[10:11]
	s_cbranch_execnz .LBB124_3
; %bb.1:
	s_or_b64 exec, exec, s[12:13]
	s_and_saveexec_b64 s[12:13], s[10:11]
	s_cbranch_execnz .LBB124_4
.LBB124_2:
	s_or_b64 exec, exec, s[12:13]
	s_cmp_lt_i32 s20, 1
	s_cbranch_scc0 .LBB124_5
	s_branch .LBB124_65
.LBB124_3:
	v_ashrrev_i32_e32 v5, 31, v4
	v_lshl_add_u64 v[6:7], v[4:5], 3, s[8:9]
	global_load_dwordx2 v[6:7], v[6:7], off
	s_waitcnt vmcnt(0)
	v_subrev_co_u32_e64 v28, s[4:5], s22, v6
	s_nop 1
	v_subbrev_co_u32_e64 v29, s[4:5], 0, v7, s[4:5]
	s_or_b64 exec, exec, s[12:13]
	s_and_saveexec_b64 s[12:13], s[10:11]
	s_cbranch_execz .LBB124_2
.LBB124_4:
	v_ashrrev_i32_e32 v5, 31, v4
	v_lshl_add_u64 v[2:3], v[4:5], 3, s[8:9]
	global_load_dwordx2 v[2:3], v[2:3], off offset:8
	s_waitcnt vmcnt(0)
	v_subrev_co_u32_e64 v2, s[4:5], s22, v2
	s_nop 1
	v_subbrev_co_u32_e64 v3, s[4:5], 0, v3, s[4:5]
	s_or_b64 exec, exec, s[12:13]
	s_cmp_lt_i32 s20, 1
	s_cbranch_scc1 .LBB124_65
.LBB124_5:
	s_load_dwordx4 s[8:11], s[0:1], 0x40
	s_load_dwordx2 s[24:25], s[0:1], 0x50
	s_load_dword s23, s[0:1], 0x38
	s_ashr_i32 s3, s2, 31
	s_lshl_b64 s[2:3], s[2:3], 3
	s_waitcnt lgkmcnt(0)
	s_add_u32 s2, s10, s2
	s_addc_u32 s3, s11, s3
	s_load_dwordx2 s[4:5], s[2:3], 0x0
	s_load_dwordx2 s[26:27], s[0:1], 0x20
	;; [unrolled: 1-line block ×3, first 2 shown]
	v_mov_b32_e32 v5, 0
	v_and_b32_e32 v4, 3, v0
	s_waitcnt lgkmcnt(0)
	s_sub_u32 s30, s4, s23
	v_mul_lo_u32 v8, v1, s21
	v_mov_b32_e32 v9, v5
	s_subb_u32 s31, s5, 0
	v_lshl_add_u64 v[8:9], v[8:9], 3, s[8:9]
	v_lshlrev_b32_e32 v10, 3, v4
	v_mov_b32_e32 v11, v5
	s_cmp_eq_u32 s6, 0
	v_lshl_add_u64 v[8:9], v[8:9], 0, v[10:11]
	v_cmp_gt_u32_e64 s[18:19], s21, v4
	v_or_b32_e32 v10, 4, v4
	s_cselect_b64 s[0:1], -1, 0
	s_and_b64 s[34:35], vcc, s[18:19]
	v_cmp_gt_u32_e64 s[18:19], s21, v10
	v_or_b32_e32 v12, 8, v4
	v_mbcnt_lo_u32_b32 v6, -1, 0
	s_and_b64 s[36:37], vcc, s[18:19]
	v_cmp_gt_u32_e64 s[18:19], s21, v12
	v_or_b32_e32 v14, 12, v4
	v_mbcnt_hi_u32_b32 v6, -1, v6
	s_and_b64 s[38:39], vcc, s[18:19]
	v_cmp_gt_u32_e64 s[18:19], s21, v14
	v_or_b32_e32 v16, 16, v4
	v_lshlrev_b32_e32 v56, 6, v1
	v_lshl_or_b32 v57, v6, 2, 12
	v_lshlrev_b32_e32 v6, 3, v1
	v_mov_b32_e32 v7, v5
	s_movk_i32 s2, 0x80
	s_and_b64 s[40:41], vcc, s[18:19]
	v_cmp_gt_u32_e64 s[18:19], s21, v16
	v_or_b32_e32 v18, 20, v4
	v_lshl_add_u64 v[6:7], s[8:9], 0, v[6:7]
	v_lshlrev_b32_e32 v58, 2, v0
	v_cmp_gt_u32_e64 s[2:3], s2, v0
	v_cmp_gt_u32_e64 s[4:5], 64, v0
	;; [unrolled: 1-line block ×7, first 2 shown]
	v_cmp_eq_u32_e64 s[16:17], 0, v0
	v_or_b32_e32 v0, v56, v4
	s_and_b64 s[42:43], vcc, s[18:19]
	v_cmp_gt_u32_e64 s[18:19], s21, v18
	v_or_b32_e32 v20, 24, v4
	v_lshlrev_b32_e32 v59, 3, v0
	v_mul_lo_u32 v0, v4, s21
	s_lshl_b32 s67, s21, 2
	s_and_b64 s[44:45], vcc, s[18:19]
	v_cmp_gt_u32_e64 s[18:19], s21, v20
	v_or_b32_e32 v22, 28, v4
	s_abs_i32 s97, s21
	v_add_u32_e32 v10, s67, v0
	s_and_b64 s[46:47], vcc, s[18:19]
	v_cmp_gt_u32_e64 s[18:19], s21, v22
	v_or_b32_e32 v24, 32, v4
	v_cvt_f32_u32_e32 v40, s97
	v_add_u32_e32 v12, s67, v10
	s_and_b64 s[48:49], vcc, s[18:19]
	v_cmp_gt_u32_e64 s[18:19], s21, v24
	v_or_b32_e32 v26, 36, v4
	v_add_u32_e32 v14, s67, v12
	s_and_b64 s[50:51], vcc, s[18:19]
	v_cmp_gt_u32_e64 s[18:19], s21, v26
	v_or_b32_e32 v30, 40, v4
	;; [unrolled: 4-line block ×4, first 2 shown]
	v_rcp_iflag_f32_e32 v42, v40
	v_add_u32_e32 v20, s67, v18
	s_and_b64 s[56:57], vcc, s[18:19]
	v_cmp_gt_u32_e64 s[18:19], s21, v34
	v_or_b32_e32 v36, 52, v4
	v_add_u32_e32 v22, s67, v20
	s_and_b64 s[58:59], vcc, s[18:19]
	v_cmp_gt_u32_e64 s[18:19], s21, v36
	v_or_b32_e32 v38, 56, v4
	;; [unrolled: 4-line block ×3, first 2 shown]
	v_add_u32_e32 v26, s67, v24
	s_and_b64 s[62:63], vcc, s[18:19]
	v_cmp_gt_u32_e64 s[18:19], s21, v41
	v_mul_f32_e32 v41, 0x4f7ffffe, v42
	v_add_u32_e32 v30, s67, v26
	v_cvt_u32_f32_e32 v42, v41
	v_add_u32_e32 v32, s67, v30
	v_add_u32_e32 v34, s67, v32
	;; [unrolled: 1-line block ×3, first 2 shown]
	s_and_b64 s[64:65], vcc, s[18:19]
	s_sub_i32 s18, 0, s97
	s_mov_b32 s66, 0
	v_add_u32_e32 v38, s67, v36
	v_mul_lo_u32 v43, s18, v42
	v_add_u32_e32 v40, s67, v38
	v_mul_hi_u32 v43, v42, v43
	s_mov_b32 s67, s66
	s_mul_hi_u32 s33, s21, s21
	s_mul_i32 s96, s21, s21
	v_mov_b32_e32 v1, v5
	v_mov_b32_e32 v13, v5
	;; [unrolled: 1-line block ×15, first 2 shown]
	s_ashr_i32 s98, s21, 31
	v_add_u32_e32 v60, v42, v43
	v_mov_b64_e32 v[44:45], 0
	v_mov_b64_e32 v[42:43], s[66:67]
	s_mov_b64 s[70:71], 0xa0
	s_mov_b64 s[72:73], 0xc0
	;; [unrolled: 1-line block ×11, first 2 shown]
	v_mov_b32_e32 v61, 1
	s_branch .LBB124_7
.LBB124_6:                              ;   in Loop: Header=BB124_7 Depth=1
	s_or_b64 exec, exec, s[92:93]
	s_waitcnt lgkmcnt(0)
	s_barrier
	ds_read_b32 v44, v5
	s_add_u32 s30, s18, s30
	s_addc_u32 s31, s19, s31
	s_waitcnt lgkmcnt(0)
	s_barrier
	v_cmp_gt_i32_e32 vcc, s20, v44
	v_ashrrev_i32_e32 v45, 31, v44
	s_cbranch_vccz .LBB124_65
.LBB124_7:                              ; =>This Loop Header: Depth=1
                                        ;     Child Loop BB124_10 Depth 2
	v_lshl_add_u64 v[28:29], v[28:29], 0, v[4:5]
	v_cmp_lt_i64_e32 vcc, v[28:29], v[2:3]
	v_mov_b32_e32 v62, s20
	v_mov_b64_e32 v[50:51], v[2:3]
	ds_write_b8 v5, v5 offset:32768
	ds_write2_b64 v59, v[42:43], v[42:43] offset1:4
	ds_write2_b64 v59, v[42:43], v[42:43] offset0:8 offset1:12
	ds_write2_b64 v59, v[42:43], v[42:43] offset0:16 offset1:20
	;; [unrolled: 1-line block ×7, first 2 shown]
	s_waitcnt lgkmcnt(0)
	s_barrier
	s_and_saveexec_b64 s[92:93], vcc
	s_cbranch_execz .LBB124_15
; %bb.8:                                ;   in Loop: Header=BB124_7 Depth=1
	v_lshl_add_u64 v[46:47], v[28:29], 3, s[26:27]
	v_lshl_add_u64 v[48:49], v[28:29], 2, s[28:29]
	s_mov_b64 s[94:95], 0
	v_mov_b32_e32 v62, s20
	v_mov_b64_e32 v[50:51], v[2:3]
	s_branch .LBB124_10
.LBB124_9:                              ;   in Loop: Header=BB124_10 Depth=2
	s_or_b64 exec, exec, s[18:19]
	v_lshl_add_u64 v[28:29], v[28:29], 0, 4
	v_cmp_ge_i64_e64 s[18:19], v[28:29], v[2:3]
	s_xor_b64 s[66:67], vcc, -1
	s_or_b64 s[18:19], s[66:67], s[18:19]
	s_and_b64 s[18:19], exec, s[18:19]
	v_lshl_add_u64 v[46:47], v[46:47], 0, 32
	s_or_b64 s[94:95], s[18:19], s[94:95]
	v_lshl_add_u64 v[48:49], v[48:49], 0, 16
	s_andn2_b64 exec, exec, s[94:95]
	s_cbranch_execz .LBB124_14
.LBB124_10:                             ;   Parent Loop BB124_7 Depth=1
                                        ; =>  This Inner Loop Header: Depth=2
	global_load_dword v52, v[48:49], off
	s_waitcnt vmcnt(0)
	v_subrev_u32_e32 v63, s22, v52
	v_sub_u32_e32 v53, 0, v63
	v_max_i32_e32 v53, v63, v53
	v_mul_hi_u32 v54, v53, v60
	v_mul_lo_u32 v55, v54, s97
	v_sub_u32_e32 v53, v53, v55
	v_add_u32_e32 v64, 1, v54
	v_cmp_le_u32_e32 vcc, s97, v53
	v_subrev_u32_e32 v55, s97, v53
	v_ashrrev_i32_e32 v52, 31, v63
	v_cndmask_b32_e32 v54, v54, v64, vcc
	v_cndmask_b32_e32 v53, v53, v55, vcc
	v_add_u32_e32 v55, 1, v54
	v_cmp_le_u32_e32 vcc, s97, v53
	v_xor_b32_e32 v52, s98, v52
	s_nop 0
	v_cndmask_b32_e32 v53, v54, v55, vcc
	v_xor_b32_e32 v53, v53, v52
	v_sub_u32_e32 v52, v53, v52
	v_ashrrev_i32_e32 v53, 31, v52
	v_cmp_eq_u64_e32 vcc, v[44:45], v[52:53]
	v_cmp_ne_u64_e64 s[18:19], v[44:45], v[52:53]
	v_mov_b64_e32 v[54:55], v[50:51]
	s_and_saveexec_b64 s[66:67], s[18:19]
	s_xor_b64 s[18:19], exec, s[66:67]
; %bb.11:                               ;   in Loop: Header=BB124_10 Depth=2
	v_min_i32_e32 v62, v52, v62
                                        ; implicit-def: $vgpr52
                                        ; implicit-def: $vgpr63
                                        ; implicit-def: $vgpr54_vgpr55
; %bb.12:                               ;   in Loop: Header=BB124_10 Depth=2
	s_or_saveexec_b64 s[18:19], s[18:19]
	v_mov_b64_e32 v[50:51], v[28:29]
	s_xor_b64 exec, exec, s[18:19]
	s_cbranch_execz .LBB124_9
; %bb.13:                               ;   in Loop: Header=BB124_10 Depth=2
	global_load_dwordx2 v[50:51], v[46:47], off
	v_mul_lo_u32 v52, v52, s21
	v_sub_u32_e32 v52, v63, v52
	v_add_lshl_u32 v52, v52, v56, 3
	ds_write_b8 v5, v61 offset:32768
	s_waitcnt vmcnt(0)
	ds_write_b64 v52, v[50:51]
	v_mov_b64_e32 v[50:51], v[54:55]
	s_branch .LBB124_9
.LBB124_14:                             ;   in Loop: Header=BB124_7 Depth=1
	s_or_b64 exec, exec, s[94:95]
.LBB124_15:                             ;   in Loop: Header=BB124_7 Depth=1
	s_or_b64 exec, exec, s[92:93]
	v_mov_b32_dpp v28, v50 row_shr:1 row_mask:0xf bank_mask:0xf
	v_mov_b32_dpp v29, v51 row_shr:1 row_mask:0xf bank_mask:0xf
	v_cmp_lt_i64_e32 vcc, v[28:29], v[50:51]
	s_waitcnt lgkmcnt(0)
	s_barrier
	v_cndmask_b32_e32 v29, v51, v29, vcc
	v_cndmask_b32_e32 v28, v50, v28, vcc
	s_nop 0
	v_mov_b32_dpp v47, v29 row_shr:2 row_mask:0xf bank_mask:0xf
	v_mov_b32_dpp v46, v28 row_shr:2 row_mask:0xf bank_mask:0xf
	v_cmp_lt_i64_e32 vcc, v[46:47], v[28:29]
	ds_read_u8 v45, v5 offset:32768
	s_mov_b64 s[18:19], 0
	v_cndmask_b32_e32 v29, v29, v47, vcc
	v_cndmask_b32_e32 v28, v28, v46, vcc
	ds_bpermute_b32 v28, v57, v28
	ds_bpermute_b32 v29, v57, v29
	s_waitcnt lgkmcnt(2)
	v_cmp_eq_u32_e32 vcc, 0, v45
	s_cbranch_vccnz .LBB124_34
; %bb.16:                               ;   in Loop: Header=BB124_7 Depth=1
	s_lshl_b64 s[18:19], s[30:31], 2
	s_add_u32 s18, s24, s18
	v_add_u32_e32 v44, s23, v44
	s_addc_u32 s19, s25, s19
	global_store_dword v5, v44, s[18:19]
	s_mul_i32 s18, s96, s31
	s_mul_hi_u32 s19, s96, s30
	s_add_i32 s18, s19, s18
	s_mul_i32 s19, s33, s30
	s_add_i32 s19, s18, s19
	s_mul_i32 s18, s96, s30
	s_lshl_b64 s[18:19], s[18:19], 3
	v_lshl_add_u64 v[44:45], v[6:7], 0, s[18:19]
	v_lshl_add_u64 v[46:47], v[8:9], 0, s[18:19]
	s_and_saveexec_b64 s[18:19], s[34:35]
	s_cbranch_execnz .LBB124_50
; %bb.17:                               ;   in Loop: Header=BB124_7 Depth=1
	s_or_b64 exec, exec, s[18:19]
	s_and_saveexec_b64 s[18:19], s[36:37]
	s_cbranch_execnz .LBB124_51
.LBB124_18:                             ;   in Loop: Header=BB124_7 Depth=1
	s_or_b64 exec, exec, s[18:19]
	s_and_saveexec_b64 s[18:19], s[38:39]
	s_cbranch_execnz .LBB124_52
.LBB124_19:                             ;   in Loop: Header=BB124_7 Depth=1
	s_or_b64 exec, exec, s[18:19]
	s_and_saveexec_b64 s[18:19], s[40:41]
	s_cbranch_execnz .LBB124_53
.LBB124_20:                             ;   in Loop: Header=BB124_7 Depth=1
	s_or_b64 exec, exec, s[18:19]
	s_and_saveexec_b64 s[18:19], s[42:43]
	s_cbranch_execnz .LBB124_54
.LBB124_21:                             ;   in Loop: Header=BB124_7 Depth=1
	s_or_b64 exec, exec, s[18:19]
	s_and_saveexec_b64 s[18:19], s[44:45]
	s_cbranch_execnz .LBB124_55
.LBB124_22:                             ;   in Loop: Header=BB124_7 Depth=1
	s_or_b64 exec, exec, s[18:19]
	s_and_saveexec_b64 s[18:19], s[46:47]
	s_cbranch_execnz .LBB124_56
.LBB124_23:                             ;   in Loop: Header=BB124_7 Depth=1
	s_or_b64 exec, exec, s[18:19]
	s_and_saveexec_b64 s[18:19], s[48:49]
	s_cbranch_execnz .LBB124_57
.LBB124_24:                             ;   in Loop: Header=BB124_7 Depth=1
	s_or_b64 exec, exec, s[18:19]
	s_and_saveexec_b64 s[18:19], s[50:51]
	s_cbranch_execnz .LBB124_58
.LBB124_25:                             ;   in Loop: Header=BB124_7 Depth=1
	s_or_b64 exec, exec, s[18:19]
	s_and_saveexec_b64 s[18:19], s[52:53]
	s_cbranch_execnz .LBB124_59
.LBB124_26:                             ;   in Loop: Header=BB124_7 Depth=1
	s_or_b64 exec, exec, s[18:19]
	s_and_saveexec_b64 s[18:19], s[54:55]
	s_cbranch_execnz .LBB124_60
.LBB124_27:                             ;   in Loop: Header=BB124_7 Depth=1
	s_or_b64 exec, exec, s[18:19]
	s_and_saveexec_b64 s[18:19], s[56:57]
	s_cbranch_execnz .LBB124_61
.LBB124_28:                             ;   in Loop: Header=BB124_7 Depth=1
	s_or_b64 exec, exec, s[18:19]
	s_and_saveexec_b64 s[18:19], s[58:59]
	s_cbranch_execnz .LBB124_62
.LBB124_29:                             ;   in Loop: Header=BB124_7 Depth=1
	s_or_b64 exec, exec, s[18:19]
	s_and_saveexec_b64 s[18:19], s[60:61]
	s_cbranch_execnz .LBB124_63
.LBB124_30:                             ;   in Loop: Header=BB124_7 Depth=1
	s_or_b64 exec, exec, s[18:19]
	s_and_saveexec_b64 s[18:19], s[62:63]
	s_cbranch_execnz .LBB124_64
.LBB124_31:                             ;   in Loop: Header=BB124_7 Depth=1
	s_or_b64 exec, exec, s[18:19]
	s_and_saveexec_b64 s[18:19], s[64:65]
	s_cbranch_execz .LBB124_33
.LBB124_32:                             ;   in Loop: Header=BB124_7 Depth=1
	ds_read_b64 v[48:49], v59 offset:480
	v_lshl_add_u64 v[46:47], v[46:47], 0, s[90:91]
	v_lshl_add_u64 v[44:45], v[40:41], 3, v[44:45]
	v_cndmask_b32_e64 v45, v45, v47, s[0:1]
	v_cndmask_b32_e64 v44, v44, v46, s[0:1]
	s_waitcnt lgkmcnt(0)
	global_store_dwordx2 v[44:45], v[48:49], off
.LBB124_33:                             ;   in Loop: Header=BB124_7 Depth=1
	s_or_b64 exec, exec, s[18:19]
	s_mov_b64 s[18:19], 1
.LBB124_34:                             ;   in Loop: Header=BB124_7 Depth=1
	s_waitcnt lgkmcnt(0)
	s_barrier
	ds_write_b32 v58, v62
	s_waitcnt lgkmcnt(0)
	s_barrier
	s_and_saveexec_b64 s[92:93], s[2:3]
	s_cbranch_execz .LBB124_36
; %bb.35:                               ;   in Loop: Header=BB124_7 Depth=1
	ds_read2st64_b32 v[44:45], v58 offset1:2
	s_waitcnt lgkmcnt(0)
	v_min_i32_e32 v44, v45, v44
	ds_write_b32 v58, v44
.LBB124_36:                             ;   in Loop: Header=BB124_7 Depth=1
	s_or_b64 exec, exec, s[92:93]
	s_waitcnt lgkmcnt(0)
	s_barrier
	s_and_saveexec_b64 s[92:93], s[4:5]
	s_cbranch_execz .LBB124_38
; %bb.37:                               ;   in Loop: Header=BB124_7 Depth=1
	ds_read2st64_b32 v[44:45], v58 offset1:1
	s_waitcnt lgkmcnt(0)
	v_min_i32_e32 v44, v45, v44
	ds_write_b32 v58, v44
.LBB124_38:                             ;   in Loop: Header=BB124_7 Depth=1
	s_or_b64 exec, exec, s[92:93]
	s_waitcnt lgkmcnt(0)
	s_barrier
	s_and_saveexec_b64 s[92:93], s[6:7]
	s_cbranch_execz .LBB124_40
; %bb.39:                               ;   in Loop: Header=BB124_7 Depth=1
	ds_read2_b32 v[44:45], v58 offset1:32
	s_waitcnt lgkmcnt(0)
	v_min_i32_e32 v44, v45, v44
	ds_write_b32 v58, v44
.LBB124_40:                             ;   in Loop: Header=BB124_7 Depth=1
	s_or_b64 exec, exec, s[92:93]
	s_waitcnt lgkmcnt(0)
	s_barrier
	s_and_saveexec_b64 s[92:93], s[8:9]
	s_cbranch_execz .LBB124_42
; %bb.41:                               ;   in Loop: Header=BB124_7 Depth=1
	ds_read2_b32 v[44:45], v58 offset1:16
	s_waitcnt lgkmcnt(0)
	v_min_i32_e32 v44, v45, v44
	ds_write_b32 v58, v44
.LBB124_42:                             ;   in Loop: Header=BB124_7 Depth=1
	;; [unrolled: 11-line block ×5, first 2 shown]
	s_or_b64 exec, exec, s[92:93]
	s_waitcnt lgkmcnt(0)
	s_barrier
	s_and_saveexec_b64 s[92:93], s[16:17]
	s_cbranch_execz .LBB124_6
; %bb.49:                               ;   in Loop: Header=BB124_7 Depth=1
	ds_read_b64 v[44:45], v5
	s_waitcnt lgkmcnt(0)
	v_min_i32_e32 v44, v45, v44
	ds_write_b32 v5, v44
	s_branch .LBB124_6
.LBB124_50:                             ;   in Loop: Header=BB124_7 Depth=1
	ds_read_b64 v[48:49], v59
	v_lshl_add_u64 v[50:51], v[0:1], 3, v[44:45]
	v_cndmask_b32_e64 v51, v51, v47, s[0:1]
	v_cndmask_b32_e64 v50, v50, v46, s[0:1]
	s_waitcnt lgkmcnt(0)
	global_store_dwordx2 v[50:51], v[48:49], off
	s_or_b64 exec, exec, s[18:19]
	s_and_saveexec_b64 s[18:19], s[36:37]
	s_cbranch_execz .LBB124_18
.LBB124_51:                             ;   in Loop: Header=BB124_7 Depth=1
	ds_read_b64 v[48:49], v59 offset:32
	v_lshl_add_u64 v[50:51], v[46:47], 0, 32
	v_lshl_add_u64 v[52:53], v[10:11], 3, v[44:45]
	v_cndmask_b32_e64 v51, v53, v51, s[0:1]
	v_cndmask_b32_e64 v50, v52, v50, s[0:1]
	s_waitcnt lgkmcnt(0)
	global_store_dwordx2 v[50:51], v[48:49], off
	s_or_b64 exec, exec, s[18:19]
	s_and_saveexec_b64 s[18:19], s[38:39]
	s_cbranch_execz .LBB124_19
.LBB124_52:                             ;   in Loop: Header=BB124_7 Depth=1
	ds_read_b64 v[48:49], v59 offset:64
	v_lshl_add_u64 v[50:51], v[46:47], 0, 64
	v_lshl_add_u64 v[52:53], v[12:13], 3, v[44:45]
	v_cndmask_b32_e64 v51, v53, v51, s[0:1]
	v_cndmask_b32_e64 v50, v52, v50, s[0:1]
	s_waitcnt lgkmcnt(0)
	global_store_dwordx2 v[50:51], v[48:49], off
	s_or_b64 exec, exec, s[18:19]
	s_and_saveexec_b64 s[18:19], s[40:41]
	s_cbranch_execz .LBB124_20
.LBB124_53:                             ;   in Loop: Header=BB124_7 Depth=1
	ds_read_b64 v[48:49], v59 offset:96
	s_mov_b64 s[66:67], 0x60
	v_lshl_add_u64 v[50:51], v[46:47], 0, s[66:67]
	v_lshl_add_u64 v[52:53], v[14:15], 3, v[44:45]
	v_cndmask_b32_e64 v51, v53, v51, s[0:1]
	v_cndmask_b32_e64 v50, v52, v50, s[0:1]
	s_waitcnt lgkmcnt(0)
	global_store_dwordx2 v[50:51], v[48:49], off
	s_or_b64 exec, exec, s[18:19]
	s_and_saveexec_b64 s[18:19], s[42:43]
	s_cbranch_execz .LBB124_21
.LBB124_54:                             ;   in Loop: Header=BB124_7 Depth=1
	ds_read_b64 v[48:49], v59 offset:128
	s_mov_b64 s[66:67], 0x80
	v_lshl_add_u64 v[50:51], v[46:47], 0, s[66:67]
	v_lshl_add_u64 v[52:53], v[16:17], 3, v[44:45]
	v_cndmask_b32_e64 v51, v53, v51, s[0:1]
	v_cndmask_b32_e64 v50, v52, v50, s[0:1]
	s_waitcnt lgkmcnt(0)
	global_store_dwordx2 v[50:51], v[48:49], off
	s_or_b64 exec, exec, s[18:19]
	s_and_saveexec_b64 s[18:19], s[44:45]
	s_cbranch_execz .LBB124_22
.LBB124_55:                             ;   in Loop: Header=BB124_7 Depth=1
	ds_read_b64 v[48:49], v59 offset:160
	v_lshl_add_u64 v[50:51], v[46:47], 0, s[70:71]
	v_lshl_add_u64 v[52:53], v[18:19], 3, v[44:45]
	v_cndmask_b32_e64 v51, v53, v51, s[0:1]
	v_cndmask_b32_e64 v50, v52, v50, s[0:1]
	s_waitcnt lgkmcnt(0)
	global_store_dwordx2 v[50:51], v[48:49], off
	s_or_b64 exec, exec, s[18:19]
	s_and_saveexec_b64 s[18:19], s[46:47]
	s_cbranch_execz .LBB124_23
.LBB124_56:                             ;   in Loop: Header=BB124_7 Depth=1
	ds_read_b64 v[48:49], v59 offset:192
	v_lshl_add_u64 v[50:51], v[46:47], 0, s[72:73]
	v_lshl_add_u64 v[52:53], v[20:21], 3, v[44:45]
	v_cndmask_b32_e64 v51, v53, v51, s[0:1]
	v_cndmask_b32_e64 v50, v52, v50, s[0:1]
	s_waitcnt lgkmcnt(0)
	global_store_dwordx2 v[50:51], v[48:49], off
	s_or_b64 exec, exec, s[18:19]
	s_and_saveexec_b64 s[18:19], s[48:49]
	s_cbranch_execz .LBB124_24
.LBB124_57:                             ;   in Loop: Header=BB124_7 Depth=1
	ds_read_b64 v[48:49], v59 offset:224
	v_lshl_add_u64 v[50:51], v[46:47], 0, s[74:75]
	v_lshl_add_u64 v[52:53], v[22:23], 3, v[44:45]
	v_cndmask_b32_e64 v51, v53, v51, s[0:1]
	v_cndmask_b32_e64 v50, v52, v50, s[0:1]
	s_waitcnt lgkmcnt(0)
	global_store_dwordx2 v[50:51], v[48:49], off
	s_or_b64 exec, exec, s[18:19]
	s_and_saveexec_b64 s[18:19], s[50:51]
	s_cbranch_execz .LBB124_25
.LBB124_58:                             ;   in Loop: Header=BB124_7 Depth=1
	ds_read_b64 v[48:49], v59 offset:256
	v_lshl_add_u64 v[50:51], v[46:47], 0, s[76:77]
	v_lshl_add_u64 v[52:53], v[24:25], 3, v[44:45]
	v_cndmask_b32_e64 v51, v53, v51, s[0:1]
	v_cndmask_b32_e64 v50, v52, v50, s[0:1]
	s_waitcnt lgkmcnt(0)
	global_store_dwordx2 v[50:51], v[48:49], off
	s_or_b64 exec, exec, s[18:19]
	s_and_saveexec_b64 s[18:19], s[52:53]
	s_cbranch_execz .LBB124_26
.LBB124_59:                             ;   in Loop: Header=BB124_7 Depth=1
	ds_read_b64 v[48:49], v59 offset:288
	v_lshl_add_u64 v[50:51], v[46:47], 0, s[78:79]
	v_lshl_add_u64 v[52:53], v[26:27], 3, v[44:45]
	v_cndmask_b32_e64 v51, v53, v51, s[0:1]
	v_cndmask_b32_e64 v50, v52, v50, s[0:1]
	s_waitcnt lgkmcnt(0)
	global_store_dwordx2 v[50:51], v[48:49], off
	s_or_b64 exec, exec, s[18:19]
	s_and_saveexec_b64 s[18:19], s[54:55]
	s_cbranch_execz .LBB124_27
.LBB124_60:                             ;   in Loop: Header=BB124_7 Depth=1
	ds_read_b64 v[48:49], v59 offset:320
	v_lshl_add_u64 v[50:51], v[46:47], 0, s[80:81]
	v_lshl_add_u64 v[52:53], v[30:31], 3, v[44:45]
	v_cndmask_b32_e64 v51, v53, v51, s[0:1]
	v_cndmask_b32_e64 v50, v52, v50, s[0:1]
	s_waitcnt lgkmcnt(0)
	global_store_dwordx2 v[50:51], v[48:49], off
	s_or_b64 exec, exec, s[18:19]
	s_and_saveexec_b64 s[18:19], s[56:57]
	s_cbranch_execz .LBB124_28
.LBB124_61:                             ;   in Loop: Header=BB124_7 Depth=1
	ds_read_b64 v[48:49], v59 offset:352
	v_lshl_add_u64 v[50:51], v[46:47], 0, s[82:83]
	v_lshl_add_u64 v[52:53], v[32:33], 3, v[44:45]
	v_cndmask_b32_e64 v51, v53, v51, s[0:1]
	v_cndmask_b32_e64 v50, v52, v50, s[0:1]
	s_waitcnt lgkmcnt(0)
	global_store_dwordx2 v[50:51], v[48:49], off
	s_or_b64 exec, exec, s[18:19]
	s_and_saveexec_b64 s[18:19], s[58:59]
	s_cbranch_execz .LBB124_29
.LBB124_62:                             ;   in Loop: Header=BB124_7 Depth=1
	ds_read_b64 v[48:49], v59 offset:384
	v_lshl_add_u64 v[50:51], v[46:47], 0, s[84:85]
	v_lshl_add_u64 v[52:53], v[34:35], 3, v[44:45]
	v_cndmask_b32_e64 v51, v53, v51, s[0:1]
	v_cndmask_b32_e64 v50, v52, v50, s[0:1]
	s_waitcnt lgkmcnt(0)
	global_store_dwordx2 v[50:51], v[48:49], off
	s_or_b64 exec, exec, s[18:19]
	s_and_saveexec_b64 s[18:19], s[60:61]
	s_cbranch_execz .LBB124_30
.LBB124_63:                             ;   in Loop: Header=BB124_7 Depth=1
	ds_read_b64 v[48:49], v59 offset:416
	v_lshl_add_u64 v[50:51], v[46:47], 0, s[86:87]
	v_lshl_add_u64 v[52:53], v[36:37], 3, v[44:45]
	v_cndmask_b32_e64 v51, v53, v51, s[0:1]
	v_cndmask_b32_e64 v50, v52, v50, s[0:1]
	s_waitcnt lgkmcnt(0)
	global_store_dwordx2 v[50:51], v[48:49], off
	s_or_b64 exec, exec, s[18:19]
	s_and_saveexec_b64 s[18:19], s[62:63]
	s_cbranch_execz .LBB124_31
.LBB124_64:                             ;   in Loop: Header=BB124_7 Depth=1
	ds_read_b64 v[48:49], v59 offset:448
	v_lshl_add_u64 v[50:51], v[46:47], 0, s[88:89]
	v_lshl_add_u64 v[52:53], v[38:39], 3, v[44:45]
	v_cndmask_b32_e64 v51, v53, v51, s[0:1]
	v_cndmask_b32_e64 v50, v52, v50, s[0:1]
	s_waitcnt lgkmcnt(0)
	global_store_dwordx2 v[50:51], v[48:49], off
	s_or_b64 exec, exec, s[18:19]
	s_and_saveexec_b64 s[18:19], s[64:65]
	s_cbranch_execnz .LBB124_32
	s_branch .LBB124_33
.LBB124_65:
	s_endpgm
	.section	.rodata,"a",@progbits
	.p2align	6, 0x0
	.amdhsa_kernel _ZN9rocsparseL38csr2bsr_block_per_row_multipass_kernelILj256ELj64EdliEEv20rocsparse_direction_T3_S2_S2_S2_S2_21rocsparse_index_base_PKT1_PKT2_PKS2_S3_PS4_PS7_PS2_
		.amdhsa_group_segment_fixed_size 32776
		.amdhsa_private_segment_fixed_size 0
		.amdhsa_kernarg_size 88
		.amdhsa_user_sgpr_count 2
		.amdhsa_user_sgpr_dispatch_ptr 0
		.amdhsa_user_sgpr_queue_ptr 0
		.amdhsa_user_sgpr_kernarg_segment_ptr 1
		.amdhsa_user_sgpr_dispatch_id 0
		.amdhsa_user_sgpr_kernarg_preload_length 0
		.amdhsa_user_sgpr_kernarg_preload_offset 0
		.amdhsa_user_sgpr_private_segment_size 0
		.amdhsa_uses_dynamic_stack 0
		.amdhsa_enable_private_segment 0
		.amdhsa_system_sgpr_workgroup_id_x 1
		.amdhsa_system_sgpr_workgroup_id_y 0
		.amdhsa_system_sgpr_workgroup_id_z 0
		.amdhsa_system_sgpr_workgroup_info 0
		.amdhsa_system_vgpr_workitem_id 0
		.amdhsa_next_free_vgpr 65
		.amdhsa_next_free_sgpr 99
		.amdhsa_accum_offset 68
		.amdhsa_reserve_vcc 1
		.amdhsa_float_round_mode_32 0
		.amdhsa_float_round_mode_16_64 0
		.amdhsa_float_denorm_mode_32 3
		.amdhsa_float_denorm_mode_16_64 3
		.amdhsa_dx10_clamp 1
		.amdhsa_ieee_mode 1
		.amdhsa_fp16_overflow 0
		.amdhsa_tg_split 0
		.amdhsa_exception_fp_ieee_invalid_op 0
		.amdhsa_exception_fp_denorm_src 0
		.amdhsa_exception_fp_ieee_div_zero 0
		.amdhsa_exception_fp_ieee_overflow 0
		.amdhsa_exception_fp_ieee_underflow 0
		.amdhsa_exception_fp_ieee_inexact 0
		.amdhsa_exception_int_div_zero 0
	.end_amdhsa_kernel
	.section	.text._ZN9rocsparseL38csr2bsr_block_per_row_multipass_kernelILj256ELj64EdliEEv20rocsparse_direction_T3_S2_S2_S2_S2_21rocsparse_index_base_PKT1_PKT2_PKS2_S3_PS4_PS7_PS2_,"axG",@progbits,_ZN9rocsparseL38csr2bsr_block_per_row_multipass_kernelILj256ELj64EdliEEv20rocsparse_direction_T3_S2_S2_S2_S2_21rocsparse_index_base_PKT1_PKT2_PKS2_S3_PS4_PS7_PS2_,comdat
.Lfunc_end124:
	.size	_ZN9rocsparseL38csr2bsr_block_per_row_multipass_kernelILj256ELj64EdliEEv20rocsparse_direction_T3_S2_S2_S2_S2_21rocsparse_index_base_PKT1_PKT2_PKS2_S3_PS4_PS7_PS2_, .Lfunc_end124-_ZN9rocsparseL38csr2bsr_block_per_row_multipass_kernelILj256ELj64EdliEEv20rocsparse_direction_T3_S2_S2_S2_S2_21rocsparse_index_base_PKT1_PKT2_PKS2_S3_PS4_PS7_PS2_
                                        ; -- End function
	.section	.AMDGPU.csdata,"",@progbits
; Kernel info:
; codeLenInByte = 3248
; NumSgprs: 105
; NumVgprs: 65
; NumAgprs: 0
; TotalNumVgprs: 65
; ScratchSize: 0
; MemoryBound: 0
; FloatMode: 240
; IeeeMode: 1
; LDSByteSize: 32776 bytes/workgroup (compile time only)
; SGPRBlocks: 13
; VGPRBlocks: 8
; NumSGPRsForWavesPerEU: 105
; NumVGPRsForWavesPerEU: 65
; AccumOffset: 68
; Occupancy: 1
; WaveLimiterHint : 0
; COMPUTE_PGM_RSRC2:SCRATCH_EN: 0
; COMPUTE_PGM_RSRC2:USER_SGPR: 2
; COMPUTE_PGM_RSRC2:TRAP_HANDLER: 0
; COMPUTE_PGM_RSRC2:TGID_X_EN: 1
; COMPUTE_PGM_RSRC2:TGID_Y_EN: 0
; COMPUTE_PGM_RSRC2:TGID_Z_EN: 0
; COMPUTE_PGM_RSRC2:TIDIG_COMP_CNT: 0
; COMPUTE_PGM_RSRC3_GFX90A:ACCUM_OFFSET: 16
; COMPUTE_PGM_RSRC3_GFX90A:TG_SPLIT: 0
	.section	.text._ZN9rocsparseL21csr2bsr_65_inf_kernelILj32EdliEEv20rocsparse_direction_T2_S2_S2_S2_S2_S2_21rocsparse_index_base_PKT0_PKT1_PKS2_S3_PS4_PS7_PS2_SD_SE_SC_,"axG",@progbits,_ZN9rocsparseL21csr2bsr_65_inf_kernelILj32EdliEEv20rocsparse_direction_T2_S2_S2_S2_S2_S2_21rocsparse_index_base_PKT0_PKT1_PKS2_S3_PS4_PS7_PS2_SD_SE_SC_,comdat
	.globl	_ZN9rocsparseL21csr2bsr_65_inf_kernelILj32EdliEEv20rocsparse_direction_T2_S2_S2_S2_S2_S2_21rocsparse_index_base_PKT0_PKT1_PKS2_S3_PS4_PS7_PS2_SD_SE_SC_ ; -- Begin function _ZN9rocsparseL21csr2bsr_65_inf_kernelILj32EdliEEv20rocsparse_direction_T2_S2_S2_S2_S2_S2_21rocsparse_index_base_PKT0_PKT1_PKS2_S3_PS4_PS7_PS2_SD_SE_SC_
	.p2align	8
	.type	_ZN9rocsparseL21csr2bsr_65_inf_kernelILj32EdliEEv20rocsparse_direction_T2_S2_S2_S2_S2_S2_21rocsparse_index_base_PKT0_PKT1_PKS2_S3_PS4_PS7_PS2_SD_SE_SC_,@function
_ZN9rocsparseL21csr2bsr_65_inf_kernelILj32EdliEEv20rocsparse_direction_T2_S2_S2_S2_S2_S2_21rocsparse_index_base_PKT0_PKT1_PKS2_S3_PS4_PS7_PS2_SD_SE_SC_: ; @_ZN9rocsparseL21csr2bsr_65_inf_kernelILj32EdliEEv20rocsparse_direction_T2_S2_S2_S2_S2_S2_21rocsparse_index_base_PKT0_PKT1_PKS2_S3_PS4_PS7_PS2_SD_SE_SC_
; %bb.0:
	s_load_dwordx4 s[8:11], s[0:1], 0x0
	s_load_dwordx2 s[4:5], s[0:1], 0x58
	s_load_dword s33, s[0:1], 0x38
	s_mov_b32 s21, 0
	s_waitcnt lgkmcnt(0)
	s_cmp_ge_i32 s2, s11
	s_mov_b32 s11, 0
	s_cbranch_scc1 .LBB125_2
; %bb.1:
	s_load_dwordx2 s[6:7], s[0:1], 0x48
	s_ashr_i32 s3, s2, 31
	s_lshl_b64 s[12:13], s[2:3], 3
	s_waitcnt lgkmcnt(0)
	s_add_u32 s6, s6, s12
	s_addc_u32 s7, s7, s13
	s_load_dword s3, s[6:7], 0x0
	s_waitcnt lgkmcnt(0)
	s_sub_i32 s11, s3, s33
.LBB125_2:
	s_load_dwordx4 s[12:15], s[0:1], 0x14
	s_waitcnt lgkmcnt(0)
	s_mul_i32 s3, s2, s13
	s_lshl_b32 s20, s3, 6
	s_lshl_b64 s[6:7], s[20:21], 3
	s_add_u32 s22, s4, s6
	v_mul_lo_u32 v6, v0, s13
	s_addc_u32 s23, s5, s7
	s_lshl_b32 s20, s13, 5
	v_ashrrev_i32_e32 v7, 31, v6
	s_cmp_gt_i32 s13, 0
	s_cselect_b64 s[24:25], -1, 0
	s_cmp_lt_i32 s13, 1
	v_lshl_add_u64 v[2:3], v[6:7], 3, s[22:23]
	s_cbranch_scc1 .LBB125_7
; %bb.3:
	s_load_dwordx2 s[6:7], s[0:1], 0x28
	s_mov_b32 s15, 0
	s_mov_b32 s4, s15
	;; [unrolled: 1-line block ×3, first 2 shown]
	s_mul_i32 s3, s2, s12
	s_lshl_b64 s[16:17], s[20:21], 3
	v_mov_b64_e32 v[4:5], s[4:5]
	v_mov_b32_e32 v1, v0
	v_mov_b64_e32 v[8:9], v[2:3]
	s_mov_b32 s18, s13
	s_branch .LBB125_5
.LBB125_4:                              ;   in Loop: Header=BB125_5 Depth=1
	s_or_b64 exec, exec, s[4:5]
	s_add_i32 s18, s18, -1
	v_lshl_add_u64 v[8:9], v[8:9], 0, 8
	s_cmp_eq_u32 s18, 0
	v_add_u32_e32 v1, 32, v1
	s_cbranch_scc1 .LBB125_7
.LBB125_5:                              ; =>This Inner Loop Header: Depth=1
	v_add_u32_e32 v12, s3, v1
	v_cmp_gt_i32_e32 vcc, s9, v12
	v_cmp_gt_u32_e64 s[4:5], s12, v1
	v_lshl_add_u64 v[10:11], v[8:9], 0, s[16:17]
	s_and_b64 s[26:27], s[4:5], vcc
	global_store_dwordx2 v[8:9], v[4:5], off
	global_store_dwordx2 v[10:11], v[4:5], off
	s_and_saveexec_b64 s[4:5], s[26:27]
	s_cbranch_execz .LBB125_4
; %bb.6:                                ;   in Loop: Header=BB125_5 Depth=1
	v_ashrrev_i32_e32 v13, 31, v12
	s_waitcnt lgkmcnt(0)
	v_lshl_add_u64 v[12:13], v[12:13], 3, s[6:7]
	global_load_dwordx4 v[12:15], v[12:13], off
	v_mov_b32_e32 v16, s15
	s_waitcnt vmcnt(0)
	v_subrev_co_u32_e32 v12, vcc, s14, v12
	s_nop 1
	v_subb_co_u32_e32 v13, vcc, v13, v16, vcc
	v_subrev_co_u32_e32 v14, vcc, s14, v14
	s_nop 1
	v_subb_co_u32_e32 v15, vcc, v15, v16, vcc
	global_store_dwordx2 v[8:9], v[12:13], off
	global_store_dwordx2 v[10:11], v[14:15], off
	s_branch .LBB125_4
.LBB125_7:
	s_cmp_lt_i32 s10, 1
	s_cbranch_scc1 .LBB125_37
; %bb.8:
	s_load_dwordx4 s[28:31], s[0:1], 0x60
	s_load_dwordx2 s[4:5], s[0:1], 0x20
	s_waitcnt lgkmcnt(0)
	s_load_dwordx2 s[6:7], s[0:1], 0x50
	s_load_dwordx2 s[16:17], s[0:1], 0x40
	;; [unrolled: 1-line block ×3, first 2 shown]
	s_lshl_b64 s[0:1], s[20:21], 3
	s_add_u32 s0, s22, s0
	s_addc_u32 s1, s23, s1
	v_lshlrev_b64 v[8:9], 3, v[6:7]
	s_mul_i32 s20, s20, s2
	s_mov_b32 s21, 0
	v_lshl_add_u64 v[4:5], s[0:1], 0, v[8:9]
	s_lshl_b64 s[0:1], s[20:21], 2
	s_add_u32 s0, s28, s0
	s_addc_u32 s1, s29, s1
	v_lshl_add_u64 v[6:7], v[6:7], 2, s[0:1]
	s_lshl_b64 s[0:1], s[20:21], 3
	s_add_u32 s0, s30, s0
	s_addc_u32 s1, s31, s1
	s_cmp_lg_u32 s8, 0
	s_cselect_b64 s[8:9], -1, 0
	s_abs_i32 s15, s12
	v_cvt_f32_u32_e32 v1, s15
	v_mbcnt_lo_u32_b32 v11, -1, 0
	v_mbcnt_hi_u32_b32 v11, -1, v11
	v_mov_b32_e32 v12, 0x7c
	v_rcp_iflag_f32_e32 v13, v1
	v_lshl_or_b32 v1, v11, 2, v12
	s_sub_i32 s2, 0, s15
	v_lshl_add_u64 v[8:9], s[0:1], 0, v[8:9]
	v_mul_f32_e32 v11, 0x4f7ffffe, v13
	v_cvt_u32_f32_e32 v11, v11
	v_cmp_eq_u32_e64 s[0:1], 31, v0
	v_mov_b32_e32 v10, 0
	s_add_i32 s38, s11, -1
	v_mul_lo_u32 v12, s2, v11
	v_mul_hi_u32 v12, v11, v12
	v_add_u32_e32 v28, v11, v12
	v_cndmask_b32_e64 v11, 0, 1, s[24:25]
	s_mul_hi_i32 s39, s12, s12
	s_mul_i32 s40, s12, s12
	s_ashr_i32 s41, s12, 31
	v_mul_lo_u32 v29, v0, s12
	s_lshl_b32 s42, s12, 5
	s_mov_b64 s[22:23], 0
	v_cmp_ne_u32_e64 s[2:3], 1, v11
	v_mov_b32_e32 v13, 0
	v_mov_b32_e32 v12, 0
	;; [unrolled: 1-line block ×4, first 2 shown]
	s_branch .LBB125_10
.LBB125_9:                              ;   in Loop: Header=BB125_10 Depth=1
	s_waitcnt lgkmcnt(0)
	v_add_u32_e32 v12, 1, v11
	v_cmp_le_i32_e32 vcc, s10, v12
	s_or_b64 s[22:23], vcc, s[22:23]
	s_andn2_b64 exec, exec, s[22:23]
	s_cbranch_execz .LBB125_37
.LBB125_10:                             ; =>This Loop Header: Depth=1
                                        ;     Child Loop BB125_14 Depth 2
                                        ;       Child Loop BB125_17 Depth 3
                                        ;     Child Loop BB125_31 Depth 2
	s_and_b64 vcc, exec, s[2:3]
	v_mov_b32_e32 v32, s10
	s_cbranch_vccnz .LBB125_23
; %bb.11:                               ;   in Loop: Header=BB125_10 Depth=1
	s_mov_b32 s20, 0
	v_mov_b32_e32 v32, s10
	s_branch .LBB125_14
.LBB125_12:                             ;   in Loop: Header=BB125_14 Depth=2
	s_or_b64 exec, exec, s[26:27]
.LBB125_13:                             ;   in Loop: Header=BB125_14 Depth=2
	s_or_b64 exec, exec, s[24:25]
	s_add_i32 s20, s20, 1
	s_cmp_eq_u32 s20, s13
	s_cbranch_scc1 .LBB125_23
.LBB125_14:                             ;   Parent Loop BB125_10 Depth=1
                                        ; =>  This Loop Header: Depth=2
                                        ;       Child Loop BB125_17 Depth 3
	s_lshl_b64 s[24:25], s[20:21], 3
	v_lshl_add_u64 v[14:15], v[2:3], 0, s[24:25]
	v_lshl_add_u64 v[16:17], v[4:5], 0, s[24:25]
	global_load_dwordx2 v[24:25], v[14:15], off
	global_load_dwordx2 v[22:23], v[16:17], off
	v_lshl_add_u64 v[16:17], v[8:9], 0, s[24:25]
	v_mov_b32_e32 v11, v10
	global_store_dwordx2 v[16:17], v[10:11], off
	v_lshl_add_u64 v[18:19], s[20:21], 2, v[6:7]
	v_mov_b32_e32 v11, s10
	global_store_dword v[18:19], v11, off
	s_waitcnt vmcnt(2)
	v_cmp_lt_i64_e32 vcc, v[24:25], v[22:23]
	s_and_saveexec_b64 s[24:25], vcc
	s_cbranch_execz .LBB125_13
; %bb.15:                               ;   in Loop: Header=BB125_14 Depth=2
	s_waitcnt lgkmcnt(0)
	v_lshl_add_u64 v[26:27], v[24:25], 2, s[18:19]
	s_mov_b64 s[26:27], 0
                                        ; implicit-def: $sgpr28_sgpr29
                                        ; implicit-def: $sgpr34_sgpr35
                                        ; implicit-def: $sgpr30_sgpr31
	s_branch .LBB125_17
.LBB125_16:                             ;   in Loop: Header=BB125_17 Depth=3
	s_or_b64 exec, exec, s[36:37]
	s_and_b64 s[36:37], exec, s[34:35]
	s_or_b64 s[26:27], s[36:37], s[26:27]
	s_andn2_b64 s[28:29], s[28:29], exec
	s_and_b64 s[36:37], s[30:31], exec
	s_or_b64 s[28:29], s[28:29], s[36:37]
	s_andn2_b64 exec, exec, s[26:27]
	s_cbranch_execz .LBB125_19
.LBB125_17:                             ;   Parent Loop BB125_10 Depth=1
                                        ;     Parent Loop BB125_14 Depth=2
                                        ; =>    This Inner Loop Header: Depth=3
	global_load_dword v11, v[26:27], off
	v_mov_b64_e32 v[20:21], v[24:25]
	s_or_b64 s[30:31], s[30:31], exec
	s_or_b64 s[34:35], s[34:35], exec
                                        ; implicit-def: $vgpr24_vgpr25
	s_waitcnt vmcnt(0)
	v_subrev_u32_e32 v11, s14, v11
	v_cmp_lt_i32_e32 vcc, v11, v12
	s_and_saveexec_b64 s[36:37], vcc
	s_cbranch_execz .LBB125_16
; %bb.18:                               ;   in Loop: Header=BB125_17 Depth=3
	v_lshl_add_u64 v[24:25], v[20:21], 0, 1
	v_cmp_ge_i64_e32 vcc, v[24:25], v[22:23]
	s_andn2_b64 s[34:35], s[34:35], exec
	s_and_b64 s[44:45], vcc, exec
	v_lshl_add_u64 v[26:27], v[26:27], 0, 4
	s_andn2_b64 s[30:31], s[30:31], exec
	s_or_b64 s[34:35], s[34:35], s[44:45]
	s_branch .LBB125_16
.LBB125_19:                             ;   in Loop: Header=BB125_14 Depth=2
	s_or_b64 exec, exec, s[26:27]
	s_xor_b64 s[26:27], s[28:29], -1
	v_lshl_add_u64 v[22:23], v[20:21], 3, s[4:5]
	s_and_saveexec_b64 s[28:29], s[26:27]
	s_xor_b64 s[26:27], exec, s[28:29]
	s_cbranch_execz .LBB125_21
; %bb.20:                               ;   in Loop: Header=BB125_14 Depth=2
	global_load_dwordx2 v[14:15], v[22:23], off
                                        ; implicit-def: $vgpr22_vgpr23
	s_waitcnt vmcnt(0)
	global_store_dwordx2 v[16:17], v[14:15], off
	global_store_dword v[18:19], v11, off
                                        ; implicit-def: $vgpr16_vgpr17
                                        ; implicit-def: $vgpr18_vgpr19
                                        ; implicit-def: $vgpr14_vgpr15
.LBB125_21:                             ;   in Loop: Header=BB125_14 Depth=2
	s_andn2_saveexec_b64 s[26:27], s[26:27]
	s_cbranch_execz .LBB125_12
; %bb.22:                               ;   in Loop: Header=BB125_14 Depth=2
	global_load_dwordx2 v[22:23], v[22:23], off
	v_min_i32_e32 v32, v11, v32
	global_store_dword v[18:19], v11, off
	s_waitcnt vmcnt(1)
	global_store_dwordx2 v[16:17], v[22:23], off
	global_store_dwordx2 v[14:15], v[20:21], off
	s_branch .LBB125_12
.LBB125_23:                             ;   in Loop: Header=BB125_10 Depth=1
	s_nop 0
	v_mov_b32_dpp v11, v32 row_shr:1 row_mask:0xf bank_mask:0xf
	v_min_i32_e32 v11, v11, v32
	s_nop 1
	v_mov_b32_dpp v12, v11 row_shr:2 row_mask:0xf bank_mask:0xf
	v_min_i32_e32 v11, v12, v11
	;; [unrolled: 3-line block ×4, first 2 shown]
	s_nop 1
	v_mov_b32_dpp v12, v11 row_bcast:15 row_mask:0xa bank_mask:0xf
	v_min_i32_e32 v11, v12, v11
	v_cmp_gt_i32_e32 vcc, s10, v11
	s_and_b64 s[26:27], s[0:1], vcc
	s_and_saveexec_b64 s[24:25], s[26:27]
	s_cbranch_execz .LBB125_27
; %bb.24:                               ;   in Loop: Header=BB125_10 Depth=1
	v_sub_u32_e32 v14, 0, v11
	v_max_i32_e32 v14, v11, v14
	v_mul_hi_u32 v15, v14, v28
	v_mul_lo_u32 v16, v15, s15
	v_sub_u32_e32 v14, v14, v16
	v_add_u32_e32 v16, 1, v15
	v_cmp_le_u32_e32 vcc, s15, v14
	v_ashrrev_i32_e32 v12, 31, v11
	v_xor_b32_e32 v12, s41, v12
	v_cndmask_b32_e32 v15, v15, v16, vcc
	v_subrev_u32_e32 v16, s15, v14
	v_cndmask_b32_e32 v14, v14, v16, vcc
	v_add_u32_e32 v16, 1, v15
	v_cmp_le_u32_e32 vcc, s15, v14
	s_nop 1
	v_cndmask_b32_e32 v14, v15, v16, vcc
	v_xor_b32_e32 v14, v14, v12
	v_sub_u32_e32 v12, v14, v12
	v_cmp_ge_i32_e32 vcc, v12, v30
	s_and_saveexec_b64 s[26:27], vcc
	s_cbranch_execz .LBB125_26
; %bb.25:                               ;   in Loop: Header=BB125_10 Depth=1
	v_add_u32_e32 v14, s11, v31
	v_add_u32_e32 v16, 1, v31
	v_ashrrev_i32_e32 v15, 31, v14
	v_add_u32_e32 v30, 1, v12
	s_waitcnt lgkmcnt(0)
	v_lshl_add_u64 v[14:15], v[14:15], 2, s[6:7]
	v_add_u32_e32 v12, s33, v12
	v_mov_b32_e32 v31, v16
	global_store_dword v[14:15], v12, off
.LBB125_26:                             ;   in Loop: Header=BB125_10 Depth=1
	s_or_b64 exec, exec, s[26:27]
.LBB125_27:                             ;   in Loop: Header=BB125_10 Depth=1
	s_or_b64 exec, exec, s[24:25]
	ds_bpermute_b32 v11, v1, v11
	ds_bpermute_b32 v31, v1, v31
	s_and_b64 vcc, exec, s[2:3]
	s_cbranch_vccnz .LBB125_9
; %bb.28:                               ;   in Loop: Header=BB125_10 Depth=1
	s_waitcnt lgkmcnt(0)
	v_add_u32_e32 v12, s38, v31
	v_ashrrev_i32_e32 v14, 31, v12
	v_mul_lo_u32 v16, s40, v14
	v_mul_lo_u32 v17, s39, v12
	v_mad_u64_u32 v[14:15], s[24:25], s40, v12, 0
	v_add3_u32 v15, v15, v16, v17
	v_sub_u32_e32 v16, 0, v11
	v_max_i32_e32 v16, v11, v16
	v_mul_hi_u32 v17, v16, v28
	v_mul_lo_u32 v18, v17, s15
	v_sub_u32_e32 v16, v16, v18
	v_add_u32_e32 v18, 1, v17
	v_cmp_le_u32_e32 vcc, s15, v16
	v_ashrrev_i32_e32 v12, 31, v11
	v_xor_b32_e32 v12, s41, v12
	v_cndmask_b32_e32 v17, v17, v18, vcc
	v_subrev_u32_e32 v18, s15, v16
	v_cndmask_b32_e32 v16, v16, v18, vcc
	v_add_u32_e32 v18, 1, v17
	v_cmp_le_u32_e32 vcc, s15, v16
	v_lshl_add_u64 v[14:15], v[14:15], 3, s[16:17]
	s_mov_b32 s20, s13
	v_cndmask_b32_e32 v16, v17, v18, vcc
	v_xor_b32_e32 v16, v16, v12
	v_sub_u32_e32 v32, v16, v12
	v_mov_b64_e32 v[16:17], v[8:9]
	v_mov_b64_e32 v[18:19], v[6:7]
	v_mov_b32_e32 v20, v0
	v_mov_b32_e32 v12, v29
	s_branch .LBB125_31
.LBB125_29:                             ;   in Loop: Header=BB125_31 Depth=2
	v_lshl_add_u64 v[24:25], v[24:25], 3, v[14:15]
	v_lshl_add_u64 v[24:25], v[26:27], 3, v[24:25]
	s_waitcnt vmcnt(0)
	global_store_dwordx2 v[24:25], v[22:23], off
.LBB125_30:                             ;   in Loop: Header=BB125_31 Depth=2
	s_or_b64 exec, exec, s[24:25]
	s_add_i32 s20, s20, -1
	v_add_u32_e32 v12, s42, v12
	v_add_u32_e32 v20, 32, v20
	v_lshl_add_u64 v[18:19], v[18:19], 0, 4
	s_cmp_eq_u32 s20, 0
	v_lshl_add_u64 v[16:17], v[16:17], 0, 8
	s_cbranch_scc1 .LBB125_9
.LBB125_31:                             ;   Parent Loop BB125_10 Depth=1
                                        ; =>  This Inner Loop Header: Depth=2
	global_load_dword v21, v[18:19], off
	s_waitcnt vmcnt(0)
	v_cmp_gt_i32_e32 vcc, s10, v21
	s_and_saveexec_b64 s[24:25], vcc
	s_cbranch_execz .LBB125_30
; %bb.32:                               ;   in Loop: Header=BB125_31 Depth=2
	v_sub_u32_e32 v23, 0, v21
	v_max_i32_e32 v23, v21, v23
	v_mul_hi_u32 v24, v23, v28
	v_mul_lo_u32 v25, v24, s15
	v_sub_u32_e32 v34, v23, v25
	v_add_u32_e32 v23, 1, v24
	v_cmp_le_u32_e32 vcc, s15, v34
	v_subrev_u32_e32 v35, s15, v34
	v_ashrrev_i32_e32 v33, 31, v21
	v_cndmask_b32_e32 v23, v24, v23, vcc
	v_cndmask_b32_e32 v24, v34, v35, vcc
	v_add_u32_e32 v25, 1, v23
	v_cmp_le_u32_e32 vcc, s15, v24
	v_xor_b32_e32 v22, s41, v33
	s_nop 0
	v_cndmask_b32_e32 v23, v23, v25, vcc
	v_xor_b32_e32 v23, v23, v22
	v_sub_u32_e32 v22, v23, v22
	v_cmp_eq_u32_e32 vcc, v22, v32
	s_and_b64 exec, exec, vcc
	s_cbranch_execz .LBB125_30
; %bb.33:                               ;   in Loop: Header=BB125_31 Depth=2
	global_load_dwordx2 v[22:23], v[16:17], off
	s_and_b64 vcc, exec, s[8:9]
	s_cbranch_vccz .LBB125_35
; %bb.34:                               ;   in Loop: Header=BB125_31 Depth=2
	v_mul_lo_u32 v24, v32, s12
	v_sub_u32_e32 v21, v21, v24
	v_mul_lo_u32 v24, v21, s12
	v_mov_b32_e32 v21, v13
	v_ashrrev_i32_e32 v25, 31, v24
	v_mov_b64_e32 v[26:27], v[20:21]
	s_cbranch_execnz .LBB125_29
	s_branch .LBB125_36
.LBB125_35:                             ;   in Loop: Header=BB125_31 Depth=2
                                        ; implicit-def: $vgpr26_vgpr27
                                        ; implicit-def: $vgpr24_vgpr25
.LBB125_36:                             ;   in Loop: Header=BB125_31 Depth=2
	v_cmp_le_u32_e32 vcc, s15, v34
	s_nop 1
	v_cndmask_b32_e32 v21, v34, v35, vcc
	v_subrev_u32_e32 v24, s15, v21
	v_cmp_le_u32_e32 vcc, s15, v21
	s_nop 1
	v_cndmask_b32_e32 v21, v21, v24, vcc
	v_xor_b32_e32 v21, v21, v33
	v_sub_u32_e32 v26, v21, v33
	v_ashrrev_i32_e32 v27, 31, v26
	v_mov_b64_e32 v[24:25], v[12:13]
	s_branch .LBB125_29
.LBB125_37:
	s_endpgm
	.section	.rodata,"a",@progbits
	.p2align	6, 0x0
	.amdhsa_kernel _ZN9rocsparseL21csr2bsr_65_inf_kernelILj32EdliEEv20rocsparse_direction_T2_S2_S2_S2_S2_S2_21rocsparse_index_base_PKT0_PKT1_PKS2_S3_PS4_PS7_PS2_SD_SE_SC_
		.amdhsa_group_segment_fixed_size 0
		.amdhsa_private_segment_fixed_size 0
		.amdhsa_kernarg_size 112
		.amdhsa_user_sgpr_count 2
		.amdhsa_user_sgpr_dispatch_ptr 0
		.amdhsa_user_sgpr_queue_ptr 0
		.amdhsa_user_sgpr_kernarg_segment_ptr 1
		.amdhsa_user_sgpr_dispatch_id 0
		.amdhsa_user_sgpr_kernarg_preload_length 0
		.amdhsa_user_sgpr_kernarg_preload_offset 0
		.amdhsa_user_sgpr_private_segment_size 0
		.amdhsa_uses_dynamic_stack 0
		.amdhsa_enable_private_segment 0
		.amdhsa_system_sgpr_workgroup_id_x 1
		.amdhsa_system_sgpr_workgroup_id_y 0
		.amdhsa_system_sgpr_workgroup_id_z 0
		.amdhsa_system_sgpr_workgroup_info 0
		.amdhsa_system_vgpr_workitem_id 0
		.amdhsa_next_free_vgpr 36
		.amdhsa_next_free_sgpr 46
		.amdhsa_accum_offset 36
		.amdhsa_reserve_vcc 1
		.amdhsa_float_round_mode_32 0
		.amdhsa_float_round_mode_16_64 0
		.amdhsa_float_denorm_mode_32 3
		.amdhsa_float_denorm_mode_16_64 3
		.amdhsa_dx10_clamp 1
		.amdhsa_ieee_mode 1
		.amdhsa_fp16_overflow 0
		.amdhsa_tg_split 0
		.amdhsa_exception_fp_ieee_invalid_op 0
		.amdhsa_exception_fp_denorm_src 0
		.amdhsa_exception_fp_ieee_div_zero 0
		.amdhsa_exception_fp_ieee_overflow 0
		.amdhsa_exception_fp_ieee_underflow 0
		.amdhsa_exception_fp_ieee_inexact 0
		.amdhsa_exception_int_div_zero 0
	.end_amdhsa_kernel
	.section	.text._ZN9rocsparseL21csr2bsr_65_inf_kernelILj32EdliEEv20rocsparse_direction_T2_S2_S2_S2_S2_S2_21rocsparse_index_base_PKT0_PKT1_PKS2_S3_PS4_PS7_PS2_SD_SE_SC_,"axG",@progbits,_ZN9rocsparseL21csr2bsr_65_inf_kernelILj32EdliEEv20rocsparse_direction_T2_S2_S2_S2_S2_S2_21rocsparse_index_base_PKT0_PKT1_PKS2_S3_PS4_PS7_PS2_SD_SE_SC_,comdat
.Lfunc_end125:
	.size	_ZN9rocsparseL21csr2bsr_65_inf_kernelILj32EdliEEv20rocsparse_direction_T2_S2_S2_S2_S2_S2_21rocsparse_index_base_PKT0_PKT1_PKS2_S3_PS4_PS7_PS2_SD_SE_SC_, .Lfunc_end125-_ZN9rocsparseL21csr2bsr_65_inf_kernelILj32EdliEEv20rocsparse_direction_T2_S2_S2_S2_S2_S2_21rocsparse_index_base_PKT0_PKT1_PKS2_S3_PS4_PS7_PS2_SD_SE_SC_
                                        ; -- End function
	.section	.AMDGPU.csdata,"",@progbits
; Kernel info:
; codeLenInByte = 1768
; NumSgprs: 52
; NumVgprs: 36
; NumAgprs: 0
; TotalNumVgprs: 36
; ScratchSize: 0
; MemoryBound: 0
; FloatMode: 240
; IeeeMode: 1
; LDSByteSize: 0 bytes/workgroup (compile time only)
; SGPRBlocks: 6
; VGPRBlocks: 4
; NumSGPRsForWavesPerEU: 52
; NumVGPRsForWavesPerEU: 36
; AccumOffset: 36
; Occupancy: 8
; WaveLimiterHint : 0
; COMPUTE_PGM_RSRC2:SCRATCH_EN: 0
; COMPUTE_PGM_RSRC2:USER_SGPR: 2
; COMPUTE_PGM_RSRC2:TRAP_HANDLER: 0
; COMPUTE_PGM_RSRC2:TGID_X_EN: 1
; COMPUTE_PGM_RSRC2:TGID_Y_EN: 0
; COMPUTE_PGM_RSRC2:TGID_Z_EN: 0
; COMPUTE_PGM_RSRC2:TIDIG_COMP_CNT: 0
; COMPUTE_PGM_RSRC3_GFX90A:ACCUM_OFFSET: 8
; COMPUTE_PGM_RSRC3_GFX90A:TG_SPLIT: 0
	.section	.text._ZN9rocsparseL35csr2bsr_block_dim_equals_one_kernelILj256EdilEEvT2_S1_S1_S1_21rocsparse_index_base_PKT0_PKT1_PKS1_S2_PS3_PS6_PS1_,"axG",@progbits,_ZN9rocsparseL35csr2bsr_block_dim_equals_one_kernelILj256EdilEEvT2_S1_S1_S1_21rocsparse_index_base_PKT0_PKT1_PKS1_S2_PS3_PS6_PS1_,comdat
	.globl	_ZN9rocsparseL35csr2bsr_block_dim_equals_one_kernelILj256EdilEEvT2_S1_S1_S1_21rocsparse_index_base_PKT0_PKT1_PKS1_S2_PS3_PS6_PS1_ ; -- Begin function _ZN9rocsparseL35csr2bsr_block_dim_equals_one_kernelILj256EdilEEvT2_S1_S1_S1_21rocsparse_index_base_PKT0_PKT1_PKS1_S2_PS3_PS6_PS1_
	.p2align	8
	.type	_ZN9rocsparseL35csr2bsr_block_dim_equals_one_kernelILj256EdilEEvT2_S1_S1_S1_21rocsparse_index_base_PKT0_PKT1_PKS1_S2_PS3_PS6_PS1_,@function
_ZN9rocsparseL35csr2bsr_block_dim_equals_one_kernelILj256EdilEEvT2_S1_S1_S1_21rocsparse_index_base_PKT0_PKT1_PKS1_S2_PS3_PS6_PS1_: ; @_ZN9rocsparseL35csr2bsr_block_dim_equals_one_kernelILj256EdilEEvT2_S1_S1_S1_21rocsparse_index_base_PKT0_PKT1_PKS1_S2_PS3_PS6_PS1_
; %bb.0:
	s_load_dwordx2 s[8:9], s[0:1], 0x0
	s_load_dwordx4 s[4:7], s[0:1], 0x28
	v_lshl_or_b32 v0, s2, 8, v0
	s_waitcnt lgkmcnt(0)
	s_lshl_b64 s[8:9], s[8:9], 2
	s_add_u32 s8, s6, s8
	s_addc_u32 s9, s7, s9
	s_load_dword s3, s[8:9], 0x0
	s_load_dword s10, s[6:7], 0x0
	s_waitcnt lgkmcnt(0)
	s_sub_i32 s12, s3, s10
	v_cmp_gt_i32_e32 vcc, s12, v0
	s_and_saveexec_b64 s[2:3], vcc
	s_cbranch_execz .LBB126_3
; %bb.1:
	s_load_dword s10, s[0:1], 0x40
	s_load_dwordx2 s[2:3], s[0:1], 0x48
	s_load_dword s11, s[0:1], 0x20
	s_load_dword s13, s[0:1], 0x60
	s_load_dwordx2 s[6:7], s[0:1], 0x38
	s_load_dwordx2 s[8:9], s[0:1], 0x58
	s_waitcnt lgkmcnt(0)
	s_sub_u32 s0, s10, s11
	s_subb_u32 s1, 0, 0
	s_lshl_b32 s13, s13, 8
	s_mov_b64 s[10:11], 0
.LBB126_2:                              ; =>This Inner Loop Header: Depth=1
	v_ashrrev_i32_e32 v1, 31, v0
	v_lshlrev_b64 v[2:3], 3, v[0:1]
	v_lshl_add_u64 v[4:5], s[6:7], 0, v[2:3]
	global_load_dwordx2 v[4:5], v[4:5], off
	v_lshl_add_u64 v[6:7], s[4:5], 0, v[2:3]
	global_load_dwordx2 v[6:7], v[6:7], off
	v_add_u32_e32 v0, s13, v0
	v_cmp_le_i32_e32 vcc, s12, v0
	v_lshl_add_u64 v[8:9], s[8:9], 0, v[2:3]
	s_or_b64 s[10:11], vcc, s[10:11]
	v_lshl_add_u64 v[2:3], s[2:3], 0, v[2:3]
	s_waitcnt vmcnt(1)
	v_lshl_add_u64 v[4:5], s[0:1], 0, v[4:5]
	global_store_dwordx2 v[8:9], v[4:5], off
	s_waitcnt vmcnt(1)
	global_store_dwordx2 v[2:3], v[6:7], off
	s_andn2_b64 exec, exec, s[10:11]
	s_cbranch_execnz .LBB126_2
.LBB126_3:
	s_endpgm
	.section	.rodata,"a",@progbits
	.p2align	6, 0x0
	.amdhsa_kernel _ZN9rocsparseL35csr2bsr_block_dim_equals_one_kernelILj256EdilEEvT2_S1_S1_S1_21rocsparse_index_base_PKT0_PKT1_PKS1_S2_PS3_PS6_PS1_
		.amdhsa_group_segment_fixed_size 0
		.amdhsa_private_segment_fixed_size 0
		.amdhsa_kernarg_size 352
		.amdhsa_user_sgpr_count 2
		.amdhsa_user_sgpr_dispatch_ptr 0
		.amdhsa_user_sgpr_queue_ptr 0
		.amdhsa_user_sgpr_kernarg_segment_ptr 1
		.amdhsa_user_sgpr_dispatch_id 0
		.amdhsa_user_sgpr_kernarg_preload_length 0
		.amdhsa_user_sgpr_kernarg_preload_offset 0
		.amdhsa_user_sgpr_private_segment_size 0
		.amdhsa_uses_dynamic_stack 0
		.amdhsa_enable_private_segment 0
		.amdhsa_system_sgpr_workgroup_id_x 1
		.amdhsa_system_sgpr_workgroup_id_y 0
		.amdhsa_system_sgpr_workgroup_id_z 0
		.amdhsa_system_sgpr_workgroup_info 0
		.amdhsa_system_vgpr_workitem_id 0
		.amdhsa_next_free_vgpr 10
		.amdhsa_next_free_sgpr 14
		.amdhsa_accum_offset 12
		.amdhsa_reserve_vcc 1
		.amdhsa_float_round_mode_32 0
		.amdhsa_float_round_mode_16_64 0
		.amdhsa_float_denorm_mode_32 3
		.amdhsa_float_denorm_mode_16_64 3
		.amdhsa_dx10_clamp 1
		.amdhsa_ieee_mode 1
		.amdhsa_fp16_overflow 0
		.amdhsa_tg_split 0
		.amdhsa_exception_fp_ieee_invalid_op 0
		.amdhsa_exception_fp_denorm_src 0
		.amdhsa_exception_fp_ieee_div_zero 0
		.amdhsa_exception_fp_ieee_overflow 0
		.amdhsa_exception_fp_ieee_underflow 0
		.amdhsa_exception_fp_ieee_inexact 0
		.amdhsa_exception_int_div_zero 0
	.end_amdhsa_kernel
	.section	.text._ZN9rocsparseL35csr2bsr_block_dim_equals_one_kernelILj256EdilEEvT2_S1_S1_S1_21rocsparse_index_base_PKT0_PKT1_PKS1_S2_PS3_PS6_PS1_,"axG",@progbits,_ZN9rocsparseL35csr2bsr_block_dim_equals_one_kernelILj256EdilEEvT2_S1_S1_S1_21rocsparse_index_base_PKT0_PKT1_PKS1_S2_PS3_PS6_PS1_,comdat
.Lfunc_end126:
	.size	_ZN9rocsparseL35csr2bsr_block_dim_equals_one_kernelILj256EdilEEvT2_S1_S1_S1_21rocsparse_index_base_PKT0_PKT1_PKS1_S2_PS3_PS6_PS1_, .Lfunc_end126-_ZN9rocsparseL35csr2bsr_block_dim_equals_one_kernelILj256EdilEEvT2_S1_S1_S1_21rocsparse_index_base_PKT0_PKT1_PKS1_S2_PS3_PS6_PS1_
                                        ; -- End function
	.section	.AMDGPU.csdata,"",@progbits
; Kernel info:
; codeLenInByte = 260
; NumSgprs: 20
; NumVgprs: 10
; NumAgprs: 0
; TotalNumVgprs: 10
; ScratchSize: 0
; MemoryBound: 0
; FloatMode: 240
; IeeeMode: 1
; LDSByteSize: 0 bytes/workgroup (compile time only)
; SGPRBlocks: 2
; VGPRBlocks: 1
; NumSGPRsForWavesPerEU: 20
; NumVGPRsForWavesPerEU: 10
; AccumOffset: 12
; Occupancy: 8
; WaveLimiterHint : 0
; COMPUTE_PGM_RSRC2:SCRATCH_EN: 0
; COMPUTE_PGM_RSRC2:USER_SGPR: 2
; COMPUTE_PGM_RSRC2:TRAP_HANDLER: 0
; COMPUTE_PGM_RSRC2:TGID_X_EN: 1
; COMPUTE_PGM_RSRC2:TGID_Y_EN: 0
; COMPUTE_PGM_RSRC2:TGID_Z_EN: 0
; COMPUTE_PGM_RSRC2:TIDIG_COMP_CNT: 0
; COMPUTE_PGM_RSRC3_GFX90A:ACCUM_OFFSET: 2
; COMPUTE_PGM_RSRC3_GFX90A:TG_SPLIT: 0
	.section	.text._ZN9rocsparseL42csr2bsr_wavefront_per_row_multipass_kernelILj256ELj16ELj4EdilEEv20rocsparse_direction_T4_S2_S2_S2_S2_21rocsparse_index_base_PKT2_PKT3_PKS2_S3_PS4_PS7_PS2_,"axG",@progbits,_ZN9rocsparseL42csr2bsr_wavefront_per_row_multipass_kernelILj256ELj16ELj4EdilEEv20rocsparse_direction_T4_S2_S2_S2_S2_21rocsparse_index_base_PKT2_PKT3_PKS2_S3_PS4_PS7_PS2_,comdat
	.globl	_ZN9rocsparseL42csr2bsr_wavefront_per_row_multipass_kernelILj256ELj16ELj4EdilEEv20rocsparse_direction_T4_S2_S2_S2_S2_21rocsparse_index_base_PKT2_PKT3_PKS2_S3_PS4_PS7_PS2_ ; -- Begin function _ZN9rocsparseL42csr2bsr_wavefront_per_row_multipass_kernelILj256ELj16ELj4EdilEEv20rocsparse_direction_T4_S2_S2_S2_S2_21rocsparse_index_base_PKT2_PKT3_PKS2_S3_PS4_PS7_PS2_
	.p2align	8
	.type	_ZN9rocsparseL42csr2bsr_wavefront_per_row_multipass_kernelILj256ELj16ELj4EdilEEv20rocsparse_direction_T4_S2_S2_S2_S2_21rocsparse_index_base_PKT2_PKT3_PKS2_S3_PS4_PS7_PS2_,@function
_ZN9rocsparseL42csr2bsr_wavefront_per_row_multipass_kernelILj256ELj16ELj4EdilEEv20rocsparse_direction_T4_S2_S2_S2_S2_21rocsparse_index_base_PKT2_PKT3_PKS2_S3_PS4_PS7_PS2_: ; @_ZN9rocsparseL42csr2bsr_wavefront_per_row_multipass_kernelILj256ELj16ELj4EdilEEv20rocsparse_direction_T4_S2_S2_S2_S2_21rocsparse_index_base_PKT2_PKT3_PKS2_S3_PS4_PS7_PS2_
; %bb.0:
	s_load_dwordx2 s[4:5], s[0:1], 0x8
	s_load_dwordx4 s[8:11], s[0:1], 0x18
	s_load_dwordx2 s[6:7], s[0:1], 0x28
	s_load_dword s26, s[0:1], 0x30
	s_load_dwordx2 s[12:13], s[0:1], 0x40
	s_ashr_i32 s3, s2, 31
	v_lshrrev_b32_e32 v24, 4, v0
	s_lshl_b64 s[14:15], s[2:3], 4
	v_bfe_u32 v2, v0, 2, 2
	v_mov_b32_e32 v3, 0
	v_or_b32_e32 v1, s14, v24
	s_waitcnt lgkmcnt(0)
	v_mul_lo_u32 v6, v1, s7
	v_mad_u64_u32 v[4:5], s[16:17], v1, s6, v[2:3]
	s_mul_i32 s3, s15, s6
	v_add3_u32 v5, s3, v5, v6
	v_cmp_gt_i64_e32 vcc, s[4:5], v[4:5]
	v_cmp_gt_i64_e64 s[4:5], s[6:7], v[2:3]
	s_and_b64 s[14:15], s[4:5], vcc
	v_mov_b32_e32 v1, v3
	s_and_saveexec_b64 s[16:17], s[14:15]
	s_cbranch_execz .LBB127_2
; %bb.1:
	v_lshl_add_u64 v[6:7], v[4:5], 2, s[12:13]
	global_load_dword v1, v[6:7], off
	s_waitcnt vmcnt(0)
	v_subrev_u32_e32 v1, s26, v1
.LBB127_2:
	s_or_b64 exec, exec, s[16:17]
	s_and_saveexec_b64 s[16:17], s[14:15]
	s_cbranch_execz .LBB127_4
; %bb.3:
	v_lshl_add_u64 v[4:5], v[4:5], 2, s[12:13]
	global_load_dword v3, v[4:5], off offset:4
	s_waitcnt vmcnt(0)
	v_subrev_u32_e32 v3, s26, v3
.LBB127_4:
	s_or_b64 exec, exec, s[16:17]
	s_load_dword s27, s[0:1], 0x50
	v_lshl_or_b32 v6, s2, 4, v24
	v_mov_b32_e32 v7, 0
	v_cmp_gt_i64_e32 vcc, s[8:9], v[6:7]
	v_mov_b32_e32 v4, v7
	s_and_saveexec_b64 s[2:3], vcc
	s_cbranch_execz .LBB127_6
; %bb.5:
	s_load_dwordx2 s[8:9], s[0:1], 0x60
	s_waitcnt lgkmcnt(0)
	v_lshl_add_u64 v[4:5], v[6:7], 2, s[8:9]
	global_load_dword v4, v[4:5], off
	s_waitcnt vmcnt(0)
	v_subrev_u32_e32 v4, s27, v4
.LBB127_6:
	s_or_b64 exec, exec, s[2:3]
	v_cmp_lt_i64_e64 s[2:3], s[10:11], 1
	s_and_b64 vcc, exec, s[2:3]
	s_cbranch_vccnz .LBB127_25
; %bb.7:
	v_and_b32_e32 v6, 3, v0
	s_load_dwordx2 s[2:3], s[0:1], 0x68
	s_load_dwordx2 s[14:15], s[0:1], 0x58
	;; [unrolled: 1-line block ×4, first 2 shown]
	s_load_dword s16, s[0:1], 0x0
	v_and_b32_e32 v0, 0x3f0, v0
	v_mad_u64_u32 v[8:9], s[0:1], v6, s6, 0
	v_lshl_or_b32 v25, v2, 2, v0
	v_mov_b32_e32 v10, v9
	v_or_b32_e32 v0, v25, v6
	v_mad_u64_u32 v[10:11], s[0:1], v6, s7, v[10:11]
	v_lshlrev_b32_e32 v26, 3, v0
	v_mov_b32_e32 v0, 0
	v_mov_b32_e32 v9, v10
	s_waitcnt lgkmcnt(0)
	v_lshl_add_u64 v[8:9], v[8:9], 3, s[14:15]
	v_lshlrev_b32_e32 v10, 3, v2
	v_mov_b32_e32 v11, v0
	v_lshl_add_u64 v[8:9], v[8:9], 0, v[10:11]
	v_mad_u64_u32 v[10:11], s[0:1], v2, s6, 0
	v_mov_b32_e32 v12, v11
	v_mad_u64_u32 v[12:13], s[0:1], v2, s7, v[12:13]
	v_mbcnt_lo_u32_b32 v5, -1, 0
	v_mov_b32_e32 v11, v12
	v_mbcnt_hi_u32_b32 v5, -1, v5
	v_mov_b32_e32 v7, v0
	s_cmp_eq_u32 s16, 0
	s_mul_i32 s16, s6, s7
	s_mul_hi_u32 s17, s6, s6
	v_lshl_add_u64 v[10:11], v[10:11], 3, s[14:15]
	v_lshlrev_b32_e32 v12, 3, v6
	v_mov_b32_e32 v13, v0
	v_lshlrev_b32_e32 v5, 2, v5
	v_cmp_gt_u64_e32 vcc, s[6:7], v[6:7]
	v_lshl_add_u64 v[10:11], v[10:11], 0, v[12:13]
	s_cselect_b64 s[0:1], -1, 0
	s_add_i32 s14, s17, s16
	s_mov_b32 s28, 0
	v_or_b32_e32 v27, 12, v5
	s_add_i32 s29, s14, s16
	s_mul_i32 s30, s6, s6
	v_or_b32_e32 v2, 60, v5
	s_and_b64 s[4:5], s[4:5], vcc
	v_cndmask_b32_e64 v9, v9, v11, s[0:1]
	v_cndmask_b32_e64 v8, v8, v10, s[0:1]
	s_mov_b64 s[14:15], 0
	v_mov_b64_e32 v[14:15], 0
	v_mov_b32_e32 v10, 0
	v_mov_b32_e32 v11, v0
	s_ashr_i32 s16, s7, 31
	v_mov_b32_e32 v7, 1
	v_mov_b32_e32 v5, 0
	s_branch .LBB127_10
.LBB127_8:                              ;   in Loop: Header=BB127_10 Depth=1
	s_or_b64 exec, exec, s[18:19]
	v_mov_b32_e32 v15, 1
.LBB127_9:                              ;   in Loop: Header=BB127_10 Depth=1
	s_or_b64 exec, exec, s[0:1]
	v_mov_b32_dpp v16, v12 row_shr:1 row_mask:0xf bank_mask:0xf
	v_mov_b32_dpp v17, v13 row_shr:1 row_mask:0xf bank_mask:0xf
	v_cmp_lt_i64_e32 vcc, v[16:17], v[12:13]
	v_add_u32_e32 v4, v15, v4
	s_waitcnt lgkmcnt(0)
	v_cndmask_b32_e32 v13, v13, v17, vcc
	v_cndmask_b32_e32 v12, v12, v16, vcc
	s_nop 0
	v_mov_b32_dpp v17, v13 row_shr:2 row_mask:0xf bank_mask:0xf
	v_mov_b32_dpp v16, v12 row_shr:2 row_mask:0xf bank_mask:0xf
	v_cmp_lt_i64_e32 vcc, v[16:17], v[12:13]
	s_nop 1
	v_cndmask_b32_e32 v13, v13, v17, vcc
	v_cndmask_b32_e32 v12, v12, v16, vcc
	s_nop 0
	v_mov_b32_dpp v17, v13 row_shr:4 row_mask:0xf bank_mask:0xe
	v_mov_b32_dpp v16, v12 row_shr:4 row_mask:0xf bank_mask:0xe
	v_cmp_lt_i64_e32 vcc, v[16:17], v[12:13]
	s_nop 1
	v_cndmask_b32_e32 v13, v13, v17, vcc
	v_cndmask_b32_e32 v12, v12, v16, vcc
	s_nop 0
	v_mov_b32_dpp v17, v13 row_shr:8 row_mask:0xf bank_mask:0xc
	v_mov_b32_dpp v16, v12 row_shr:8 row_mask:0xf bank_mask:0xc
	v_cmp_lt_i64_e32 vcc, v[16:17], v[12:13]
	s_nop 1
	v_cndmask_b32_e32 v5, v12, v16, vcc
	ds_bpermute_b32 v14, v2, v5
	s_waitcnt lgkmcnt(0)
	v_ashrrev_i32_e32 v15, 31, v14
	v_cmp_le_i64_e32 vcc, s[10:11], v[14:15]
	s_or_b64 s[14:15], vcc, s[14:15]
	v_mov_b32_e32 v5, v14
	s_andn2_b64 exec, exec, s[14:15]
	s_cbranch_execz .LBB127_25
.LBB127_10:                             ; =>This Loop Header: Depth=1
                                        ;     Child Loop BB127_13 Depth 2
	v_add_u32_e32 v16, v1, v6
	v_cmp_lt_i32_e32 vcc, v16, v3
	v_mov_b64_e32 v[12:13], s[10:11]
	v_mov_b32_e32 v1, v3
	ds_write_b8 v24, v0 offset:2048
	ds_write_b64 v26, v[10:11]
	s_waitcnt lgkmcnt(0)
	s_and_saveexec_b64 s[18:19], vcc
	s_cbranch_execz .LBB127_22
; %bb.11:                               ;   in Loop: Header=BB127_10 Depth=1
	v_mad_u64_u32 v[18:19], s[0:1], v14, s6, 0
	s_mov_b64 s[20:21], 0
	v_mov_b64_e32 v[12:13], s[10:11]
	v_mov_b32_e32 v19, v3
	s_branch .LBB127_13
.LBB127_12:                             ;   in Loop: Header=BB127_13 Depth=2
	s_or_b64 exec, exec, s[0:1]
	v_add_u32_e32 v16, 4, v16
	v_cmp_ge_i32_e64 s[0:1], v16, v3
	s_xor_b64 s[22:23], vcc, -1
	s_or_b64 s[0:1], s[22:23], s[0:1]
	s_and_b64 s[0:1], exec, s[0:1]
	s_or_b64 s[20:21], s[0:1], s[20:21]
	v_mov_b32_e32 v19, v1
	s_andn2_b64 exec, exec, s[20:21]
	s_cbranch_execz .LBB127_21
.LBB127_13:                             ;   Parent Loop BB127_10 Depth=1
                                        ; =>  This Inner Loop Header: Depth=2
	v_ashrrev_i32_e32 v17, 31, v16
	v_lshl_add_u64 v[20:21], v[16:17], 3, s[8:9]
	global_load_dwordx2 v[20:21], v[20:21], off
	v_mov_b32_e32 v1, s28
                                        ; implicit-def: $vgpr22_vgpr23
	s_waitcnt vmcnt(0)
	v_subrev_co_u32_e32 v20, vcc, s26, v20
	s_nop 1
	v_subb_co_u32_e32 v21, vcc, v21, v1, vcc
	v_or_b32_e32 v1, s7, v21
	v_cmp_ne_u64_e32 vcc, 0, v[0:1]
	s_and_saveexec_b64 s[0:1], vcc
	s_xor_b64 s[22:23], exec, s[0:1]
	s_cbranch_execz .LBB127_15
; %bb.14:                               ;   in Loop: Header=BB127_13 Depth=2
	s_add_u32 s0, s6, s16
	s_mov_b32 s17, s16
	s_addc_u32 s1, s7, s16
	s_xor_b64 s[24:25], s[0:1], s[16:17]
	v_cvt_f32_u32_e32 v1, s24
	v_cvt_f32_u32_e32 v22, s25
	s_sub_u32 s0, 0, s24
	s_subb_u32 s1, 0, s25
	v_mov_b32_e32 v29, v0
	v_fmac_f32_e32 v1, 0x4f800000, v22
	v_rcp_f32_e32 v1, v1
	s_nop 0
	v_mul_f32_e32 v1, 0x5f7ffffc, v1
	v_mul_f32_e32 v22, 0x2f800000, v1
	v_trunc_f32_e32 v22, v22
	v_fmac_f32_e32 v1, 0xcf800000, v22
	v_cvt_u32_f32_e32 v30, v22
	v_cvt_u32_f32_e32 v1, v1
	v_mul_lo_u32 v22, s0, v30
	v_mul_hi_u32 v28, s0, v1
	v_mul_lo_u32 v23, s1, v1
	v_add_u32_e32 v22, v28, v22
	v_mul_lo_u32 v31, s0, v1
	v_add_u32_e32 v32, v22, v23
	v_mul_hi_u32 v23, v1, v32
	v_mul_lo_u32 v22, v1, v32
	v_mul_hi_u32 v28, v1, v31
	v_lshl_add_u64 v[22:23], v[28:29], 0, v[22:23]
	v_mul_hi_u32 v29, v30, v31
	v_mul_lo_u32 v31, v30, v31
	v_add_co_u32_e32 v22, vcc, v22, v31
	v_mul_hi_u32 v28, v30, v32
	s_nop 0
	v_addc_co_u32_e32 v22, vcc, v23, v29, vcc
	v_mov_b32_e32 v23, v0
	s_nop 0
	v_addc_co_u32_e32 v29, vcc, 0, v28, vcc
	v_mul_lo_u32 v28, v30, v32
	v_lshl_add_u64 v[22:23], v[22:23], 0, v[28:29]
	v_add_co_u32_e32 v1, vcc, v1, v22
	v_mul_lo_u32 v28, s0, v1
	s_nop 0
	v_addc_co_u32_e32 v30, vcc, v30, v23, vcc
	v_mul_lo_u32 v22, s0, v30
	v_mul_hi_u32 v23, s0, v1
	v_add_u32_e32 v22, v23, v22
	v_mul_lo_u32 v23, s1, v1
	v_add_u32_e32 v31, v22, v23
	v_mul_hi_u32 v33, v30, v28
	v_mul_lo_u32 v34, v30, v28
	v_mul_hi_u32 v23, v1, v31
	v_mul_lo_u32 v22, v1, v31
	v_mul_hi_u32 v28, v1, v28
	v_mov_b32_e32 v29, v0
	v_lshl_add_u64 v[22:23], v[28:29], 0, v[22:23]
	v_add_co_u32_e32 v22, vcc, v22, v34
	v_mul_hi_u32 v32, v30, v31
	s_nop 0
	v_addc_co_u32_e32 v22, vcc, v23, v33, vcc
	v_mul_lo_u32 v28, v30, v31
	s_nop 0
	v_addc_co_u32_e32 v29, vcc, 0, v32, vcc
	v_mov_b32_e32 v23, v0
	v_lshl_add_u64 v[22:23], v[22:23], 0, v[28:29]
	v_add_co_u32_e32 v1, vcc, v1, v22
	v_ashrrev_i32_e32 v22, 31, v21
	s_nop 0
	v_addc_co_u32_e32 v32, vcc, v30, v23, vcc
	v_mov_b32_e32 v23, v22
	v_lshl_add_u64 v[28:29], v[20:21], 0, v[22:23]
	v_xor_b32_e32 v23, v28, v22
	v_xor_b32_e32 v21, v29, v22
	v_mad_u64_u32 v[28:29], s[0:1], v23, v32, 0
	v_mul_hi_u32 v30, v23, v1
	v_mov_b32_e32 v31, v0
	v_lshl_add_u64 v[28:29], v[30:31], 0, v[28:29]
	v_mad_u64_u32 v[30:31], s[0:1], v21, v32, 0
	v_mad_u64_u32 v[32:33], s[0:1], v21, v1, 0
	v_add_co_u32_e32 v1, vcc, v28, v32
	s_nop 1
	v_addc_co_u32_e32 v28, vcc, v29, v33, vcc
	v_mov_b32_e32 v29, v0
	s_nop 0
	v_addc_co_u32_e32 v31, vcc, 0, v31, vcc
	v_lshl_add_u64 v[28:29], v[28:29], 0, v[30:31]
	v_mul_lo_u32 v1, s25, v28
	v_mul_lo_u32 v32, s24, v29
	v_mad_u64_u32 v[30:31], s[0:1], s24, v28, 0
	v_add3_u32 v1, v31, v32, v1
	v_sub_u32_e32 v31, v21, v1
	v_mov_b32_e32 v32, s25
	v_sub_co_u32_e32 v23, vcc, v23, v30
	s_nop 1
	v_subb_co_u32_e64 v30, s[0:1], v31, v32, vcc
	v_subrev_co_u32_e64 v31, s[0:1], s24, v23
	v_subb_co_u32_e32 v1, vcc, v21, v1, vcc
	s_nop 0
	v_subbrev_co_u32_e64 v30, s[0:1], 0, v30, s[0:1]
	v_cmp_le_u32_e64 s[0:1], s25, v30
	v_cmp_le_u32_e32 vcc, s25, v1
	s_nop 0
	v_cndmask_b32_e64 v32, 0, -1, s[0:1]
	v_cmp_le_u32_e64 s[0:1], s24, v31
	v_cndmask_b32_e64 v21, 0, -1, vcc
	v_cmp_le_u32_e32 vcc, s24, v23
	v_cndmask_b32_e64 v31, 0, -1, s[0:1]
	v_cmp_eq_u32_e64 s[0:1], s25, v30
	v_cndmask_b32_e64 v23, 0, -1, vcc
	v_cmp_eq_u32_e32 vcc, s25, v1
	v_cndmask_b32_e64 v34, v32, v31, s[0:1]
	v_lshl_add_u64 v[30:31], v[28:29], 0, 2
	v_lshl_add_u64 v[32:33], v[28:29], 0, 1
	v_cmp_ne_u32_e64 s[0:1], 0, v34
	v_cndmask_b32_e32 v1, v21, v23, vcc
	v_cmp_ne_u32_e32 vcc, 0, v1
	v_cndmask_b32_e64 v21, v32, v30, s[0:1]
	v_cndmask_b32_e64 v31, v33, v31, s[0:1]
	v_cndmask_b32_e32 v21, v28, v21, vcc
	v_xor_b32_e32 v23, s16, v22
	v_cndmask_b32_e32 v1, v29, v31, vcc
	v_xor_b32_e32 v21, v21, v23
	v_xor_b32_e32 v1, v1, v23
	v_sub_co_u32_e32 v22, vcc, v21, v23
	s_nop 1
	v_subb_co_u32_e32 v23, vcc, v1, v23, vcc
.LBB127_15:                             ;   in Loop: Header=BB127_13 Depth=2
	s_andn2_saveexec_b64 s[0:1], s[22:23]
	s_cbranch_execz .LBB127_17
; %bb.16:                               ;   in Loop: Header=BB127_13 Depth=2
	v_cvt_f32_u32_e32 v1, s6
	s_sub_i32 s17, 0, s6
	v_rcp_iflag_f32_e32 v1, v1
	s_nop 0
	v_mul_f32_e32 v1, 0x4f7ffffe, v1
	v_cvt_u32_f32_e32 v1, v1
	v_mul_lo_u32 v21, s17, v1
	v_mul_hi_u32 v21, v1, v21
	v_add_u32_e32 v1, v1, v21
	v_mul_hi_u32 v1, v20, v1
	v_mul_lo_u32 v21, v1, s6
	v_sub_u32_e32 v21, v20, v21
	v_add_u32_e32 v22, 1, v1
	v_subrev_u32_e32 v23, s6, v21
	v_cmp_le_u32_e32 vcc, s6, v21
	s_nop 1
	v_cndmask_b32_e32 v21, v21, v23, vcc
	v_cndmask_b32_e32 v1, v1, v22, vcc
	v_add_u32_e32 v22, 1, v1
	v_cmp_le_u32_e32 vcc, s6, v21
	v_mov_b32_e32 v23, v0
	s_nop 0
	v_cndmask_b32_e32 v22, v1, v22, vcc
.LBB127_17:                             ;   in Loop: Header=BB127_13 Depth=2
	s_or_b64 exec, exec, s[0:1]
	v_cmp_eq_u64_e32 vcc, v[22:23], v[14:15]
	v_cmp_ne_u64_e64 s[0:1], v[22:23], v[14:15]
	s_and_saveexec_b64 s[22:23], s[0:1]
	s_xor_b64 s[22:23], exec, s[22:23]
; %bb.18:                               ;   in Loop: Header=BB127_13 Depth=2
	v_cmp_lt_i64_e64 s[0:1], v[22:23], v[12:13]
                                        ; implicit-def: $vgpr20_vgpr21
                                        ; implicit-def: $vgpr19
	s_nop 1
	v_cndmask_b32_e64 v13, v13, v23, s[0:1]
	v_cndmask_b32_e64 v12, v12, v22, s[0:1]
; %bb.19:                               ;   in Loop: Header=BB127_13 Depth=2
	s_or_saveexec_b64 s[0:1], s[22:23]
	v_mov_b32_e32 v1, v16
	s_xor_b64 exec, exec, s[0:1]
	s_cbranch_execz .LBB127_12
; %bb.20:                               ;   in Loop: Header=BB127_13 Depth=2
	v_lshl_add_u64 v[22:23], v[16:17], 3, s[12:13]
	global_load_dwordx2 v[22:23], v[22:23], off
	v_sub_u32_e32 v1, v20, v18
	v_add_lshl_u32 v1, v25, v1, 3
	ds_write_b8 v24, v7 offset:2048
	s_waitcnt vmcnt(0)
	ds_write_b64 v1, v[22:23]
	v_mov_b32_e32 v1, v19
	s_branch .LBB127_12
.LBB127_21:                             ;   in Loop: Header=BB127_10 Depth=1
	s_or_b64 exec, exec, s[20:21]
.LBB127_22:                             ;   in Loop: Header=BB127_10 Depth=1
	s_or_b64 exec, exec, s[18:19]
	v_mov_b32_dpp v14, v1 row_shr:1 row_mask:0xf bank_mask:0xf
	v_min_i32_e32 v1, v14, v1
	s_waitcnt lgkmcnt(0)
	ds_read_u8 v14, v24 offset:2048
	v_mov_b32_dpp v15, v1 row_shr:2 row_mask:0xf bank_mask:0xf
	v_min_i32_e32 v1, v15, v1
	ds_bpermute_b32 v1, v27, v1
	v_mov_b32_e32 v15, 0
	s_waitcnt lgkmcnt(1)
	v_and_b32_e32 v14, 1, v14
	v_cmp_eq_u32_e32 vcc, 1, v14
	s_and_saveexec_b64 s[0:1], vcc
	s_cbranch_execz .LBB127_9
; %bb.23:                               ;   in Loop: Header=BB127_10 Depth=1
	v_add_u32_e32 v14, s27, v5
	v_ashrrev_i32_e32 v5, 31, v4
	v_ashrrev_i32_e32 v15, 31, v14
	v_lshl_add_u64 v[16:17], v[4:5], 3, s[2:3]
	global_store_dwordx2 v[16:17], v[14:15], off
	s_and_saveexec_b64 s[18:19], s[4:5]
	s_cbranch_execz .LBB127_8
; %bb.24:                               ;   in Loop: Header=BB127_10 Depth=1
	ds_read_b64 v[14:15], v26
	v_mul_lo_u32 v18, s29, v4
	v_mul_lo_u32 v5, s30, v5
	v_mad_u64_u32 v[16:17], s[20:21], s30, v4, 0
	v_add3_u32 v17, v17, v5, v18
	v_lshl_add_u64 v[16:17], v[16:17], 3, v[8:9]
	s_waitcnt lgkmcnt(0)
	global_store_dwordx2 v[16:17], v[14:15], off
	s_branch .LBB127_8
.LBB127_25:
	s_endpgm
	.section	.rodata,"a",@progbits
	.p2align	6, 0x0
	.amdhsa_kernel _ZN9rocsparseL42csr2bsr_wavefront_per_row_multipass_kernelILj256ELj16ELj4EdilEEv20rocsparse_direction_T4_S2_S2_S2_S2_21rocsparse_index_base_PKT2_PKT3_PKS2_S3_PS4_PS7_PS2_
		.amdhsa_group_segment_fixed_size 2064
		.amdhsa_private_segment_fixed_size 0
		.amdhsa_kernarg_size 112
		.amdhsa_user_sgpr_count 2
		.amdhsa_user_sgpr_dispatch_ptr 0
		.amdhsa_user_sgpr_queue_ptr 0
		.amdhsa_user_sgpr_kernarg_segment_ptr 1
		.amdhsa_user_sgpr_dispatch_id 0
		.amdhsa_user_sgpr_kernarg_preload_length 0
		.amdhsa_user_sgpr_kernarg_preload_offset 0
		.amdhsa_user_sgpr_private_segment_size 0
		.amdhsa_uses_dynamic_stack 0
		.amdhsa_enable_private_segment 0
		.amdhsa_system_sgpr_workgroup_id_x 1
		.amdhsa_system_sgpr_workgroup_id_y 0
		.amdhsa_system_sgpr_workgroup_id_z 0
		.amdhsa_system_sgpr_workgroup_info 0
		.amdhsa_system_vgpr_workitem_id 0
		.amdhsa_next_free_vgpr 35
		.amdhsa_next_free_sgpr 31
		.amdhsa_accum_offset 36
		.amdhsa_reserve_vcc 1
		.amdhsa_float_round_mode_32 0
		.amdhsa_float_round_mode_16_64 0
		.amdhsa_float_denorm_mode_32 3
		.amdhsa_float_denorm_mode_16_64 3
		.amdhsa_dx10_clamp 1
		.amdhsa_ieee_mode 1
		.amdhsa_fp16_overflow 0
		.amdhsa_tg_split 0
		.amdhsa_exception_fp_ieee_invalid_op 0
		.amdhsa_exception_fp_denorm_src 0
		.amdhsa_exception_fp_ieee_div_zero 0
		.amdhsa_exception_fp_ieee_overflow 0
		.amdhsa_exception_fp_ieee_underflow 0
		.amdhsa_exception_fp_ieee_inexact 0
		.amdhsa_exception_int_div_zero 0
	.end_amdhsa_kernel
	.section	.text._ZN9rocsparseL42csr2bsr_wavefront_per_row_multipass_kernelILj256ELj16ELj4EdilEEv20rocsparse_direction_T4_S2_S2_S2_S2_21rocsparse_index_base_PKT2_PKT3_PKS2_S3_PS4_PS7_PS2_,"axG",@progbits,_ZN9rocsparseL42csr2bsr_wavefront_per_row_multipass_kernelILj256ELj16ELj4EdilEEv20rocsparse_direction_T4_S2_S2_S2_S2_21rocsparse_index_base_PKT2_PKT3_PKS2_S3_PS4_PS7_PS2_,comdat
.Lfunc_end127:
	.size	_ZN9rocsparseL42csr2bsr_wavefront_per_row_multipass_kernelILj256ELj16ELj4EdilEEv20rocsparse_direction_T4_S2_S2_S2_S2_21rocsparse_index_base_PKT2_PKT3_PKS2_S3_PS4_PS7_PS2_, .Lfunc_end127-_ZN9rocsparseL42csr2bsr_wavefront_per_row_multipass_kernelILj256ELj16ELj4EdilEEv20rocsparse_direction_T4_S2_S2_S2_S2_21rocsparse_index_base_PKT2_PKT3_PKS2_S3_PS4_PS7_PS2_
                                        ; -- End function
	.section	.AMDGPU.csdata,"",@progbits
; Kernel info:
; codeLenInByte = 2088
; NumSgprs: 37
; NumVgprs: 35
; NumAgprs: 0
; TotalNumVgprs: 35
; ScratchSize: 0
; MemoryBound: 0
; FloatMode: 240
; IeeeMode: 1
; LDSByteSize: 2064 bytes/workgroup (compile time only)
; SGPRBlocks: 4
; VGPRBlocks: 4
; NumSGPRsForWavesPerEU: 37
; NumVGPRsForWavesPerEU: 35
; AccumOffset: 36
; Occupancy: 8
; WaveLimiterHint : 0
; COMPUTE_PGM_RSRC2:SCRATCH_EN: 0
; COMPUTE_PGM_RSRC2:USER_SGPR: 2
; COMPUTE_PGM_RSRC2:TRAP_HANDLER: 0
; COMPUTE_PGM_RSRC2:TGID_X_EN: 1
; COMPUTE_PGM_RSRC2:TGID_Y_EN: 0
; COMPUTE_PGM_RSRC2:TGID_Z_EN: 0
; COMPUTE_PGM_RSRC2:TIDIG_COMP_CNT: 0
; COMPUTE_PGM_RSRC3_GFX90A:ACCUM_OFFSET: 8
; COMPUTE_PGM_RSRC3_GFX90A:TG_SPLIT: 0
	.section	.text._ZN9rocsparseL42csr2bsr_wavefront_per_row_multipass_kernelILj256ELj64ELj8EdilEEv20rocsparse_direction_T4_S2_S2_S2_S2_21rocsparse_index_base_PKT2_PKT3_PKS2_S3_PS4_PS7_PS2_,"axG",@progbits,_ZN9rocsparseL42csr2bsr_wavefront_per_row_multipass_kernelILj256ELj64ELj8EdilEEv20rocsparse_direction_T4_S2_S2_S2_S2_21rocsparse_index_base_PKT2_PKT3_PKS2_S3_PS4_PS7_PS2_,comdat
	.globl	_ZN9rocsparseL42csr2bsr_wavefront_per_row_multipass_kernelILj256ELj64ELj8EdilEEv20rocsparse_direction_T4_S2_S2_S2_S2_21rocsparse_index_base_PKT2_PKT3_PKS2_S3_PS4_PS7_PS2_ ; -- Begin function _ZN9rocsparseL42csr2bsr_wavefront_per_row_multipass_kernelILj256ELj64ELj8EdilEEv20rocsparse_direction_T4_S2_S2_S2_S2_21rocsparse_index_base_PKT2_PKT3_PKS2_S3_PS4_PS7_PS2_
	.p2align	8
	.type	_ZN9rocsparseL42csr2bsr_wavefront_per_row_multipass_kernelILj256ELj64ELj8EdilEEv20rocsparse_direction_T4_S2_S2_S2_S2_21rocsparse_index_base_PKT2_PKT3_PKS2_S3_PS4_PS7_PS2_,@function
_ZN9rocsparseL42csr2bsr_wavefront_per_row_multipass_kernelILj256ELj64ELj8EdilEEv20rocsparse_direction_T4_S2_S2_S2_S2_21rocsparse_index_base_PKT2_PKT3_PKS2_S3_PS4_PS7_PS2_: ; @_ZN9rocsparseL42csr2bsr_wavefront_per_row_multipass_kernelILj256ELj64ELj8EdilEEv20rocsparse_direction_T4_S2_S2_S2_S2_21rocsparse_index_base_PKT2_PKT3_PKS2_S3_PS4_PS7_PS2_
; %bb.0:
	s_load_dwordx2 s[4:5], s[0:1], 0x8
	s_load_dwordx4 s[8:11], s[0:1], 0x18
	s_load_dwordx2 s[6:7], s[0:1], 0x28
	s_load_dword s26, s[0:1], 0x30
	s_load_dwordx2 s[12:13], s[0:1], 0x40
	s_ashr_i32 s3, s2, 31
	v_lshrrev_b32_e32 v24, 6, v0
	s_lshl_b64 s[14:15], s[2:3], 2
	v_bfe_u32 v2, v0, 3, 3
	v_mov_b32_e32 v3, 0
	v_or_b32_e32 v1, s14, v24
	s_waitcnt lgkmcnt(0)
	v_mul_lo_u32 v6, v1, s7
	v_mad_u64_u32 v[4:5], s[16:17], v1, s6, v[2:3]
	s_mul_i32 s3, s15, s6
	v_add3_u32 v5, s3, v5, v6
	v_cmp_gt_i64_e32 vcc, s[4:5], v[4:5]
	v_cmp_gt_i64_e64 s[4:5], s[6:7], v[2:3]
	s_and_b64 s[14:15], s[4:5], vcc
	v_mov_b32_e32 v1, v3
	s_and_saveexec_b64 s[16:17], s[14:15]
	s_cbranch_execz .LBB128_2
; %bb.1:
	v_lshl_add_u64 v[6:7], v[4:5], 2, s[12:13]
	global_load_dword v1, v[6:7], off
	s_waitcnt vmcnt(0)
	v_subrev_u32_e32 v1, s26, v1
.LBB128_2:
	s_or_b64 exec, exec, s[16:17]
	s_and_saveexec_b64 s[16:17], s[14:15]
	s_cbranch_execz .LBB128_4
; %bb.3:
	v_lshl_add_u64 v[4:5], v[4:5], 2, s[12:13]
	global_load_dword v3, v[4:5], off offset:4
	s_waitcnt vmcnt(0)
	v_subrev_u32_e32 v3, s26, v3
.LBB128_4:
	s_or_b64 exec, exec, s[16:17]
	s_load_dword s27, s[0:1], 0x50
	v_lshl_or_b32 v6, s2, 2, v24
	v_mov_b32_e32 v7, 0
	v_cmp_gt_i64_e32 vcc, s[8:9], v[6:7]
	v_mov_b32_e32 v4, v7
	s_and_saveexec_b64 s[2:3], vcc
	s_cbranch_execz .LBB128_6
; %bb.5:
	s_load_dwordx2 s[8:9], s[0:1], 0x60
	s_waitcnt lgkmcnt(0)
	v_lshl_add_u64 v[4:5], v[6:7], 2, s[8:9]
	global_load_dword v4, v[4:5], off
	s_waitcnt vmcnt(0)
	v_subrev_u32_e32 v4, s27, v4
.LBB128_6:
	s_or_b64 exec, exec, s[2:3]
	v_cmp_lt_i64_e64 s[2:3], s[10:11], 1
	s_and_b64 vcc, exec, s[2:3]
	s_cbranch_vccnz .LBB128_25
; %bb.7:
	s_load_dwordx2 s[2:3], s[0:1], 0x68
	s_load_dwordx2 s[14:15], s[0:1], 0x58
	;; [unrolled: 1-line block ×4, first 2 shown]
	s_load_dword s16, s[0:1], 0x0
	v_and_b32_e32 v6, 7, v0
	v_lshlrev_b32_e32 v8, 3, v2
	s_movk_i32 s0, 0x3c0
	v_and_or_b32 v25, v0, s0, v8
	v_mad_u64_u32 v[10:11], s[0:1], v6, s6, 0
	v_mov_b32_e32 v12, v11
	v_or_b32_e32 v0, v25, v6
	v_mad_u64_u32 v[12:13], s[0:1], v6, s7, v[12:13]
	v_lshlrev_b32_e32 v26, 3, v0
	v_mov_b32_e32 v0, 0
	v_mov_b32_e32 v11, v12
	s_waitcnt lgkmcnt(0)
	v_lshl_add_u64 v[10:11], v[10:11], 3, s[14:15]
	v_mov_b32_e32 v9, v0
	v_lshl_add_u64 v[8:9], v[10:11], 0, v[8:9]
	v_mad_u64_u32 v[10:11], s[0:1], v2, s6, 0
	v_mov_b32_e32 v12, v11
	v_mad_u64_u32 v[12:13], s[0:1], v2, s7, v[12:13]
	v_mbcnt_lo_u32_b32 v5, -1, 0
	v_mov_b32_e32 v11, v12
	v_mbcnt_hi_u32_b32 v5, -1, v5
	v_mov_b32_e32 v7, v0
	s_cmp_eq_u32 s16, 0
	s_mul_i32 s16, s6, s7
	s_mul_hi_u32 s17, s6, s6
	v_lshl_add_u64 v[10:11], v[10:11], 3, s[14:15]
	v_lshlrev_b32_e32 v12, 3, v6
	v_mov_b32_e32 v13, v0
	v_lshlrev_b32_e32 v5, 2, v5
	v_cmp_gt_u64_e32 vcc, s[6:7], v[6:7]
	v_lshl_add_u64 v[10:11], v[10:11], 0, v[12:13]
	s_cselect_b64 s[0:1], -1, 0
	s_add_i32 s14, s17, s16
	s_mov_b32 s28, 0
	v_or_b32_e32 v27, 28, v5
	s_add_i32 s29, s14, s16
	s_mul_i32 s30, s6, s6
	v_or_b32_e32 v2, 0xfc, v5
	s_and_b64 s[4:5], s[4:5], vcc
	v_cndmask_b32_e64 v9, v9, v11, s[0:1]
	v_cndmask_b32_e64 v8, v8, v10, s[0:1]
	s_mov_b64 s[14:15], 0
	v_mov_b64_e32 v[14:15], 0
	v_mov_b32_e32 v10, 0
	v_mov_b32_e32 v11, v0
	s_ashr_i32 s16, s7, 31
	v_mov_b32_e32 v7, 1
	v_mov_b32_e32 v5, 0
	s_branch .LBB128_10
.LBB128_8:                              ;   in Loop: Header=BB128_10 Depth=1
	s_or_b64 exec, exec, s[18:19]
	v_mov_b32_e32 v15, 1
.LBB128_9:                              ;   in Loop: Header=BB128_10 Depth=1
	s_or_b64 exec, exec, s[0:1]
	v_mov_b32_dpp v16, v12 row_shr:1 row_mask:0xf bank_mask:0xf
	v_mov_b32_dpp v17, v13 row_shr:1 row_mask:0xf bank_mask:0xf
	v_cmp_lt_i64_e32 vcc, v[16:17], v[12:13]
	v_add_u32_e32 v4, v15, v4
	s_waitcnt lgkmcnt(0)
	v_cndmask_b32_e32 v13, v13, v17, vcc
	v_cndmask_b32_e32 v12, v12, v16, vcc
	s_nop 0
	v_mov_b32_dpp v17, v13 row_shr:2 row_mask:0xf bank_mask:0xf
	v_mov_b32_dpp v16, v12 row_shr:2 row_mask:0xf bank_mask:0xf
	v_cmp_lt_i64_e32 vcc, v[16:17], v[12:13]
	s_nop 1
	v_cndmask_b32_e32 v13, v13, v17, vcc
	v_cndmask_b32_e32 v12, v12, v16, vcc
	s_nop 0
	v_mov_b32_dpp v17, v13 row_shr:4 row_mask:0xf bank_mask:0xe
	v_mov_b32_dpp v16, v12 row_shr:4 row_mask:0xf bank_mask:0xe
	v_cmp_lt_i64_e32 vcc, v[16:17], v[12:13]
	s_nop 1
	;; [unrolled: 7-line block ×3, first 2 shown]
	v_cndmask_b32_e32 v13, v13, v17, vcc
	v_cndmask_b32_e32 v12, v12, v16, vcc
	s_nop 0
	v_mov_b32_dpp v17, v13 row_bcast:15 row_mask:0xa bank_mask:0xf
	v_mov_b32_dpp v16, v12 row_bcast:15 row_mask:0xa bank_mask:0xf
	v_cmp_lt_i64_e32 vcc, v[16:17], v[12:13]
	s_nop 1
	v_cndmask_b32_e32 v13, v13, v17, vcc
	v_cndmask_b32_e32 v12, v12, v16, vcc
	s_nop 0
	v_mov_b32_dpp v17, v13 row_bcast:31 row_mask:0xc bank_mask:0xf
	v_mov_b32_dpp v16, v12 row_bcast:31 row_mask:0xc bank_mask:0xf
	v_cmp_lt_i64_e32 vcc, v[16:17], v[12:13]
	s_nop 1
	v_cndmask_b32_e32 v5, v12, v16, vcc
	ds_bpermute_b32 v14, v2, v5
	s_waitcnt lgkmcnt(0)
	v_ashrrev_i32_e32 v15, 31, v14
	v_cmp_le_i64_e32 vcc, s[10:11], v[14:15]
	s_or_b64 s[14:15], vcc, s[14:15]
	v_mov_b32_e32 v5, v14
	s_andn2_b64 exec, exec, s[14:15]
	s_cbranch_execz .LBB128_25
.LBB128_10:                             ; =>This Loop Header: Depth=1
                                        ;     Child Loop BB128_13 Depth 2
	v_add_u32_e32 v16, v1, v6
	v_cmp_lt_i32_e32 vcc, v16, v3
	v_mov_b64_e32 v[12:13], s[10:11]
	v_mov_b32_e32 v1, v3
	ds_write_b8 v24, v0 offset:2048
	ds_write_b64 v26, v[10:11]
	s_waitcnt lgkmcnt(0)
	s_and_saveexec_b64 s[18:19], vcc
	s_cbranch_execz .LBB128_22
; %bb.11:                               ;   in Loop: Header=BB128_10 Depth=1
	v_mad_u64_u32 v[18:19], s[0:1], v14, s6, 0
	s_mov_b64 s[20:21], 0
	v_mov_b64_e32 v[12:13], s[10:11]
	v_mov_b32_e32 v19, v3
	s_branch .LBB128_13
.LBB128_12:                             ;   in Loop: Header=BB128_13 Depth=2
	s_or_b64 exec, exec, s[0:1]
	v_add_u32_e32 v16, 8, v16
	v_cmp_ge_i32_e64 s[0:1], v16, v3
	s_xor_b64 s[22:23], vcc, -1
	s_or_b64 s[0:1], s[22:23], s[0:1]
	s_and_b64 s[0:1], exec, s[0:1]
	s_or_b64 s[20:21], s[0:1], s[20:21]
	v_mov_b32_e32 v19, v1
	s_andn2_b64 exec, exec, s[20:21]
	s_cbranch_execz .LBB128_21
.LBB128_13:                             ;   Parent Loop BB128_10 Depth=1
                                        ; =>  This Inner Loop Header: Depth=2
	v_ashrrev_i32_e32 v17, 31, v16
	v_lshl_add_u64 v[20:21], v[16:17], 3, s[8:9]
	global_load_dwordx2 v[20:21], v[20:21], off
	v_mov_b32_e32 v1, s28
                                        ; implicit-def: $vgpr22_vgpr23
	s_waitcnt vmcnt(0)
	v_subrev_co_u32_e32 v20, vcc, s26, v20
	s_nop 1
	v_subb_co_u32_e32 v21, vcc, v21, v1, vcc
	v_or_b32_e32 v1, s7, v21
	v_cmp_ne_u64_e32 vcc, 0, v[0:1]
	s_and_saveexec_b64 s[0:1], vcc
	s_xor_b64 s[22:23], exec, s[0:1]
	s_cbranch_execz .LBB128_15
; %bb.14:                               ;   in Loop: Header=BB128_13 Depth=2
	s_add_u32 s0, s6, s16
	s_mov_b32 s17, s16
	s_addc_u32 s1, s7, s16
	s_xor_b64 s[24:25], s[0:1], s[16:17]
	v_cvt_f32_u32_e32 v1, s24
	v_cvt_f32_u32_e32 v22, s25
	s_sub_u32 s0, 0, s24
	s_subb_u32 s1, 0, s25
	v_mov_b32_e32 v29, v0
	v_fmac_f32_e32 v1, 0x4f800000, v22
	v_rcp_f32_e32 v1, v1
	s_nop 0
	v_mul_f32_e32 v1, 0x5f7ffffc, v1
	v_mul_f32_e32 v22, 0x2f800000, v1
	v_trunc_f32_e32 v22, v22
	v_fmac_f32_e32 v1, 0xcf800000, v22
	v_cvt_u32_f32_e32 v30, v22
	v_cvt_u32_f32_e32 v1, v1
	v_mul_lo_u32 v22, s0, v30
	v_mul_hi_u32 v28, s0, v1
	v_mul_lo_u32 v23, s1, v1
	v_add_u32_e32 v22, v28, v22
	v_mul_lo_u32 v31, s0, v1
	v_add_u32_e32 v32, v22, v23
	v_mul_hi_u32 v23, v1, v32
	v_mul_lo_u32 v22, v1, v32
	v_mul_hi_u32 v28, v1, v31
	v_lshl_add_u64 v[22:23], v[28:29], 0, v[22:23]
	v_mul_hi_u32 v29, v30, v31
	v_mul_lo_u32 v31, v30, v31
	v_add_co_u32_e32 v22, vcc, v22, v31
	v_mul_hi_u32 v28, v30, v32
	s_nop 0
	v_addc_co_u32_e32 v22, vcc, v23, v29, vcc
	v_mov_b32_e32 v23, v0
	s_nop 0
	v_addc_co_u32_e32 v29, vcc, 0, v28, vcc
	v_mul_lo_u32 v28, v30, v32
	v_lshl_add_u64 v[22:23], v[22:23], 0, v[28:29]
	v_add_co_u32_e32 v1, vcc, v1, v22
	v_mul_lo_u32 v28, s0, v1
	s_nop 0
	v_addc_co_u32_e32 v30, vcc, v30, v23, vcc
	v_mul_lo_u32 v22, s0, v30
	v_mul_hi_u32 v23, s0, v1
	v_add_u32_e32 v22, v23, v22
	v_mul_lo_u32 v23, s1, v1
	v_add_u32_e32 v31, v22, v23
	v_mul_hi_u32 v33, v30, v28
	v_mul_lo_u32 v34, v30, v28
	v_mul_hi_u32 v23, v1, v31
	v_mul_lo_u32 v22, v1, v31
	v_mul_hi_u32 v28, v1, v28
	v_mov_b32_e32 v29, v0
	v_lshl_add_u64 v[22:23], v[28:29], 0, v[22:23]
	v_add_co_u32_e32 v22, vcc, v22, v34
	v_mul_hi_u32 v32, v30, v31
	s_nop 0
	v_addc_co_u32_e32 v22, vcc, v23, v33, vcc
	v_mul_lo_u32 v28, v30, v31
	s_nop 0
	v_addc_co_u32_e32 v29, vcc, 0, v32, vcc
	v_mov_b32_e32 v23, v0
	v_lshl_add_u64 v[22:23], v[22:23], 0, v[28:29]
	v_add_co_u32_e32 v1, vcc, v1, v22
	v_ashrrev_i32_e32 v22, 31, v21
	s_nop 0
	v_addc_co_u32_e32 v32, vcc, v30, v23, vcc
	v_mov_b32_e32 v23, v22
	v_lshl_add_u64 v[28:29], v[20:21], 0, v[22:23]
	v_xor_b32_e32 v23, v28, v22
	v_xor_b32_e32 v21, v29, v22
	v_mad_u64_u32 v[28:29], s[0:1], v23, v32, 0
	v_mul_hi_u32 v30, v23, v1
	v_mov_b32_e32 v31, v0
	v_lshl_add_u64 v[28:29], v[30:31], 0, v[28:29]
	v_mad_u64_u32 v[30:31], s[0:1], v21, v32, 0
	v_mad_u64_u32 v[32:33], s[0:1], v21, v1, 0
	v_add_co_u32_e32 v1, vcc, v28, v32
	s_nop 1
	v_addc_co_u32_e32 v28, vcc, v29, v33, vcc
	v_mov_b32_e32 v29, v0
	s_nop 0
	v_addc_co_u32_e32 v31, vcc, 0, v31, vcc
	v_lshl_add_u64 v[28:29], v[28:29], 0, v[30:31]
	v_mul_lo_u32 v1, s25, v28
	v_mul_lo_u32 v32, s24, v29
	v_mad_u64_u32 v[30:31], s[0:1], s24, v28, 0
	v_add3_u32 v1, v31, v32, v1
	v_sub_u32_e32 v31, v21, v1
	v_mov_b32_e32 v32, s25
	v_sub_co_u32_e32 v23, vcc, v23, v30
	s_nop 1
	v_subb_co_u32_e64 v30, s[0:1], v31, v32, vcc
	v_subrev_co_u32_e64 v31, s[0:1], s24, v23
	v_subb_co_u32_e32 v1, vcc, v21, v1, vcc
	s_nop 0
	v_subbrev_co_u32_e64 v30, s[0:1], 0, v30, s[0:1]
	v_cmp_le_u32_e64 s[0:1], s25, v30
	v_cmp_le_u32_e32 vcc, s25, v1
	s_nop 0
	v_cndmask_b32_e64 v32, 0, -1, s[0:1]
	v_cmp_le_u32_e64 s[0:1], s24, v31
	v_cndmask_b32_e64 v21, 0, -1, vcc
	v_cmp_le_u32_e32 vcc, s24, v23
	v_cndmask_b32_e64 v31, 0, -1, s[0:1]
	v_cmp_eq_u32_e64 s[0:1], s25, v30
	v_cndmask_b32_e64 v23, 0, -1, vcc
	v_cmp_eq_u32_e32 vcc, s25, v1
	v_cndmask_b32_e64 v34, v32, v31, s[0:1]
	v_lshl_add_u64 v[30:31], v[28:29], 0, 2
	v_lshl_add_u64 v[32:33], v[28:29], 0, 1
	v_cmp_ne_u32_e64 s[0:1], 0, v34
	v_cndmask_b32_e32 v1, v21, v23, vcc
	v_cmp_ne_u32_e32 vcc, 0, v1
	v_cndmask_b32_e64 v21, v32, v30, s[0:1]
	v_cndmask_b32_e64 v31, v33, v31, s[0:1]
	v_cndmask_b32_e32 v21, v28, v21, vcc
	v_xor_b32_e32 v23, s16, v22
	v_cndmask_b32_e32 v1, v29, v31, vcc
	v_xor_b32_e32 v21, v21, v23
	v_xor_b32_e32 v1, v1, v23
	v_sub_co_u32_e32 v22, vcc, v21, v23
	s_nop 1
	v_subb_co_u32_e32 v23, vcc, v1, v23, vcc
.LBB128_15:                             ;   in Loop: Header=BB128_13 Depth=2
	s_andn2_saveexec_b64 s[0:1], s[22:23]
	s_cbranch_execz .LBB128_17
; %bb.16:                               ;   in Loop: Header=BB128_13 Depth=2
	v_cvt_f32_u32_e32 v1, s6
	s_sub_i32 s17, 0, s6
	v_rcp_iflag_f32_e32 v1, v1
	s_nop 0
	v_mul_f32_e32 v1, 0x4f7ffffe, v1
	v_cvt_u32_f32_e32 v1, v1
	v_mul_lo_u32 v21, s17, v1
	v_mul_hi_u32 v21, v1, v21
	v_add_u32_e32 v1, v1, v21
	v_mul_hi_u32 v1, v20, v1
	v_mul_lo_u32 v21, v1, s6
	v_sub_u32_e32 v21, v20, v21
	v_add_u32_e32 v22, 1, v1
	v_subrev_u32_e32 v23, s6, v21
	v_cmp_le_u32_e32 vcc, s6, v21
	s_nop 1
	v_cndmask_b32_e32 v21, v21, v23, vcc
	v_cndmask_b32_e32 v1, v1, v22, vcc
	v_add_u32_e32 v22, 1, v1
	v_cmp_le_u32_e32 vcc, s6, v21
	v_mov_b32_e32 v23, v0
	s_nop 0
	v_cndmask_b32_e32 v22, v1, v22, vcc
.LBB128_17:                             ;   in Loop: Header=BB128_13 Depth=2
	s_or_b64 exec, exec, s[0:1]
	v_cmp_eq_u64_e32 vcc, v[22:23], v[14:15]
	v_cmp_ne_u64_e64 s[0:1], v[22:23], v[14:15]
	s_and_saveexec_b64 s[22:23], s[0:1]
	s_xor_b64 s[22:23], exec, s[22:23]
; %bb.18:                               ;   in Loop: Header=BB128_13 Depth=2
	v_cmp_lt_i64_e64 s[0:1], v[22:23], v[12:13]
                                        ; implicit-def: $vgpr20_vgpr21
                                        ; implicit-def: $vgpr19
	s_nop 1
	v_cndmask_b32_e64 v13, v13, v23, s[0:1]
	v_cndmask_b32_e64 v12, v12, v22, s[0:1]
; %bb.19:                               ;   in Loop: Header=BB128_13 Depth=2
	s_or_saveexec_b64 s[0:1], s[22:23]
	v_mov_b32_e32 v1, v16
	s_xor_b64 exec, exec, s[0:1]
	s_cbranch_execz .LBB128_12
; %bb.20:                               ;   in Loop: Header=BB128_13 Depth=2
	v_lshl_add_u64 v[22:23], v[16:17], 3, s[12:13]
	global_load_dwordx2 v[22:23], v[22:23], off
	v_sub_u32_e32 v1, v20, v18
	v_add_lshl_u32 v1, v25, v1, 3
	ds_write_b8 v24, v7 offset:2048
	s_waitcnt vmcnt(0)
	ds_write_b64 v1, v[22:23]
	v_mov_b32_e32 v1, v19
	s_branch .LBB128_12
.LBB128_21:                             ;   in Loop: Header=BB128_10 Depth=1
	s_or_b64 exec, exec, s[20:21]
.LBB128_22:                             ;   in Loop: Header=BB128_10 Depth=1
	s_or_b64 exec, exec, s[18:19]
	v_mov_b32_dpp v14, v1 row_shr:1 row_mask:0xf bank_mask:0xf
	v_min_i32_e32 v1, v14, v1
	s_waitcnt lgkmcnt(0)
	s_nop 0
	v_mov_b32_dpp v14, v1 row_shr:2 row_mask:0xf bank_mask:0xf
	v_min_i32_e32 v1, v14, v1
	ds_read_u8 v14, v24 offset:2048
	s_waitcnt lgkmcnt(0)
	v_and_b32_e32 v14, 1, v14
	v_mov_b32_dpp v15, v1 row_shr:4 row_mask:0xf bank_mask:0xe
	v_min_i32_e32 v1, v15, v1
	ds_bpermute_b32 v1, v27, v1
	v_cmp_eq_u32_e32 vcc, 1, v14
	v_mov_b32_e32 v15, 0
	s_and_saveexec_b64 s[0:1], vcc
	s_cbranch_execz .LBB128_9
; %bb.23:                               ;   in Loop: Header=BB128_10 Depth=1
	v_add_u32_e32 v14, s27, v5
	v_ashrrev_i32_e32 v5, 31, v4
	v_ashrrev_i32_e32 v15, 31, v14
	v_lshl_add_u64 v[16:17], v[4:5], 3, s[2:3]
	global_store_dwordx2 v[16:17], v[14:15], off
	s_and_saveexec_b64 s[18:19], s[4:5]
	s_cbranch_execz .LBB128_8
; %bb.24:                               ;   in Loop: Header=BB128_10 Depth=1
	ds_read_b64 v[14:15], v26
	v_mul_lo_u32 v18, s29, v4
	v_mul_lo_u32 v5, s30, v5
	v_mad_u64_u32 v[16:17], s[20:21], s30, v4, 0
	v_add3_u32 v17, v17, v5, v18
	v_lshl_add_u64 v[16:17], v[16:17], 3, v[8:9]
	s_waitcnt lgkmcnt(0)
	global_store_dwordx2 v[16:17], v[14:15], off
	s_branch .LBB128_8
.LBB128_25:
	s_endpgm
	.section	.rodata,"a",@progbits
	.p2align	6, 0x0
	.amdhsa_kernel _ZN9rocsparseL42csr2bsr_wavefront_per_row_multipass_kernelILj256ELj64ELj8EdilEEv20rocsparse_direction_T4_S2_S2_S2_S2_21rocsparse_index_base_PKT2_PKT3_PKS2_S3_PS4_PS7_PS2_
		.amdhsa_group_segment_fixed_size 2056
		.amdhsa_private_segment_fixed_size 0
		.amdhsa_kernarg_size 112
		.amdhsa_user_sgpr_count 2
		.amdhsa_user_sgpr_dispatch_ptr 0
		.amdhsa_user_sgpr_queue_ptr 0
		.amdhsa_user_sgpr_kernarg_segment_ptr 1
		.amdhsa_user_sgpr_dispatch_id 0
		.amdhsa_user_sgpr_kernarg_preload_length 0
		.amdhsa_user_sgpr_kernarg_preload_offset 0
		.amdhsa_user_sgpr_private_segment_size 0
		.amdhsa_uses_dynamic_stack 0
		.amdhsa_enable_private_segment 0
		.amdhsa_system_sgpr_workgroup_id_x 1
		.amdhsa_system_sgpr_workgroup_id_y 0
		.amdhsa_system_sgpr_workgroup_id_z 0
		.amdhsa_system_sgpr_workgroup_info 0
		.amdhsa_system_vgpr_workitem_id 0
		.amdhsa_next_free_vgpr 35
		.amdhsa_next_free_sgpr 31
		.amdhsa_accum_offset 36
		.amdhsa_reserve_vcc 1
		.amdhsa_float_round_mode_32 0
		.amdhsa_float_round_mode_16_64 0
		.amdhsa_float_denorm_mode_32 3
		.amdhsa_float_denorm_mode_16_64 3
		.amdhsa_dx10_clamp 1
		.amdhsa_ieee_mode 1
		.amdhsa_fp16_overflow 0
		.amdhsa_tg_split 0
		.amdhsa_exception_fp_ieee_invalid_op 0
		.amdhsa_exception_fp_denorm_src 0
		.amdhsa_exception_fp_ieee_div_zero 0
		.amdhsa_exception_fp_ieee_overflow 0
		.amdhsa_exception_fp_ieee_underflow 0
		.amdhsa_exception_fp_ieee_inexact 0
		.amdhsa_exception_int_div_zero 0
	.end_amdhsa_kernel
	.section	.text._ZN9rocsparseL42csr2bsr_wavefront_per_row_multipass_kernelILj256ELj64ELj8EdilEEv20rocsparse_direction_T4_S2_S2_S2_S2_21rocsparse_index_base_PKT2_PKT3_PKS2_S3_PS4_PS7_PS2_,"axG",@progbits,_ZN9rocsparseL42csr2bsr_wavefront_per_row_multipass_kernelILj256ELj64ELj8EdilEEv20rocsparse_direction_T4_S2_S2_S2_S2_21rocsparse_index_base_PKT2_PKT3_PKS2_S3_PS4_PS7_PS2_,comdat
.Lfunc_end128:
	.size	_ZN9rocsparseL42csr2bsr_wavefront_per_row_multipass_kernelILj256ELj64ELj8EdilEEv20rocsparse_direction_T4_S2_S2_S2_S2_21rocsparse_index_base_PKT2_PKT3_PKS2_S3_PS4_PS7_PS2_, .Lfunc_end128-_ZN9rocsparseL42csr2bsr_wavefront_per_row_multipass_kernelILj256ELj64ELj8EdilEEv20rocsparse_direction_T4_S2_S2_S2_S2_21rocsparse_index_base_PKT2_PKT3_PKS2_S3_PS4_PS7_PS2_
                                        ; -- End function
	.section	.AMDGPU.csdata,"",@progbits
; Kernel info:
; codeLenInByte = 2176
; NumSgprs: 37
; NumVgprs: 35
; NumAgprs: 0
; TotalNumVgprs: 35
; ScratchSize: 0
; MemoryBound: 0
; FloatMode: 240
; IeeeMode: 1
; LDSByteSize: 2056 bytes/workgroup (compile time only)
; SGPRBlocks: 4
; VGPRBlocks: 4
; NumSGPRsForWavesPerEU: 37
; NumVGPRsForWavesPerEU: 35
; AccumOffset: 36
; Occupancy: 8
; WaveLimiterHint : 0
; COMPUTE_PGM_RSRC2:SCRATCH_EN: 0
; COMPUTE_PGM_RSRC2:USER_SGPR: 2
; COMPUTE_PGM_RSRC2:TRAP_HANDLER: 0
; COMPUTE_PGM_RSRC2:TGID_X_EN: 1
; COMPUTE_PGM_RSRC2:TGID_Y_EN: 0
; COMPUTE_PGM_RSRC2:TGID_Z_EN: 0
; COMPUTE_PGM_RSRC2:TIDIG_COMP_CNT: 0
; COMPUTE_PGM_RSRC3_GFX90A:ACCUM_OFFSET: 8
; COMPUTE_PGM_RSRC3_GFX90A:TG_SPLIT: 0
	.section	.text._ZN9rocsparseL42csr2bsr_wavefront_per_row_multipass_kernelILj256ELj32ELj8EdilEEv20rocsparse_direction_T4_S2_S2_S2_S2_21rocsparse_index_base_PKT2_PKT3_PKS2_S3_PS4_PS7_PS2_,"axG",@progbits,_ZN9rocsparseL42csr2bsr_wavefront_per_row_multipass_kernelILj256ELj32ELj8EdilEEv20rocsparse_direction_T4_S2_S2_S2_S2_21rocsparse_index_base_PKT2_PKT3_PKS2_S3_PS4_PS7_PS2_,comdat
	.globl	_ZN9rocsparseL42csr2bsr_wavefront_per_row_multipass_kernelILj256ELj32ELj8EdilEEv20rocsparse_direction_T4_S2_S2_S2_S2_21rocsparse_index_base_PKT2_PKT3_PKS2_S3_PS4_PS7_PS2_ ; -- Begin function _ZN9rocsparseL42csr2bsr_wavefront_per_row_multipass_kernelILj256ELj32ELj8EdilEEv20rocsparse_direction_T4_S2_S2_S2_S2_21rocsparse_index_base_PKT2_PKT3_PKS2_S3_PS4_PS7_PS2_
	.p2align	8
	.type	_ZN9rocsparseL42csr2bsr_wavefront_per_row_multipass_kernelILj256ELj32ELj8EdilEEv20rocsparse_direction_T4_S2_S2_S2_S2_21rocsparse_index_base_PKT2_PKT3_PKS2_S3_PS4_PS7_PS2_,@function
_ZN9rocsparseL42csr2bsr_wavefront_per_row_multipass_kernelILj256ELj32ELj8EdilEEv20rocsparse_direction_T4_S2_S2_S2_S2_21rocsparse_index_base_PKT2_PKT3_PKS2_S3_PS4_PS7_PS2_: ; @_ZN9rocsparseL42csr2bsr_wavefront_per_row_multipass_kernelILj256ELj32ELj8EdilEEv20rocsparse_direction_T4_S2_S2_S2_S2_21rocsparse_index_base_PKT2_PKT3_PKS2_S3_PS4_PS7_PS2_
; %bb.0:
	s_load_dwordx2 s[4:5], s[0:1], 0x8
	s_load_dwordx4 s[8:11], s[0:1], 0x18
	s_load_dwordx2 s[6:7], s[0:1], 0x28
	s_load_dword s30, s[0:1], 0x30
	s_load_dwordx2 s[12:13], s[0:1], 0x40
	s_ashr_i32 s3, s2, 31
	v_lshrrev_b32_e32 v30, 5, v0
	s_lshl_b64 s[14:15], s[2:3], 3
	v_bfe_u32 v2, v0, 2, 3
	v_mov_b32_e32 v3, 0
	v_or_b32_e32 v1, s14, v30
	s_waitcnt lgkmcnt(0)
	v_mul_lo_u32 v6, v1, s7
	v_mad_u64_u32 v[4:5], s[16:17], v1, s6, v[2:3]
	s_mul_i32 s3, s15, s6
	v_add3_u32 v5, s3, v5, v6
	v_cmp_gt_i64_e32 vcc, s[4:5], v[4:5]
	v_cmp_gt_i64_e64 s[4:5], s[6:7], v[2:3]
	s_and_b64 s[14:15], s[4:5], vcc
	v_mov_b32_e32 v24, v3
	s_and_saveexec_b64 s[16:17], s[14:15]
	s_cbranch_execz .LBB129_2
; %bb.1:
	v_lshl_add_u64 v[6:7], v[4:5], 2, s[12:13]
	global_load_dword v1, v[6:7], off
	s_waitcnt vmcnt(0)
	v_subrev_u32_e32 v24, s30, v1
.LBB129_2:
	s_or_b64 exec, exec, s[16:17]
	s_and_saveexec_b64 s[16:17], s[14:15]
	s_cbranch_execz .LBB129_4
; %bb.3:
	v_lshl_add_u64 v[4:5], v[4:5], 2, s[12:13]
	global_load_dword v1, v[4:5], off offset:4
	s_waitcnt vmcnt(0)
	v_subrev_u32_e32 v3, s30, v1
.LBB129_4:
	s_or_b64 exec, exec, s[16:17]
	s_load_dword s31, s[0:1], 0x50
	v_lshl_or_b32 v6, s2, 3, v30
	v_mov_b32_e32 v7, 0
	v_cmp_gt_i64_e32 vcc, s[8:9], v[6:7]
	v_mov_b32_e32 v4, v7
	s_and_saveexec_b64 s[2:3], vcc
	s_cbranch_execz .LBB129_6
; %bb.5:
	s_load_dwordx2 s[8:9], s[0:1], 0x60
	s_waitcnt lgkmcnt(0)
	v_lshl_add_u64 v[4:5], v[6:7], 2, s[8:9]
	global_load_dword v1, v[4:5], off
	s_waitcnt vmcnt(0)
	v_subrev_u32_e32 v4, s31, v1
.LBB129_6:
	s_or_b64 exec, exec, s[2:3]
	v_cmp_lt_i64_e64 s[2:3], s[10:11], 1
	s_and_b64 vcc, exec, s[2:3]
	s_cbranch_vccnz .LBB129_34
; %bb.7:
	s_load_dwordx2 s[2:3], s[0:1], 0x68
	s_load_dwordx2 s[16:17], s[0:1], 0x58
	s_mul_i32 s8, s6, s7
	s_mul_hi_u32 s9, s6, s6
	v_mov_b32_e32 v6, 0
	s_add_i32 s9, s9, s8
	v_lshlrev_b32_e32 v10, 3, v2
	v_mov_b32_e32 v11, v6
	s_add_i32 s33, s9, s8
	s_load_dwordx2 s[8:9], s[0:1], 0x48
	s_waitcnt lgkmcnt(0)
	v_lshl_add_u64 v[8:9], s[16:17], 0, v[10:11]
	s_load_dwordx2 s[12:13], s[0:1], 0x38
	s_load_dword s14, s[0:1], 0x0
	v_lshl_or_b32 v31, v30, 6, v10
	v_mad_u64_u32 v[10:11], s[0:1], v2, s6, 0
	v_mov_b32_e32 v12, v11
	v_and_b32_e32 v0, 3, v0
	v_mad_u64_u32 v[12:13], s[0:1], v2, s7, v[12:13]
	v_mbcnt_lo_u32_b32 v1, -1, 0
	v_mov_b32_e32 v11, v12
	v_mad_u64_u32 v[12:13], s[0:1], v0, s6, 0
	v_mbcnt_hi_u32_b32 v1, -1, v1
	v_mov_b32_e32 v14, v13
	v_lshlrev_b32_e32 v1, 2, v1
	v_mad_u64_u32 v[14:15], s[0:1], v0, s7, v[14:15]
	v_or_b32_e32 v16, 4, v0
	v_or_b32_e32 v32, 12, v1
	v_lshl_add_u64 v[10:11], v[10:11], 3, s[16:17]
	v_or_b32_e32 v2, 0x7c, v1
	v_or_b32_e32 v1, v31, v0
	v_mov_b32_e32 v13, v14
	v_mad_u64_u32 v[14:15], s[16:17], v16, s6, 0
	v_lshlrev_b32_e32 v33, 3, v1
	v_mov_b32_e32 v1, v6
	v_mov_b32_e32 v17, v6
	v_mov_b32_e32 v18, v15
	s_mov_b32 s35, 0
	s_waitcnt lgkmcnt(0)
	s_cmp_lg_u32 s14, 0
	v_cmp_gt_u64_e32 vcc, s[6:7], v[0:1]
	v_cmp_gt_u64_e64 s[0:1], s[6:7], v[16:17]
	v_mad_u64_u32 v[16:17], s[16:17], v16, s7, v[18:19]
	s_cselect_b64 s[14:15], -1, 0
	s_and_b64 s[16:17], s[4:5], vcc
	s_and_b64 s[4:5], s[4:5], s[0:1]
	s_mov_b32 s0, s35
	s_mov_b32 s1, s35
	s_mul_i32 s34, s6, s6
	v_mov_b32_e32 v15, v16
	s_mov_b64 s[18:19], 0
	v_mov_b64_e32 v[20:21], 0
	v_mov_b64_e32 v[16:17], s[0:1]
	s_ashr_i32 s20, s7, 31
	v_mov_b32_e32 v1, 1
	v_mov_b32_e32 v5, 0
	s_branch .LBB129_11
.LBB129_8:                              ;   in Loop: Header=BB129_11 Depth=1
	v_mov_b32_e32 v7, s21
.LBB129_9:                              ;   in Loop: Header=BB129_11 Depth=1
	s_or_b64 exec, exec, s[22:23]
.LBB129_10:                             ;   in Loop: Header=BB129_11 Depth=1
	s_or_b64 exec, exec, s[0:1]
	v_mov_b32_dpp v20, v18 row_shr:1 row_mask:0xf bank_mask:0xf
	v_mov_b32_dpp v21, v19 row_shr:1 row_mask:0xf bank_mask:0xf
	v_cmp_lt_i64_e32 vcc, v[20:21], v[18:19]
	v_add_u32_e32 v4, v7, v4
	s_waitcnt lgkmcnt(0)
	v_cndmask_b32_e32 v19, v19, v21, vcc
	v_cndmask_b32_e32 v18, v18, v20, vcc
	s_nop 0
	v_mov_b32_dpp v21, v19 row_shr:2 row_mask:0xf bank_mask:0xf
	v_mov_b32_dpp v20, v18 row_shr:2 row_mask:0xf bank_mask:0xf
	v_cmp_lt_i64_e32 vcc, v[20:21], v[18:19]
	s_nop 1
	v_cndmask_b32_e32 v19, v19, v21, vcc
	v_cndmask_b32_e32 v18, v18, v20, vcc
	s_nop 0
	v_mov_b32_dpp v21, v19 row_shr:4 row_mask:0xf bank_mask:0xe
	v_mov_b32_dpp v20, v18 row_shr:4 row_mask:0xf bank_mask:0xe
	v_cmp_lt_i64_e32 vcc, v[20:21], v[18:19]
	s_nop 1
	;; [unrolled: 7-line block ×3, first 2 shown]
	v_cndmask_b32_e32 v19, v19, v21, vcc
	v_cndmask_b32_e32 v18, v18, v20, vcc
	s_nop 0
	v_mov_b32_dpp v21, v19 row_bcast:15 row_mask:0xa bank_mask:0xf
	v_mov_b32_dpp v20, v18 row_bcast:15 row_mask:0xa bank_mask:0xf
	v_cmp_lt_i64_e32 vcc, v[20:21], v[18:19]
	s_nop 1
	v_cndmask_b32_e32 v5, v18, v20, vcc
	ds_bpermute_b32 v20, v2, v5
	s_waitcnt lgkmcnt(0)
	v_ashrrev_i32_e32 v21, 31, v20
	v_cmp_le_i64_e32 vcc, s[10:11], v[20:21]
	s_or_b64 s[18:19], vcc, s[18:19]
	v_mov_b32_e32 v5, v20
	s_andn2_b64 exec, exec, s[18:19]
	s_cbranch_execz .LBB129_34
.LBB129_11:                             ; =>This Loop Header: Depth=1
                                        ;     Child Loop BB129_14 Depth 2
	v_add_u32_e32 v22, v24, v0
	v_cmp_lt_i32_e32 vcc, v22, v3
	v_mov_b64_e32 v[18:19], s[10:11]
	v_mov_b32_e32 v7, v3
	ds_write_b8 v30, v6 offset:4096
	ds_write2_b64 v33, v[16:17], v[16:17] offset1:4
	s_waitcnt lgkmcnt(0)
	s_and_saveexec_b64 s[22:23], vcc
	s_cbranch_execz .LBB129_23
; %bb.12:                               ;   in Loop: Header=BB129_11 Depth=1
	v_mad_u64_u32 v[24:25], s[0:1], v20, s6, 0
	s_mov_b64 s[24:25], 0
	v_mov_b64_e32 v[18:19], s[10:11]
	v_mov_b32_e32 v25, v3
	s_branch .LBB129_14
.LBB129_13:                             ;   in Loop: Header=BB129_14 Depth=2
	s_or_b64 exec, exec, s[0:1]
	v_add_u32_e32 v22, 4, v22
	v_cmp_ge_i32_e64 s[0:1], v22, v3
	s_xor_b64 s[26:27], vcc, -1
	s_or_b64 s[0:1], s[26:27], s[0:1]
	s_and_b64 s[0:1], exec, s[0:1]
	s_or_b64 s[24:25], s[0:1], s[24:25]
	v_mov_b32_e32 v25, v7
	s_andn2_b64 exec, exec, s[24:25]
	s_cbranch_execz .LBB129_22
.LBB129_14:                             ;   Parent Loop BB129_11 Depth=1
                                        ; =>  This Inner Loop Header: Depth=2
	v_ashrrev_i32_e32 v23, 31, v22
	v_lshl_add_u64 v[26:27], v[22:23], 3, s[8:9]
	global_load_dwordx2 v[26:27], v[26:27], off
	v_mov_b32_e32 v7, s35
                                        ; implicit-def: $vgpr28_vgpr29
	s_waitcnt vmcnt(0)
	v_subrev_co_u32_e32 v26, vcc, s30, v26
	s_nop 1
	v_subb_co_u32_e32 v27, vcc, v27, v7, vcc
	v_or_b32_e32 v7, s7, v27
	v_cmp_ne_u64_e32 vcc, 0, v[6:7]
	s_and_saveexec_b64 s[0:1], vcc
	s_xor_b64 s[26:27], exec, s[0:1]
	s_cbranch_execz .LBB129_16
; %bb.15:                               ;   in Loop: Header=BB129_14 Depth=2
	s_add_u32 s0, s6, s20
	s_mov_b32 s21, s20
	s_addc_u32 s1, s7, s20
	s_xor_b64 s[28:29], s[0:1], s[20:21]
	v_cvt_f32_u32_e32 v7, s28
	v_cvt_f32_u32_e32 v28, s29
	s_sub_u32 s0, 0, s28
	s_subb_u32 s1, 0, s29
	v_mov_b32_e32 v35, v6
	v_fmac_f32_e32 v7, 0x4f800000, v28
	v_rcp_f32_e32 v7, v7
	s_nop 0
	v_mul_f32_e32 v7, 0x5f7ffffc, v7
	v_mul_f32_e32 v28, 0x2f800000, v7
	v_trunc_f32_e32 v28, v28
	v_fmac_f32_e32 v7, 0xcf800000, v28
	v_cvt_u32_f32_e32 v36, v28
	v_cvt_u32_f32_e32 v7, v7
	v_mul_lo_u32 v28, s0, v36
	v_mul_hi_u32 v34, s0, v7
	v_mul_lo_u32 v29, s1, v7
	v_add_u32_e32 v28, v34, v28
	v_mul_lo_u32 v37, s0, v7
	v_add_u32_e32 v38, v28, v29
	v_mul_hi_u32 v29, v7, v38
	v_mul_lo_u32 v28, v7, v38
	v_mul_hi_u32 v34, v7, v37
	v_lshl_add_u64 v[28:29], v[34:35], 0, v[28:29]
	v_mul_hi_u32 v35, v36, v37
	v_mul_lo_u32 v37, v36, v37
	v_add_co_u32_e32 v28, vcc, v28, v37
	v_mul_hi_u32 v34, v36, v38
	s_nop 0
	v_addc_co_u32_e32 v28, vcc, v29, v35, vcc
	v_mov_b32_e32 v29, v6
	s_nop 0
	v_addc_co_u32_e32 v35, vcc, 0, v34, vcc
	v_mul_lo_u32 v34, v36, v38
	v_lshl_add_u64 v[28:29], v[28:29], 0, v[34:35]
	v_add_co_u32_e32 v7, vcc, v7, v28
	v_mul_lo_u32 v34, s0, v7
	s_nop 0
	v_addc_co_u32_e32 v36, vcc, v36, v29, vcc
	v_mul_lo_u32 v28, s0, v36
	v_mul_hi_u32 v29, s0, v7
	v_add_u32_e32 v28, v29, v28
	v_mul_lo_u32 v29, s1, v7
	v_add_u32_e32 v37, v28, v29
	v_mul_hi_u32 v39, v36, v34
	v_mul_lo_u32 v40, v36, v34
	v_mul_hi_u32 v29, v7, v37
	v_mul_lo_u32 v28, v7, v37
	v_mul_hi_u32 v34, v7, v34
	v_mov_b32_e32 v35, v6
	v_lshl_add_u64 v[28:29], v[34:35], 0, v[28:29]
	v_add_co_u32_e32 v28, vcc, v28, v40
	v_mul_hi_u32 v38, v36, v37
	s_nop 0
	v_addc_co_u32_e32 v28, vcc, v29, v39, vcc
	v_mul_lo_u32 v34, v36, v37
	s_nop 0
	v_addc_co_u32_e32 v35, vcc, 0, v38, vcc
	v_mov_b32_e32 v29, v6
	v_lshl_add_u64 v[28:29], v[28:29], 0, v[34:35]
	v_add_co_u32_e32 v7, vcc, v7, v28
	v_ashrrev_i32_e32 v28, 31, v27
	s_nop 0
	v_addc_co_u32_e32 v38, vcc, v36, v29, vcc
	v_mov_b32_e32 v29, v28
	v_lshl_add_u64 v[34:35], v[26:27], 0, v[28:29]
	v_xor_b32_e32 v29, v34, v28
	v_xor_b32_e32 v27, v35, v28
	v_mad_u64_u32 v[34:35], s[0:1], v29, v38, 0
	v_mul_hi_u32 v36, v29, v7
	v_mov_b32_e32 v37, v6
	v_lshl_add_u64 v[34:35], v[36:37], 0, v[34:35]
	v_mad_u64_u32 v[36:37], s[0:1], v27, v38, 0
	v_mad_u64_u32 v[38:39], s[0:1], v27, v7, 0
	v_add_co_u32_e32 v7, vcc, v34, v38
	s_nop 1
	v_addc_co_u32_e32 v34, vcc, v35, v39, vcc
	v_mov_b32_e32 v35, v6
	s_nop 0
	v_addc_co_u32_e32 v37, vcc, 0, v37, vcc
	v_lshl_add_u64 v[34:35], v[34:35], 0, v[36:37]
	v_mul_lo_u32 v7, s29, v34
	v_mul_lo_u32 v38, s28, v35
	v_mad_u64_u32 v[36:37], s[0:1], s28, v34, 0
	v_add3_u32 v7, v37, v38, v7
	v_sub_u32_e32 v37, v27, v7
	v_mov_b32_e32 v38, s29
	v_sub_co_u32_e32 v29, vcc, v29, v36
	s_nop 1
	v_subb_co_u32_e64 v36, s[0:1], v37, v38, vcc
	v_subrev_co_u32_e64 v37, s[0:1], s28, v29
	v_subb_co_u32_e32 v7, vcc, v27, v7, vcc
	s_nop 0
	v_subbrev_co_u32_e64 v36, s[0:1], 0, v36, s[0:1]
	v_cmp_le_u32_e64 s[0:1], s29, v36
	v_cmp_le_u32_e32 vcc, s29, v7
	s_nop 0
	v_cndmask_b32_e64 v38, 0, -1, s[0:1]
	v_cmp_le_u32_e64 s[0:1], s28, v37
	v_cndmask_b32_e64 v27, 0, -1, vcc
	v_cmp_le_u32_e32 vcc, s28, v29
	v_cndmask_b32_e64 v37, 0, -1, s[0:1]
	v_cmp_eq_u32_e64 s[0:1], s29, v36
	v_cndmask_b32_e64 v29, 0, -1, vcc
	v_cmp_eq_u32_e32 vcc, s29, v7
	v_cndmask_b32_e64 v40, v38, v37, s[0:1]
	v_lshl_add_u64 v[36:37], v[34:35], 0, 2
	v_lshl_add_u64 v[38:39], v[34:35], 0, 1
	v_cmp_ne_u32_e64 s[0:1], 0, v40
	v_cndmask_b32_e32 v7, v27, v29, vcc
	v_cmp_ne_u32_e32 vcc, 0, v7
	v_cndmask_b32_e64 v27, v38, v36, s[0:1]
	v_cndmask_b32_e64 v37, v39, v37, s[0:1]
	v_cndmask_b32_e32 v27, v34, v27, vcc
	v_xor_b32_e32 v29, s20, v28
	v_cndmask_b32_e32 v7, v35, v37, vcc
	v_xor_b32_e32 v27, v27, v29
	v_xor_b32_e32 v7, v7, v29
	v_sub_co_u32_e32 v28, vcc, v27, v29
	s_nop 1
	v_subb_co_u32_e32 v29, vcc, v7, v29, vcc
.LBB129_16:                             ;   in Loop: Header=BB129_14 Depth=2
	s_andn2_saveexec_b64 s[0:1], s[26:27]
	s_cbranch_execz .LBB129_18
; %bb.17:                               ;   in Loop: Header=BB129_14 Depth=2
	v_cvt_f32_u32_e32 v7, s6
	s_sub_i32 s21, 0, s6
	v_rcp_iflag_f32_e32 v7, v7
	s_nop 0
	v_mul_f32_e32 v7, 0x4f7ffffe, v7
	v_cvt_u32_f32_e32 v7, v7
	v_mul_lo_u32 v27, s21, v7
	v_mul_hi_u32 v27, v7, v27
	v_add_u32_e32 v7, v7, v27
	v_mul_hi_u32 v7, v26, v7
	v_mul_lo_u32 v27, v7, s6
	v_sub_u32_e32 v27, v26, v27
	v_add_u32_e32 v28, 1, v7
	v_subrev_u32_e32 v29, s6, v27
	v_cmp_le_u32_e32 vcc, s6, v27
	s_nop 1
	v_cndmask_b32_e32 v27, v27, v29, vcc
	v_cndmask_b32_e32 v7, v7, v28, vcc
	v_add_u32_e32 v28, 1, v7
	v_cmp_le_u32_e32 vcc, s6, v27
	v_mov_b32_e32 v29, v6
	s_nop 0
	v_cndmask_b32_e32 v28, v7, v28, vcc
.LBB129_18:                             ;   in Loop: Header=BB129_14 Depth=2
	s_or_b64 exec, exec, s[0:1]
	v_cmp_eq_u64_e32 vcc, v[28:29], v[20:21]
	v_cmp_ne_u64_e64 s[0:1], v[28:29], v[20:21]
	s_and_saveexec_b64 s[26:27], s[0:1]
	s_xor_b64 s[26:27], exec, s[26:27]
; %bb.19:                               ;   in Loop: Header=BB129_14 Depth=2
	v_cmp_lt_i64_e64 s[0:1], v[28:29], v[18:19]
                                        ; implicit-def: $vgpr26_vgpr27
                                        ; implicit-def: $vgpr25
	s_nop 1
	v_cndmask_b32_e64 v19, v19, v29, s[0:1]
	v_cndmask_b32_e64 v18, v18, v28, s[0:1]
; %bb.20:                               ;   in Loop: Header=BB129_14 Depth=2
	s_or_saveexec_b64 s[0:1], s[26:27]
	v_mov_b32_e32 v7, v22
	s_xor_b64 exec, exec, s[0:1]
	s_cbranch_execz .LBB129_13
; %bb.21:                               ;   in Loop: Header=BB129_14 Depth=2
	v_lshl_add_u64 v[28:29], v[22:23], 3, s[12:13]
	global_load_dwordx2 v[28:29], v[28:29], off
	v_sub_u32_e32 v7, v26, v24
	v_add_lshl_u32 v7, v31, v7, 3
	ds_write_b8 v30, v1 offset:4096
	s_waitcnt vmcnt(0)
	ds_write_b64 v7, v[28:29]
	v_mov_b32_e32 v7, v25
	s_branch .LBB129_13
.LBB129_22:                             ;   in Loop: Header=BB129_11 Depth=1
	s_or_b64 exec, exec, s[24:25]
.LBB129_23:                             ;   in Loop: Header=BB129_11 Depth=1
	s_or_b64 exec, exec, s[22:23]
	v_mov_b32_dpp v20, v7 row_shr:1 row_mask:0xf bank_mask:0xf
	v_min_i32_e32 v7, v20, v7
	s_waitcnt lgkmcnt(0)
	ds_read_u8 v20, v30 offset:4096
	v_mov_b32_dpp v21, v7 row_shr:2 row_mask:0xf bank_mask:0xf
	v_min_i32_e32 v7, v21, v7
	ds_bpermute_b32 v24, v32, v7
	s_waitcnt lgkmcnt(1)
	v_and_b32_e32 v7, 1, v20
	v_cmp_eq_u32_e32 vcc, 1, v7
	v_mov_b32_e32 v7, 0
	s_and_saveexec_b64 s[0:1], vcc
	s_cbranch_execz .LBB129_10
; %bb.24:                               ;   in Loop: Header=BB129_11 Depth=1
	v_add_u32_e32 v20, s31, v5
	v_ashrrev_i32_e32 v5, 31, v4
	v_ashrrev_i32_e32 v21, 31, v20
	v_lshl_add_u64 v[22:23], v[4:5], 3, s[2:3]
	global_store_dwordx2 v[22:23], v[20:21], off
	v_mul_lo_u32 v7, s33, v4
	v_mul_lo_u32 v5, s34, v5
	v_mad_u64_u32 v[20:21], s[22:23], s34, v4, 0
	v_add3_u32 v21, v21, v5, v7
	v_lshlrev_b64 v[20:21], 3, v[20:21]
	v_lshl_add_u64 v[22:23], v[8:9], 0, v[20:21]
	v_lshl_add_u64 v[20:21], v[10:11], 0, v[20:21]
	s_and_saveexec_b64 s[22:23], s[16:17]
	s_cbranch_execz .LBB129_28
; %bb.25:                               ;   in Loop: Header=BB129_11 Depth=1
	s_and_b64 vcc, exec, s[14:15]
	s_cbranch_vccz .LBB129_31
; %bb.26:                               ;   in Loop: Header=BB129_11 Depth=1
	ds_read_b64 v[26:27], v33
	v_lshl_add_u64 v[28:29], v[12:13], 3, v[22:23]
	s_waitcnt lgkmcnt(0)
	global_store_dwordx2 v[28:29], v[26:27], off
	s_cbranch_execnz .LBB129_28
.LBB129_27:                             ;   in Loop: Header=BB129_11 Depth=1
	ds_read_b64 v[26:27], v33
	v_lshlrev_b32_e32 v28, 3, v0
	v_mov_b32_e32 v29, v6
	v_lshl_add_u64 v[28:29], v[20:21], 0, v[28:29]
	s_waitcnt lgkmcnt(0)
	global_store_dwordx2 v[28:29], v[26:27], off
.LBB129_28:                             ;   in Loop: Header=BB129_11 Depth=1
	s_or_b64 exec, exec, s[22:23]
	v_mov_b32_e32 v7, 1
	s_and_saveexec_b64 s[22:23], s[4:5]
	s_cbranch_execz .LBB129_9
; %bb.29:                               ;   in Loop: Header=BB129_11 Depth=1
	s_andn2_b64 vcc, exec, s[14:15]
	s_cbranch_vccnz .LBB129_32
; %bb.30:                               ;   in Loop: Header=BB129_11 Depth=1
	ds_read_b64 v[26:27], v33 offset:32
	v_lshl_add_u64 v[22:23], v[14:15], 3, v[22:23]
	s_mov_b32 s21, 1
	s_waitcnt lgkmcnt(0)
	global_store_dwordx2 v[22:23], v[26:27], off
	s_cbranch_execnz .LBB129_8
	s_branch .LBB129_33
.LBB129_31:                             ;   in Loop: Header=BB129_11 Depth=1
	s_branch .LBB129_27
.LBB129_32:                             ;   in Loop: Header=BB129_11 Depth=1
                                        ; implicit-def: $sgpr21
.LBB129_33:                             ;   in Loop: Header=BB129_11 Depth=1
	ds_read_b64 v[22:23], v33 offset:32
	v_lshlrev_b32_e32 v26, 3, v0
	v_mov_b32_e32 v27, v6
	v_lshl_add_u64 v[20:21], v[20:21], 0, v[26:27]
	s_mov_b32 s21, 1
	s_waitcnt lgkmcnt(0)
	global_store_dwordx2 v[20:21], v[22:23], off offset:32
	s_branch .LBB129_8
.LBB129_34:
	s_endpgm
	.section	.rodata,"a",@progbits
	.p2align	6, 0x0
	.amdhsa_kernel _ZN9rocsparseL42csr2bsr_wavefront_per_row_multipass_kernelILj256ELj32ELj8EdilEEv20rocsparse_direction_T4_S2_S2_S2_S2_21rocsparse_index_base_PKT2_PKT3_PKS2_S3_PS4_PS7_PS2_
		.amdhsa_group_segment_fixed_size 4104
		.amdhsa_private_segment_fixed_size 0
		.amdhsa_kernarg_size 112
		.amdhsa_user_sgpr_count 2
		.amdhsa_user_sgpr_dispatch_ptr 0
		.amdhsa_user_sgpr_queue_ptr 0
		.amdhsa_user_sgpr_kernarg_segment_ptr 1
		.amdhsa_user_sgpr_dispatch_id 0
		.amdhsa_user_sgpr_kernarg_preload_length 0
		.amdhsa_user_sgpr_kernarg_preload_offset 0
		.amdhsa_user_sgpr_private_segment_size 0
		.amdhsa_uses_dynamic_stack 0
		.amdhsa_enable_private_segment 0
		.amdhsa_system_sgpr_workgroup_id_x 1
		.amdhsa_system_sgpr_workgroup_id_y 0
		.amdhsa_system_sgpr_workgroup_id_z 0
		.amdhsa_system_sgpr_workgroup_info 0
		.amdhsa_system_vgpr_workitem_id 0
		.amdhsa_next_free_vgpr 41
		.amdhsa_next_free_sgpr 36
		.amdhsa_accum_offset 44
		.amdhsa_reserve_vcc 1
		.amdhsa_float_round_mode_32 0
		.amdhsa_float_round_mode_16_64 0
		.amdhsa_float_denorm_mode_32 3
		.amdhsa_float_denorm_mode_16_64 3
		.amdhsa_dx10_clamp 1
		.amdhsa_ieee_mode 1
		.amdhsa_fp16_overflow 0
		.amdhsa_tg_split 0
		.amdhsa_exception_fp_ieee_invalid_op 0
		.amdhsa_exception_fp_denorm_src 0
		.amdhsa_exception_fp_ieee_div_zero 0
		.amdhsa_exception_fp_ieee_overflow 0
		.amdhsa_exception_fp_ieee_underflow 0
		.amdhsa_exception_fp_ieee_inexact 0
		.amdhsa_exception_int_div_zero 0
	.end_amdhsa_kernel
	.section	.text._ZN9rocsparseL42csr2bsr_wavefront_per_row_multipass_kernelILj256ELj32ELj8EdilEEv20rocsparse_direction_T4_S2_S2_S2_S2_21rocsparse_index_base_PKT2_PKT3_PKS2_S3_PS4_PS7_PS2_,"axG",@progbits,_ZN9rocsparseL42csr2bsr_wavefront_per_row_multipass_kernelILj256ELj32ELj8EdilEEv20rocsparse_direction_T4_S2_S2_S2_S2_21rocsparse_index_base_PKT2_PKT3_PKS2_S3_PS4_PS7_PS2_,comdat
.Lfunc_end129:
	.size	_ZN9rocsparseL42csr2bsr_wavefront_per_row_multipass_kernelILj256ELj32ELj8EdilEEv20rocsparse_direction_T4_S2_S2_S2_S2_21rocsparse_index_base_PKT2_PKT3_PKS2_S3_PS4_PS7_PS2_, .Lfunc_end129-_ZN9rocsparseL42csr2bsr_wavefront_per_row_multipass_kernelILj256ELj32ELj8EdilEEv20rocsparse_direction_T4_S2_S2_S2_S2_21rocsparse_index_base_PKT2_PKT3_PKS2_S3_PS4_PS7_PS2_
                                        ; -- End function
	.section	.AMDGPU.csdata,"",@progbits
; Kernel info:
; codeLenInByte = 2312
; NumSgprs: 42
; NumVgprs: 41
; NumAgprs: 0
; TotalNumVgprs: 41
; ScratchSize: 0
; MemoryBound: 0
; FloatMode: 240
; IeeeMode: 1
; LDSByteSize: 4104 bytes/workgroup (compile time only)
; SGPRBlocks: 5
; VGPRBlocks: 5
; NumSGPRsForWavesPerEU: 42
; NumVGPRsForWavesPerEU: 41
; AccumOffset: 44
; Occupancy: 8
; WaveLimiterHint : 0
; COMPUTE_PGM_RSRC2:SCRATCH_EN: 0
; COMPUTE_PGM_RSRC2:USER_SGPR: 2
; COMPUTE_PGM_RSRC2:TRAP_HANDLER: 0
; COMPUTE_PGM_RSRC2:TGID_X_EN: 1
; COMPUTE_PGM_RSRC2:TGID_Y_EN: 0
; COMPUTE_PGM_RSRC2:TGID_Z_EN: 0
; COMPUTE_PGM_RSRC2:TIDIG_COMP_CNT: 0
; COMPUTE_PGM_RSRC3_GFX90A:ACCUM_OFFSET: 10
; COMPUTE_PGM_RSRC3_GFX90A:TG_SPLIT: 0
	.section	.text._ZN9rocsparseL42csr2bsr_wavefront_per_row_multipass_kernelILj256ELj64ELj16EdilEEv20rocsparse_direction_T4_S2_S2_S2_S2_21rocsparse_index_base_PKT2_PKT3_PKS2_S3_PS4_PS7_PS2_,"axG",@progbits,_ZN9rocsparseL42csr2bsr_wavefront_per_row_multipass_kernelILj256ELj64ELj16EdilEEv20rocsparse_direction_T4_S2_S2_S2_S2_21rocsparse_index_base_PKT2_PKT3_PKS2_S3_PS4_PS7_PS2_,comdat
	.globl	_ZN9rocsparseL42csr2bsr_wavefront_per_row_multipass_kernelILj256ELj64ELj16EdilEEv20rocsparse_direction_T4_S2_S2_S2_S2_21rocsparse_index_base_PKT2_PKT3_PKS2_S3_PS4_PS7_PS2_ ; -- Begin function _ZN9rocsparseL42csr2bsr_wavefront_per_row_multipass_kernelILj256ELj64ELj16EdilEEv20rocsparse_direction_T4_S2_S2_S2_S2_21rocsparse_index_base_PKT2_PKT3_PKS2_S3_PS4_PS7_PS2_
	.p2align	8
	.type	_ZN9rocsparseL42csr2bsr_wavefront_per_row_multipass_kernelILj256ELj64ELj16EdilEEv20rocsparse_direction_T4_S2_S2_S2_S2_21rocsparse_index_base_PKT2_PKT3_PKS2_S3_PS4_PS7_PS2_,@function
_ZN9rocsparseL42csr2bsr_wavefront_per_row_multipass_kernelILj256ELj64ELj16EdilEEv20rocsparse_direction_T4_S2_S2_S2_S2_21rocsparse_index_base_PKT2_PKT3_PKS2_S3_PS4_PS7_PS2_: ; @_ZN9rocsparseL42csr2bsr_wavefront_per_row_multipass_kernelILj256ELj64ELj16EdilEEv20rocsparse_direction_T4_S2_S2_S2_S2_21rocsparse_index_base_PKT2_PKT3_PKS2_S3_PS4_PS7_PS2_
; %bb.0:
	s_load_dwordx2 s[4:5], s[0:1], 0x8
	s_load_dwordx4 s[8:11], s[0:1], 0x18
	s_load_dwordx2 s[12:13], s[0:1], 0x28
	s_load_dword s33, s[0:1], 0x30
	s_load_dwordx2 s[6:7], s[0:1], 0x40
	s_ashr_i32 s3, s2, 31
	v_lshrrev_b32_e32 v34, 6, v0
	s_lshl_b64 s[14:15], s[2:3], 2
	v_bfe_u32 v2, v0, 2, 4
	v_mov_b32_e32 v3, 0
	v_or_b32_e32 v1, s14, v34
	s_waitcnt lgkmcnt(0)
	v_mul_lo_u32 v6, v1, s13
	v_mad_u64_u32 v[4:5], s[16:17], v1, s12, v[2:3]
	s_mul_i32 s3, s15, s12
	v_add3_u32 v5, s3, v5, v6
	v_cmp_gt_i64_e32 vcc, s[4:5], v[4:5]
	v_cmp_gt_i64_e64 s[4:5], s[12:13], v[2:3]
	s_and_b64 s[14:15], s[4:5], vcc
	v_mov_b32_e32 v28, v3
	s_and_saveexec_b64 s[16:17], s[14:15]
	s_cbranch_execz .LBB130_2
; %bb.1:
	v_lshl_add_u64 v[6:7], v[4:5], 2, s[6:7]
	global_load_dword v1, v[6:7], off
	s_waitcnt vmcnt(0)
	v_subrev_u32_e32 v28, s33, v1
.LBB130_2:
	s_or_b64 exec, exec, s[16:17]
	s_and_saveexec_b64 s[16:17], s[14:15]
	s_cbranch_execz .LBB130_4
; %bb.3:
	v_lshl_add_u64 v[4:5], v[4:5], 2, s[6:7]
	global_load_dword v1, v[4:5], off offset:4
	s_waitcnt vmcnt(0)
	v_subrev_u32_e32 v3, s33, v1
.LBB130_4:
	s_or_b64 exec, exec, s[16:17]
	s_load_dword s36, s[0:1], 0x50
	v_lshl_or_b32 v6, s2, 2, v34
	v_mov_b32_e32 v7, 0
	v_cmp_gt_i64_e32 vcc, s[8:9], v[6:7]
	v_mov_b32_e32 v4, v7
	s_and_saveexec_b64 s[2:3], vcc
	s_cbranch_execz .LBB130_6
; %bb.5:
	s_load_dwordx2 s[6:7], s[0:1], 0x60
	s_waitcnt lgkmcnt(0)
	v_lshl_add_u64 v[4:5], v[6:7], 2, s[6:7]
	global_load_dword v1, v[4:5], off
	s_waitcnt vmcnt(0)
	v_subrev_u32_e32 v4, s36, v1
.LBB130_6:
	s_or_b64 exec, exec, s[2:3]
	v_cmp_lt_i64_e64 s[2:3], s[10:11], 1
	s_and_b64 vcc, exec, s[2:3]
	s_cbranch_vccnz .LBB130_44
; %bb.7:
	s_mul_i32 s2, s12, s13
	s_mul_hi_u32 s3, s12, s12
	s_add_i32 s3, s3, s2
	s_load_dwordx2 s[8:9], s[0:1], 0x68
	s_add_i32 s37, s3, s2
	s_load_dwordx2 s[2:3], s[0:1], 0x58
	s_load_dwordx2 s[14:15], s[0:1], 0x48
	s_load_dwordx2 s[16:17], s[0:1], 0x38
	s_load_dword s6, s[0:1], 0x0
	v_mad_u64_u32 v[10:11], s[0:1], v2, s12, 0
	v_mov_b32_e32 v12, v11
	v_and_b32_e32 v0, 3, v0
	v_mad_u64_u32 v[12:13], s[0:1], v2, s13, v[12:13]
	v_mov_b32_e32 v11, v12
	v_mad_u64_u32 v[12:13], s[0:1], v0, s12, 0
	v_mov_b32_e32 v6, 0
	v_mov_b32_e32 v14, v13
	v_lshlrev_b32_e32 v8, 3, v2
	v_mov_b32_e32 v9, v6
	v_mad_u64_u32 v[14:15], s[0:1], v0, s13, v[14:15]
	v_or_b32_e32 v16, 4, v0
	s_waitcnt lgkmcnt(0)
	v_lshl_add_u64 v[8:9], s[2:3], 0, v[8:9]
	v_lshl_add_u64 v[10:11], v[10:11], 3, s[2:3]
	v_mov_b32_e32 v13, v14
	v_mad_u64_u32 v[14:15], s[2:3], v16, s12, 0
	v_mov_b32_e32 v17, v6
	v_mov_b32_e32 v18, v15
	v_lshlrev_b32_e32 v1, 8, v34
	v_cmp_gt_u64_e64 s[0:1], s[12:13], v[16:17]
	v_mad_u64_u32 v[16:17], s[2:3], v16, s13, v[18:19]
	v_or_b32_e32 v18, 8, v0
	v_lshl_or_b32 v35, v2, 4, v1
	v_mbcnt_lo_u32_b32 v1, -1, 0
	s_cmp_lg_u32 s6, 0
	v_mov_b32_e32 v15, v16
	v_mad_u64_u32 v[16:17], s[6:7], v18, s12, 0
	v_mbcnt_hi_u32_b32 v1, -1, v1
	v_mov_b32_e32 v19, v6
	v_mov_b32_e32 v20, v17
	v_lshlrev_b32_e32 v1, 2, v1
	v_cmp_gt_u64_e64 s[2:3], s[12:13], v[18:19]
	v_mad_u64_u32 v[18:19], s[6:7], v18, s13, v[20:21]
	v_or_b32_e32 v20, 12, v0
	v_or_b32_e32 v36, 12, v1
	;; [unrolled: 1-line block ×4, first 2 shown]
	v_mov_b32_e32 v17, v18
	v_mad_u64_u32 v[18:19], s[20:21], v20, s12, 0
	s_mov_b32 s39, 0
	v_lshlrev_b32_e32 v37, 3, v1
	v_mov_b32_e32 v1, v6
	v_mov_b32_e32 v21, v6
	;; [unrolled: 1-line block ×3, first 2 shown]
	s_cselect_b64 s[18:19], -1, 0
	v_cmp_gt_u64_e32 vcc, s[12:13], v[0:1]
	v_cmp_gt_u64_e64 s[6:7], s[12:13], v[20:21]
	v_mad_u64_u32 v[20:21], s[20:21], v20, s13, v[22:23]
	s_and_b64 s[22:23], s[4:5], s[0:1]
	s_mov_b32 s0, s39
	s_mov_b32 s1, s39
	s_mul_i32 s38, s12, s12
	v_mov_b32_e32 v19, v20
	s_and_b64 s[20:21], s[4:5], vcc
	s_and_b64 s[2:3], s[4:5], s[2:3]
	s_and_b64 s[4:5], s[4:5], s[6:7]
	s_mov_b64 s[6:7], 0
	v_mov_b64_e32 v[24:25], 0
	v_mov_b64_e32 v[20:21], s[0:1]
	s_ashr_i32 s24, s13, 31
	v_mov_b32_e32 v1, 1
	v_mov_b32_e32 v5, 0
	s_branch .LBB130_11
.LBB130_8:                              ;   in Loop: Header=BB130_11 Depth=1
	v_mov_b32_e32 v7, s25
.LBB130_9:                              ;   in Loop: Header=BB130_11 Depth=1
	s_or_b64 exec, exec, s[28:29]
.LBB130_10:                             ;   in Loop: Header=BB130_11 Depth=1
	s_or_b64 exec, exec, s[26:27]
	v_mov_b32_dpp v24, v22 row_shr:1 row_mask:0xf bank_mask:0xf
	v_mov_b32_dpp v25, v23 row_shr:1 row_mask:0xf bank_mask:0xf
	v_cmp_lt_i64_e32 vcc, v[24:25], v[22:23]
	v_add_u32_e32 v4, v7, v4
	s_waitcnt lgkmcnt(0)
	v_cndmask_b32_e32 v23, v23, v25, vcc
	v_cndmask_b32_e32 v22, v22, v24, vcc
	s_nop 0
	v_mov_b32_dpp v25, v23 row_shr:2 row_mask:0xf bank_mask:0xf
	v_mov_b32_dpp v24, v22 row_shr:2 row_mask:0xf bank_mask:0xf
	v_cmp_lt_i64_e32 vcc, v[24:25], v[22:23]
	s_nop 1
	v_cndmask_b32_e32 v23, v23, v25, vcc
	v_cndmask_b32_e32 v22, v22, v24, vcc
	s_nop 0
	v_mov_b32_dpp v25, v23 row_shr:4 row_mask:0xf bank_mask:0xe
	v_mov_b32_dpp v24, v22 row_shr:4 row_mask:0xf bank_mask:0xe
	v_cmp_lt_i64_e32 vcc, v[24:25], v[22:23]
	s_nop 1
	;; [unrolled: 7-line block ×3, first 2 shown]
	v_cndmask_b32_e32 v23, v23, v25, vcc
	v_cndmask_b32_e32 v22, v22, v24, vcc
	s_nop 0
	v_mov_b32_dpp v25, v23 row_bcast:15 row_mask:0xa bank_mask:0xf
	v_mov_b32_dpp v24, v22 row_bcast:15 row_mask:0xa bank_mask:0xf
	v_cmp_lt_i64_e32 vcc, v[24:25], v[22:23]
	s_nop 1
	v_cndmask_b32_e32 v23, v23, v25, vcc
	v_cndmask_b32_e32 v22, v22, v24, vcc
	s_nop 0
	v_mov_b32_dpp v25, v23 row_bcast:31 row_mask:0xc bank_mask:0xf
	v_mov_b32_dpp v24, v22 row_bcast:31 row_mask:0xc bank_mask:0xf
	v_cmp_lt_i64_e32 vcc, v[24:25], v[22:23]
	s_nop 1
	v_cndmask_b32_e32 v5, v22, v24, vcc
	ds_bpermute_b32 v24, v2, v5
	s_waitcnt lgkmcnt(0)
	v_ashrrev_i32_e32 v25, 31, v24
	v_cmp_le_i64_e32 vcc, s[10:11], v[24:25]
	s_or_b64 s[6:7], vcc, s[6:7]
	v_mov_b32_e32 v5, v24
	s_andn2_b64 exec, exec, s[6:7]
	s_cbranch_execz .LBB130_44
.LBB130_11:                             ; =>This Loop Header: Depth=1
                                        ;     Child Loop BB130_14 Depth 2
	v_add_u32_e32 v26, v28, v0
	v_cmp_lt_i32_e32 vcc, v26, v3
	v_mov_b64_e32 v[22:23], s[10:11]
	v_mov_b32_e32 v7, v3
	ds_write_b8 v34, v6 offset:8192
	ds_write2_b64 v37, v[20:21], v[20:21] offset1:4
	ds_write2_b64 v37, v[20:21], v[20:21] offset0:8 offset1:12
	s_waitcnt lgkmcnt(0)
	s_and_saveexec_b64 s[26:27], vcc
	s_cbranch_execz .LBB130_23
; %bb.12:                               ;   in Loop: Header=BB130_11 Depth=1
	v_mad_u64_u32 v[28:29], s[0:1], v24, s12, 0
	s_mov_b64 s[28:29], 0
	v_mov_b64_e32 v[22:23], s[10:11]
	v_mov_b32_e32 v29, v3
	s_branch .LBB130_14
.LBB130_13:                             ;   in Loop: Header=BB130_14 Depth=2
	s_or_b64 exec, exec, s[0:1]
	v_add_u32_e32 v26, 4, v26
	v_cmp_ge_i32_e64 s[0:1], v26, v3
	s_xor_b64 s[30:31], vcc, -1
	s_or_b64 s[0:1], s[30:31], s[0:1]
	s_and_b64 s[0:1], exec, s[0:1]
	s_or_b64 s[28:29], s[0:1], s[28:29]
	v_mov_b32_e32 v29, v7
	s_andn2_b64 exec, exec, s[28:29]
	s_cbranch_execz .LBB130_22
.LBB130_14:                             ;   Parent Loop BB130_11 Depth=1
                                        ; =>  This Inner Loop Header: Depth=2
	v_ashrrev_i32_e32 v27, 31, v26
	v_lshl_add_u64 v[30:31], v[26:27], 3, s[14:15]
	global_load_dwordx2 v[30:31], v[30:31], off
	v_mov_b32_e32 v7, s39
                                        ; implicit-def: $vgpr32_vgpr33
	s_waitcnt vmcnt(0)
	v_subrev_co_u32_e32 v30, vcc, s33, v30
	s_nop 1
	v_subb_co_u32_e32 v31, vcc, v31, v7, vcc
	v_or_b32_e32 v7, s13, v31
	v_cmp_ne_u64_e32 vcc, 0, v[6:7]
	s_and_saveexec_b64 s[0:1], vcc
	s_xor_b64 s[30:31], exec, s[0:1]
	s_cbranch_execz .LBB130_16
; %bb.15:                               ;   in Loop: Header=BB130_14 Depth=2
	s_add_u32 s0, s12, s24
	s_mov_b32 s25, s24
	s_addc_u32 s1, s13, s24
	s_xor_b64 s[34:35], s[0:1], s[24:25]
	v_cvt_f32_u32_e32 v7, s34
	v_cvt_f32_u32_e32 v32, s35
	s_sub_u32 s0, 0, s34
	s_subb_u32 s1, 0, s35
	v_mov_b32_e32 v39, v6
	v_fmac_f32_e32 v7, 0x4f800000, v32
	v_rcp_f32_e32 v7, v7
	s_nop 0
	v_mul_f32_e32 v7, 0x5f7ffffc, v7
	v_mul_f32_e32 v32, 0x2f800000, v7
	v_trunc_f32_e32 v32, v32
	v_fmac_f32_e32 v7, 0xcf800000, v32
	v_cvt_u32_f32_e32 v40, v32
	v_cvt_u32_f32_e32 v7, v7
	v_mul_lo_u32 v32, s0, v40
	v_mul_hi_u32 v38, s0, v7
	v_mul_lo_u32 v33, s1, v7
	v_add_u32_e32 v32, v38, v32
	v_mul_lo_u32 v41, s0, v7
	v_add_u32_e32 v42, v32, v33
	v_mul_hi_u32 v33, v7, v42
	v_mul_lo_u32 v32, v7, v42
	v_mul_hi_u32 v38, v7, v41
	v_lshl_add_u64 v[32:33], v[38:39], 0, v[32:33]
	v_mul_hi_u32 v39, v40, v41
	v_mul_lo_u32 v41, v40, v41
	v_add_co_u32_e32 v32, vcc, v32, v41
	v_mul_hi_u32 v38, v40, v42
	s_nop 0
	v_addc_co_u32_e32 v32, vcc, v33, v39, vcc
	v_mov_b32_e32 v33, v6
	s_nop 0
	v_addc_co_u32_e32 v39, vcc, 0, v38, vcc
	v_mul_lo_u32 v38, v40, v42
	v_lshl_add_u64 v[32:33], v[32:33], 0, v[38:39]
	v_add_co_u32_e32 v7, vcc, v7, v32
	v_mul_lo_u32 v38, s0, v7
	s_nop 0
	v_addc_co_u32_e32 v40, vcc, v40, v33, vcc
	v_mul_lo_u32 v32, s0, v40
	v_mul_hi_u32 v33, s0, v7
	v_add_u32_e32 v32, v33, v32
	v_mul_lo_u32 v33, s1, v7
	v_add_u32_e32 v41, v32, v33
	v_mul_hi_u32 v43, v40, v38
	v_mul_lo_u32 v44, v40, v38
	v_mul_hi_u32 v33, v7, v41
	v_mul_lo_u32 v32, v7, v41
	v_mul_hi_u32 v38, v7, v38
	v_mov_b32_e32 v39, v6
	v_lshl_add_u64 v[32:33], v[38:39], 0, v[32:33]
	v_add_co_u32_e32 v32, vcc, v32, v44
	v_mul_hi_u32 v42, v40, v41
	s_nop 0
	v_addc_co_u32_e32 v32, vcc, v33, v43, vcc
	v_mul_lo_u32 v38, v40, v41
	s_nop 0
	v_addc_co_u32_e32 v39, vcc, 0, v42, vcc
	v_mov_b32_e32 v33, v6
	v_lshl_add_u64 v[32:33], v[32:33], 0, v[38:39]
	v_add_co_u32_e32 v7, vcc, v7, v32
	v_ashrrev_i32_e32 v32, 31, v31
	s_nop 0
	v_addc_co_u32_e32 v42, vcc, v40, v33, vcc
	v_mov_b32_e32 v33, v32
	v_lshl_add_u64 v[38:39], v[30:31], 0, v[32:33]
	v_xor_b32_e32 v33, v38, v32
	v_xor_b32_e32 v31, v39, v32
	v_mad_u64_u32 v[38:39], s[0:1], v33, v42, 0
	v_mul_hi_u32 v40, v33, v7
	v_mov_b32_e32 v41, v6
	v_lshl_add_u64 v[38:39], v[40:41], 0, v[38:39]
	v_mad_u64_u32 v[40:41], s[0:1], v31, v42, 0
	v_mad_u64_u32 v[42:43], s[0:1], v31, v7, 0
	v_add_co_u32_e32 v7, vcc, v38, v42
	s_nop 1
	v_addc_co_u32_e32 v38, vcc, v39, v43, vcc
	v_mov_b32_e32 v39, v6
	s_nop 0
	v_addc_co_u32_e32 v41, vcc, 0, v41, vcc
	v_lshl_add_u64 v[38:39], v[38:39], 0, v[40:41]
	v_mul_lo_u32 v7, s35, v38
	v_mul_lo_u32 v42, s34, v39
	v_mad_u64_u32 v[40:41], s[0:1], s34, v38, 0
	v_add3_u32 v7, v41, v42, v7
	v_sub_u32_e32 v41, v31, v7
	v_mov_b32_e32 v42, s35
	v_sub_co_u32_e32 v33, vcc, v33, v40
	s_nop 1
	v_subb_co_u32_e64 v40, s[0:1], v41, v42, vcc
	v_subrev_co_u32_e64 v41, s[0:1], s34, v33
	v_subb_co_u32_e32 v7, vcc, v31, v7, vcc
	s_nop 0
	v_subbrev_co_u32_e64 v40, s[0:1], 0, v40, s[0:1]
	v_cmp_le_u32_e64 s[0:1], s35, v40
	v_cmp_le_u32_e32 vcc, s35, v7
	s_nop 0
	v_cndmask_b32_e64 v42, 0, -1, s[0:1]
	v_cmp_le_u32_e64 s[0:1], s34, v41
	v_cndmask_b32_e64 v31, 0, -1, vcc
	v_cmp_le_u32_e32 vcc, s34, v33
	v_cndmask_b32_e64 v41, 0, -1, s[0:1]
	v_cmp_eq_u32_e64 s[0:1], s35, v40
	v_cndmask_b32_e64 v33, 0, -1, vcc
	v_cmp_eq_u32_e32 vcc, s35, v7
	v_cndmask_b32_e64 v44, v42, v41, s[0:1]
	v_lshl_add_u64 v[40:41], v[38:39], 0, 2
	v_lshl_add_u64 v[42:43], v[38:39], 0, 1
	v_cmp_ne_u32_e64 s[0:1], 0, v44
	v_cndmask_b32_e32 v7, v31, v33, vcc
	v_cmp_ne_u32_e32 vcc, 0, v7
	v_cndmask_b32_e64 v31, v42, v40, s[0:1]
	v_cndmask_b32_e64 v41, v43, v41, s[0:1]
	v_cndmask_b32_e32 v31, v38, v31, vcc
	v_xor_b32_e32 v33, s24, v32
	v_cndmask_b32_e32 v7, v39, v41, vcc
	v_xor_b32_e32 v31, v31, v33
	v_xor_b32_e32 v7, v7, v33
	v_sub_co_u32_e32 v32, vcc, v31, v33
	s_nop 1
	v_subb_co_u32_e32 v33, vcc, v7, v33, vcc
.LBB130_16:                             ;   in Loop: Header=BB130_14 Depth=2
	s_andn2_saveexec_b64 s[0:1], s[30:31]
	s_cbranch_execz .LBB130_18
; %bb.17:                               ;   in Loop: Header=BB130_14 Depth=2
	v_cvt_f32_u32_e32 v7, s12
	s_sub_i32 s25, 0, s12
	v_rcp_iflag_f32_e32 v7, v7
	s_nop 0
	v_mul_f32_e32 v7, 0x4f7ffffe, v7
	v_cvt_u32_f32_e32 v7, v7
	v_mul_lo_u32 v31, s25, v7
	v_mul_hi_u32 v31, v7, v31
	v_add_u32_e32 v7, v7, v31
	v_mul_hi_u32 v7, v30, v7
	v_mul_lo_u32 v31, v7, s12
	v_sub_u32_e32 v31, v30, v31
	v_add_u32_e32 v32, 1, v7
	v_subrev_u32_e32 v33, s12, v31
	v_cmp_le_u32_e32 vcc, s12, v31
	s_nop 1
	v_cndmask_b32_e32 v31, v31, v33, vcc
	v_cndmask_b32_e32 v7, v7, v32, vcc
	v_add_u32_e32 v32, 1, v7
	v_cmp_le_u32_e32 vcc, s12, v31
	v_mov_b32_e32 v33, v6
	s_nop 0
	v_cndmask_b32_e32 v32, v7, v32, vcc
.LBB130_18:                             ;   in Loop: Header=BB130_14 Depth=2
	s_or_b64 exec, exec, s[0:1]
	v_cmp_eq_u64_e32 vcc, v[32:33], v[24:25]
	v_cmp_ne_u64_e64 s[0:1], v[32:33], v[24:25]
	s_and_saveexec_b64 s[30:31], s[0:1]
	s_xor_b64 s[30:31], exec, s[30:31]
; %bb.19:                               ;   in Loop: Header=BB130_14 Depth=2
	v_cmp_lt_i64_e64 s[0:1], v[32:33], v[22:23]
                                        ; implicit-def: $vgpr30_vgpr31
                                        ; implicit-def: $vgpr29
	s_nop 1
	v_cndmask_b32_e64 v23, v23, v33, s[0:1]
	v_cndmask_b32_e64 v22, v22, v32, s[0:1]
; %bb.20:                               ;   in Loop: Header=BB130_14 Depth=2
	s_or_saveexec_b64 s[0:1], s[30:31]
	v_mov_b32_e32 v7, v26
	s_xor_b64 exec, exec, s[0:1]
	s_cbranch_execz .LBB130_13
; %bb.21:                               ;   in Loop: Header=BB130_14 Depth=2
	v_lshl_add_u64 v[32:33], v[26:27], 3, s[16:17]
	global_load_dwordx2 v[32:33], v[32:33], off
	v_sub_u32_e32 v7, v30, v28
	v_add_lshl_u32 v7, v35, v7, 3
	ds_write_b8 v34, v1 offset:8192
	s_waitcnt vmcnt(0)
	ds_write_b64 v7, v[32:33]
	v_mov_b32_e32 v7, v29
	s_branch .LBB130_13
.LBB130_22:                             ;   in Loop: Header=BB130_11 Depth=1
	s_or_b64 exec, exec, s[28:29]
.LBB130_23:                             ;   in Loop: Header=BB130_11 Depth=1
	s_or_b64 exec, exec, s[26:27]
	v_mov_b32_dpp v24, v7 row_shr:1 row_mask:0xf bank_mask:0xf
	v_min_i32_e32 v7, v24, v7
	s_waitcnt lgkmcnt(0)
	ds_read_u8 v24, v34 offset:8192
	v_mov_b32_dpp v25, v7 row_shr:2 row_mask:0xf bank_mask:0xf
	v_min_i32_e32 v7, v25, v7
	ds_bpermute_b32 v28, v36, v7
	s_waitcnt lgkmcnt(1)
	v_and_b32_e32 v7, 1, v24
	v_cmp_eq_u32_e32 vcc, 1, v7
	v_mov_b32_e32 v7, 0
	s_and_saveexec_b64 s[26:27], vcc
	s_cbranch_execz .LBB130_10
; %bb.24:                               ;   in Loop: Header=BB130_11 Depth=1
	v_add_u32_e32 v24, s36, v5
	v_ashrrev_i32_e32 v5, 31, v4
	v_ashrrev_i32_e32 v25, 31, v24
	v_lshl_add_u64 v[26:27], v[4:5], 3, s[8:9]
	global_store_dwordx2 v[26:27], v[24:25], off
	v_mul_lo_u32 v7, s37, v4
	v_mul_lo_u32 v5, s38, v5
	v_mad_u64_u32 v[24:25], s[0:1], s38, v4, 0
	v_add3_u32 v25, v25, v5, v7
	v_lshlrev_b64 v[24:25], 3, v[24:25]
	v_lshl_add_u64 v[26:27], v[8:9], 0, v[24:25]
	v_lshl_add_u64 v[24:25], v[10:11], 0, v[24:25]
	s_and_saveexec_b64 s[0:1], s[20:21]
	s_cbranch_execz .LBB130_28
; %bb.25:                               ;   in Loop: Header=BB130_11 Depth=1
	s_and_b64 vcc, exec, s[18:19]
	s_cbranch_vccz .LBB130_39
; %bb.26:                               ;   in Loop: Header=BB130_11 Depth=1
	ds_read_b64 v[30:31], v37
	v_lshl_add_u64 v[32:33], v[12:13], 3, v[26:27]
	s_waitcnt lgkmcnt(0)
	global_store_dwordx2 v[32:33], v[30:31], off
	s_cbranch_execnz .LBB130_28
.LBB130_27:                             ;   in Loop: Header=BB130_11 Depth=1
	ds_read_b64 v[30:31], v37
	v_lshlrev_b32_e32 v32, 3, v0
	v_mov_b32_e32 v33, v6
	v_lshl_add_u64 v[32:33], v[24:25], 0, v[32:33]
	s_waitcnt lgkmcnt(0)
	global_store_dwordx2 v[32:33], v[30:31], off
.LBB130_28:                             ;   in Loop: Header=BB130_11 Depth=1
	s_or_b64 exec, exec, s[0:1]
	v_cndmask_b32_e64 v5, 0, 1, s[18:19]
	v_cmp_ne_u32_e64 s[0:1], 1, v5
	s_and_saveexec_b64 s[28:29], s[22:23]
	s_cbranch_execz .LBB130_32
; %bb.29:                               ;   in Loop: Header=BB130_11 Depth=1
	s_and_b64 vcc, exec, s[0:1]
	s_cbranch_vccnz .LBB130_40
; %bb.30:                               ;   in Loop: Header=BB130_11 Depth=1
	ds_read_b64 v[30:31], v37 offset:32
	v_lshl_add_u64 v[32:33], v[14:15], 3, v[26:27]
	s_waitcnt lgkmcnt(0)
	global_store_dwordx2 v[32:33], v[30:31], off
	s_cbranch_execnz .LBB130_32
.LBB130_31:                             ;   in Loop: Header=BB130_11 Depth=1
	ds_read_b64 v[30:31], v37 offset:32
	v_lshlrev_b32_e32 v32, 3, v0
	v_mov_b32_e32 v33, v6
	v_lshl_add_u64 v[32:33], v[24:25], 0, v[32:33]
	s_waitcnt lgkmcnt(0)
	global_store_dwordx2 v[32:33], v[30:31], off offset:32
.LBB130_32:                             ;   in Loop: Header=BB130_11 Depth=1
	s_or_b64 exec, exec, s[28:29]
	s_and_saveexec_b64 s[28:29], s[2:3]
	s_cbranch_execz .LBB130_36
; %bb.33:                               ;   in Loop: Header=BB130_11 Depth=1
	s_and_b64 vcc, exec, s[0:1]
	s_cbranch_vccnz .LBB130_41
; %bb.34:                               ;   in Loop: Header=BB130_11 Depth=1
	ds_read_b64 v[30:31], v37 offset:64
	v_lshl_add_u64 v[32:33], v[16:17], 3, v[26:27]
	s_waitcnt lgkmcnt(0)
	global_store_dwordx2 v[32:33], v[30:31], off
	s_cbranch_execnz .LBB130_36
.LBB130_35:                             ;   in Loop: Header=BB130_11 Depth=1
	ds_read_b64 v[30:31], v37 offset:64
	v_lshlrev_b32_e32 v32, 3, v0
	v_mov_b32_e32 v33, v6
	v_lshl_add_u64 v[32:33], v[24:25], 0, v[32:33]
	s_waitcnt lgkmcnt(0)
	global_store_dwordx2 v[32:33], v[30:31], off offset:64
.LBB130_36:                             ;   in Loop: Header=BB130_11 Depth=1
	s_or_b64 exec, exec, s[28:29]
	v_mov_b32_e32 v7, 1
	s_and_saveexec_b64 s[28:29], s[4:5]
	s_cbranch_execz .LBB130_9
; %bb.37:                               ;   in Loop: Header=BB130_11 Depth=1
	s_and_b64 vcc, exec, s[0:1]
	s_cbranch_vccnz .LBB130_42
; %bb.38:                               ;   in Loop: Header=BB130_11 Depth=1
	ds_read_b64 v[30:31], v37 offset:96
	v_lshl_add_u64 v[26:27], v[18:19], 3, v[26:27]
	s_mov_b32 s25, 1
	s_waitcnt lgkmcnt(0)
	global_store_dwordx2 v[26:27], v[30:31], off
	s_cbranch_execnz .LBB130_8
	s_branch .LBB130_43
.LBB130_39:                             ;   in Loop: Header=BB130_11 Depth=1
	s_branch .LBB130_27
.LBB130_40:                             ;   in Loop: Header=BB130_11 Depth=1
	s_branch .LBB130_31
.LBB130_41:                             ;   in Loop: Header=BB130_11 Depth=1
	s_branch .LBB130_35
.LBB130_42:                             ;   in Loop: Header=BB130_11 Depth=1
                                        ; implicit-def: $sgpr25
.LBB130_43:                             ;   in Loop: Header=BB130_11 Depth=1
	ds_read_b64 v[26:27], v37 offset:96
	v_lshlrev_b32_e32 v30, 3, v0
	v_mov_b32_e32 v31, v6
	v_lshl_add_u64 v[24:25], v[24:25], 0, v[30:31]
	s_mov_b32 s25, 1
	s_waitcnt lgkmcnt(0)
	global_store_dwordx2 v[24:25], v[26:27], off offset:96
	s_branch .LBB130_8
.LBB130_44:
	s_endpgm
	.section	.rodata,"a",@progbits
	.p2align	6, 0x0
	.amdhsa_kernel _ZN9rocsparseL42csr2bsr_wavefront_per_row_multipass_kernelILj256ELj64ELj16EdilEEv20rocsparse_direction_T4_S2_S2_S2_S2_21rocsparse_index_base_PKT2_PKT3_PKS2_S3_PS4_PS7_PS2_
		.amdhsa_group_segment_fixed_size 8200
		.amdhsa_private_segment_fixed_size 0
		.amdhsa_kernarg_size 112
		.amdhsa_user_sgpr_count 2
		.amdhsa_user_sgpr_dispatch_ptr 0
		.amdhsa_user_sgpr_queue_ptr 0
		.amdhsa_user_sgpr_kernarg_segment_ptr 1
		.amdhsa_user_sgpr_dispatch_id 0
		.amdhsa_user_sgpr_kernarg_preload_length 0
		.amdhsa_user_sgpr_kernarg_preload_offset 0
		.amdhsa_user_sgpr_private_segment_size 0
		.amdhsa_uses_dynamic_stack 0
		.amdhsa_enable_private_segment 0
		.amdhsa_system_sgpr_workgroup_id_x 1
		.amdhsa_system_sgpr_workgroup_id_y 0
		.amdhsa_system_sgpr_workgroup_id_z 0
		.amdhsa_system_sgpr_workgroup_info 0
		.amdhsa_system_vgpr_workitem_id 0
		.amdhsa_next_free_vgpr 45
		.amdhsa_next_free_sgpr 40
		.amdhsa_accum_offset 48
		.amdhsa_reserve_vcc 1
		.amdhsa_float_round_mode_32 0
		.amdhsa_float_round_mode_16_64 0
		.amdhsa_float_denorm_mode_32 3
		.amdhsa_float_denorm_mode_16_64 3
		.amdhsa_dx10_clamp 1
		.amdhsa_ieee_mode 1
		.amdhsa_fp16_overflow 0
		.amdhsa_tg_split 0
		.amdhsa_exception_fp_ieee_invalid_op 0
		.amdhsa_exception_fp_denorm_src 0
		.amdhsa_exception_fp_ieee_div_zero 0
		.amdhsa_exception_fp_ieee_overflow 0
		.amdhsa_exception_fp_ieee_underflow 0
		.amdhsa_exception_fp_ieee_inexact 0
		.amdhsa_exception_int_div_zero 0
	.end_amdhsa_kernel
	.section	.text._ZN9rocsparseL42csr2bsr_wavefront_per_row_multipass_kernelILj256ELj64ELj16EdilEEv20rocsparse_direction_T4_S2_S2_S2_S2_21rocsparse_index_base_PKT2_PKT3_PKS2_S3_PS4_PS7_PS2_,"axG",@progbits,_ZN9rocsparseL42csr2bsr_wavefront_per_row_multipass_kernelILj256ELj64ELj16EdilEEv20rocsparse_direction_T4_S2_S2_S2_S2_21rocsparse_index_base_PKT2_PKT3_PKS2_S3_PS4_PS7_PS2_,comdat
.Lfunc_end130:
	.size	_ZN9rocsparseL42csr2bsr_wavefront_per_row_multipass_kernelILj256ELj64ELj16EdilEEv20rocsparse_direction_T4_S2_S2_S2_S2_21rocsparse_index_base_PKT2_PKT3_PKS2_S3_PS4_PS7_PS2_, .Lfunc_end130-_ZN9rocsparseL42csr2bsr_wavefront_per_row_multipass_kernelILj256ELj64ELj16EdilEEv20rocsparse_direction_T4_S2_S2_S2_S2_21rocsparse_index_base_PKT2_PKT3_PKS2_S3_PS4_PS7_PS2_
                                        ; -- End function
	.section	.AMDGPU.csdata,"",@progbits
; Kernel info:
; codeLenInByte = 2644
; NumSgprs: 46
; NumVgprs: 45
; NumAgprs: 0
; TotalNumVgprs: 45
; ScratchSize: 0
; MemoryBound: 0
; FloatMode: 240
; IeeeMode: 1
; LDSByteSize: 8200 bytes/workgroup (compile time only)
; SGPRBlocks: 5
; VGPRBlocks: 5
; NumSGPRsForWavesPerEU: 46
; NumVGPRsForWavesPerEU: 45
; AccumOffset: 48
; Occupancy: 7
; WaveLimiterHint : 0
; COMPUTE_PGM_RSRC2:SCRATCH_EN: 0
; COMPUTE_PGM_RSRC2:USER_SGPR: 2
; COMPUTE_PGM_RSRC2:TRAP_HANDLER: 0
; COMPUTE_PGM_RSRC2:TGID_X_EN: 1
; COMPUTE_PGM_RSRC2:TGID_Y_EN: 0
; COMPUTE_PGM_RSRC2:TGID_Z_EN: 0
; COMPUTE_PGM_RSRC2:TIDIG_COMP_CNT: 0
; COMPUTE_PGM_RSRC3_GFX90A:ACCUM_OFFSET: 11
; COMPUTE_PGM_RSRC3_GFX90A:TG_SPLIT: 0
	.section	.text._ZN9rocsparseL42csr2bsr_wavefront_per_row_multipass_kernelILj256ELj32ELj16EdilEEv20rocsparse_direction_T4_S2_S2_S2_S2_21rocsparse_index_base_PKT2_PKT3_PKS2_S3_PS4_PS7_PS2_,"axG",@progbits,_ZN9rocsparseL42csr2bsr_wavefront_per_row_multipass_kernelILj256ELj32ELj16EdilEEv20rocsparse_direction_T4_S2_S2_S2_S2_21rocsparse_index_base_PKT2_PKT3_PKS2_S3_PS4_PS7_PS2_,comdat
	.globl	_ZN9rocsparseL42csr2bsr_wavefront_per_row_multipass_kernelILj256ELj32ELj16EdilEEv20rocsparse_direction_T4_S2_S2_S2_S2_21rocsparse_index_base_PKT2_PKT3_PKS2_S3_PS4_PS7_PS2_ ; -- Begin function _ZN9rocsparseL42csr2bsr_wavefront_per_row_multipass_kernelILj256ELj32ELj16EdilEEv20rocsparse_direction_T4_S2_S2_S2_S2_21rocsparse_index_base_PKT2_PKT3_PKS2_S3_PS4_PS7_PS2_
	.p2align	8
	.type	_ZN9rocsparseL42csr2bsr_wavefront_per_row_multipass_kernelILj256ELj32ELj16EdilEEv20rocsparse_direction_T4_S2_S2_S2_S2_21rocsparse_index_base_PKT2_PKT3_PKS2_S3_PS4_PS7_PS2_,@function
_ZN9rocsparseL42csr2bsr_wavefront_per_row_multipass_kernelILj256ELj32ELj16EdilEEv20rocsparse_direction_T4_S2_S2_S2_S2_21rocsparse_index_base_PKT2_PKT3_PKS2_S3_PS4_PS7_PS2_: ; @_ZN9rocsparseL42csr2bsr_wavefront_per_row_multipass_kernelILj256ELj32ELj16EdilEEv20rocsparse_direction_T4_S2_S2_S2_S2_21rocsparse_index_base_PKT2_PKT3_PKS2_S3_PS4_PS7_PS2_
; %bb.0:
	s_load_dwordx2 s[4:5], s[0:1], 0x8
	s_load_dwordx4 s[16:19], s[0:1], 0x18
	s_load_dwordx2 s[20:21], s[0:1], 0x28
	s_load_dword s33, s[0:1], 0x30
	s_load_dwordx2 s[6:7], s[0:1], 0x40
	s_ashr_i32 s3, s2, 31
	v_lshrrev_b32_e32 v42, 5, v0
	s_lshl_b64 s[8:9], s[2:3], 3
	v_bfe_u32 v2, v0, 1, 4
	v_mov_b32_e32 v3, 0
	v_or_b32_e32 v1, s8, v42
	s_waitcnt lgkmcnt(0)
	v_mul_lo_u32 v6, v1, s21
	v_mad_u64_u32 v[4:5], s[10:11], v1, s20, v[2:3]
	s_mul_i32 s3, s9, s20
	v_add3_u32 v5, s3, v5, v6
	v_cmp_gt_i64_e32 vcc, s[4:5], v[4:5]
	v_cmp_gt_i64_e64 s[4:5], s[20:21], v[2:3]
	s_and_b64 s[8:9], s[4:5], vcc
	v_mov_b32_e32 v36, v3
	s_and_saveexec_b64 s[10:11], s[8:9]
	s_cbranch_execz .LBB131_2
; %bb.1:
	v_lshl_add_u64 v[6:7], v[4:5], 2, s[6:7]
	global_load_dword v1, v[6:7], off
	s_waitcnt vmcnt(0)
	v_subrev_u32_e32 v36, s33, v1
.LBB131_2:
	s_or_b64 exec, exec, s[10:11]
	s_and_saveexec_b64 s[10:11], s[8:9]
	s_cbranch_execz .LBB131_4
; %bb.3:
	v_lshl_add_u64 v[4:5], v[4:5], 2, s[6:7]
	global_load_dword v1, v[4:5], off offset:4
	s_waitcnt vmcnt(0)
	v_subrev_u32_e32 v3, s33, v1
.LBB131_4:
	s_or_b64 exec, exec, s[10:11]
	s_load_dword s44, s[0:1], 0x50
	v_lshl_or_b32 v6, s2, 3, v42
	v_mov_b32_e32 v7, 0
	v_cmp_gt_i64_e32 vcc, s[16:17], v[6:7]
	v_mov_b32_e32 v4, v7
	s_and_saveexec_b64 s[2:3], vcc
	s_cbranch_execz .LBB131_6
; %bb.5:
	s_load_dwordx2 s[6:7], s[0:1], 0x60
	s_waitcnt lgkmcnt(0)
	v_lshl_add_u64 v[4:5], v[6:7], 2, s[6:7]
	global_load_dword v1, v[4:5], off
	s_waitcnt vmcnt(0)
	v_subrev_u32_e32 v4, s44, v1
.LBB131_6:
	s_or_b64 exec, exec, s[2:3]
	v_cmp_lt_i64_e64 s[2:3], s[18:19], 1
	s_and_b64 vcc, exec, s[2:3]
	s_cbranch_vccnz .LBB131_64
; %bb.7:
	s_mul_i32 s2, s20, s21
	s_mul_hi_u32 s3, s20, s20
	s_add_i32 s3, s3, s2
	s_load_dwordx2 s[16:17], s[0:1], 0x68
	s_add_i32 s45, s3, s2
	s_load_dwordx2 s[2:3], s[0:1], 0x58
	s_load_dwordx2 s[22:23], s[0:1], 0x48
	;; [unrolled: 1-line block ×3, first 2 shown]
	s_load_dword s6, s[0:1], 0x0
	v_mad_u64_u32 v[10:11], s[0:1], v2, s20, 0
	v_mov_b32_e32 v12, v11
	v_mov_b32_e32 v6, 0
	v_and_b32_e32 v0, 1, v0
	v_mad_u64_u32 v[12:13], s[0:1], v2, s21, v[12:13]
	v_lshlrev_b32_e32 v8, 3, v2
	v_mov_b32_e32 v9, v6
	v_mov_b32_e32 v11, v12
	v_or_b32_e32 v16, 2, v0
	s_waitcnt lgkmcnt(0)
	v_lshl_add_u64 v[8:9], s[2:3], 0, v[8:9]
	v_lshl_add_u64 v[10:11], v[10:11], 3, s[2:3]
	v_mad_u64_u32 v[14:15], s[2:3], v16, s20, 0
	v_mov_b32_e32 v17, v6
	v_mov_b32_e32 v18, v15
	v_cmp_gt_u64_e64 s[0:1], s[20:21], v[16:17]
	v_mad_u64_u32 v[16:17], s[2:3], v16, s21, v[18:19]
	v_or_b32_e32 v18, 4, v0
	s_cmp_lg_u32 s6, 0
	v_mov_b32_e32 v15, v16
	v_mad_u64_u32 v[16:17], s[6:7], v18, s20, 0
	v_mov_b32_e32 v19, v6
	v_mov_b32_e32 v20, v17
	v_cmp_gt_u64_e64 s[2:3], s[20:21], v[18:19]
	v_mad_u64_u32 v[18:19], s[6:7], v18, s21, v[20:21]
	v_or_b32_e32 v20, 6, v0
	v_mov_b32_e32 v17, v18
	v_mad_u64_u32 v[18:19], s[8:9], v20, s20, 0
	v_mov_b32_e32 v21, v6
	v_mov_b32_e32 v22, v19
	v_cmp_gt_u64_e64 s[6:7], s[20:21], v[20:21]
	v_mad_u64_u32 v[20:21], s[8:9], v20, s21, v[22:23]
	v_or_b32_e32 v22, 8, v0
	;; [unrolled: 7-line block ×3, first 2 shown]
	v_mov_b32_e32 v21, v22
	v_mad_u64_u32 v[22:23], s[12:13], v24, s20, 0
	v_mov_b32_e32 v25, v6
	v_mov_b32_e32 v26, v23
	v_lshlrev_b32_e32 v1, 8, v42
	v_cmp_gt_u64_e64 s[10:11], s[20:21], v[24:25]
	v_mad_u64_u32 v[24:25], s[12:13], v24, s21, v[26:27]
	v_or_b32_e32 v26, 12, v0
	v_lshl_or_b32 v43, v2, 4, v1
	v_mbcnt_lo_u32_b32 v1, -1, 0
	v_mov_b32_e32 v23, v24
	v_mad_u64_u32 v[24:25], s[14:15], v26, s20, 0
	v_mbcnt_hi_u32_b32 v1, -1, v1
	v_mov_b32_e32 v27, v6
	v_mov_b32_e32 v28, v25
	v_lshlrev_b32_e32 v1, 2, v1
	v_cmp_gt_u64_e64 s[12:13], s[20:21], v[26:27]
	v_mad_u64_u32 v[26:27], s[14:15], v26, s21, v[28:29]
	v_or_b32_e32 v28, 14, v0
	v_or_b32_e32 v44, 4, v1
	;; [unrolled: 1-line block ×4, first 2 shown]
	v_mov_b32_e32 v25, v26
	v_mad_u64_u32 v[26:27], s[28:29], v28, s20, 0
	s_mov_b32 s47, 0
	v_lshlrev_b32_e32 v45, 3, v1
	v_mov_b32_e32 v1, v6
	v_mov_b32_e32 v29, v6
	;; [unrolled: 1-line block ×3, first 2 shown]
	s_cselect_b64 s[26:27], -1, 0
	v_cmp_gt_u64_e32 vcc, s[20:21], v[0:1]
	v_cmp_gt_u64_e64 s[14:15], s[20:21], v[28:29]
	v_mad_u64_u32 v[28:29], s[28:29], v28, s21, v[30:31]
	s_and_b64 s[30:31], s[4:5], s[0:1]
	s_mov_b32 s0, s47
	s_mov_b32 s1, s47
	s_mul_i32 s46, s20, s20
	v_mul_lo_u32 v13, v0, s21
	v_mul_lo_u32 v12, v0, s20
	v_mov_b32_e32 v27, v28
	s_and_b64 s[28:29], s[4:5], vcc
	s_and_b64 s[2:3], s[4:5], s[2:3]
	s_and_b64 s[6:7], s[4:5], s[6:7]
	;; [unrolled: 1-line block ×6, first 2 shown]
	s_mov_b64 s[14:15], 0
	v_mov_b64_e32 v[32:33], 0
	v_mov_b64_e32 v[28:29], s[0:1]
	s_ashr_i32 s34, s21, 31
	v_mov_b32_e32 v1, 1
	v_mov_b32_e32 v5, 0
	s_branch .LBB131_11
.LBB131_8:                              ;   in Loop: Header=BB131_11 Depth=1
	v_mov_b32_e32 v7, s35
.LBB131_9:                              ;   in Loop: Header=BB131_11 Depth=1
	s_or_b64 exec, exec, s[38:39]
.LBB131_10:                             ;   in Loop: Header=BB131_11 Depth=1
	s_or_b64 exec, exec, s[36:37]
	v_mov_b32_dpp v32, v30 row_shr:1 row_mask:0xf bank_mask:0xf
	v_mov_b32_dpp v33, v31 row_shr:1 row_mask:0xf bank_mask:0xf
	v_cmp_lt_i64_e32 vcc, v[32:33], v[30:31]
	v_add_u32_e32 v4, v7, v4
	s_waitcnt lgkmcnt(0)
	v_cndmask_b32_e32 v31, v31, v33, vcc
	v_cndmask_b32_e32 v30, v30, v32, vcc
	s_nop 0
	v_mov_b32_dpp v33, v31 row_shr:2 row_mask:0xf bank_mask:0xf
	v_mov_b32_dpp v32, v30 row_shr:2 row_mask:0xf bank_mask:0xf
	v_cmp_lt_i64_e32 vcc, v[32:33], v[30:31]
	s_nop 1
	v_cndmask_b32_e32 v31, v31, v33, vcc
	v_cndmask_b32_e32 v30, v30, v32, vcc
	s_nop 0
	v_mov_b32_dpp v33, v31 row_shr:4 row_mask:0xf bank_mask:0xe
	v_mov_b32_dpp v32, v30 row_shr:4 row_mask:0xf bank_mask:0xe
	v_cmp_lt_i64_e32 vcc, v[32:33], v[30:31]
	s_nop 1
	;; [unrolled: 7-line block ×3, first 2 shown]
	v_cndmask_b32_e32 v31, v31, v33, vcc
	v_cndmask_b32_e32 v30, v30, v32, vcc
	s_nop 0
	v_mov_b32_dpp v33, v31 row_bcast:15 row_mask:0xa bank_mask:0xf
	v_mov_b32_dpp v32, v30 row_bcast:15 row_mask:0xa bank_mask:0xf
	v_cmp_lt_i64_e32 vcc, v[32:33], v[30:31]
	s_nop 1
	v_cndmask_b32_e32 v5, v30, v32, vcc
	ds_bpermute_b32 v32, v2, v5
	s_waitcnt lgkmcnt(0)
	v_ashrrev_i32_e32 v33, 31, v32
	v_cmp_le_i64_e32 vcc, s[18:19], v[32:33]
	s_or_b64 s[14:15], vcc, s[14:15]
	v_mov_b32_e32 v5, v32
	s_andn2_b64 exec, exec, s[14:15]
	s_cbranch_execz .LBB131_64
.LBB131_11:                             ; =>This Loop Header: Depth=1
                                        ;     Child Loop BB131_14 Depth 2
	v_add_u32_e32 v34, v36, v0
	v_cmp_lt_i32_e32 vcc, v34, v3
	v_mov_b64_e32 v[30:31], s[18:19]
	v_mov_b32_e32 v7, v3
	ds_write_b8 v42, v6 offset:16384
	ds_write2_b64 v45, v[28:29], v[28:29] offset1:2
	ds_write2_b64 v45, v[28:29], v[28:29] offset0:4 offset1:6
	ds_write2_b64 v45, v[28:29], v[28:29] offset0:8 offset1:10
	;; [unrolled: 1-line block ×3, first 2 shown]
	s_waitcnt lgkmcnt(0)
	s_and_saveexec_b64 s[36:37], vcc
	s_cbranch_execz .LBB131_23
; %bb.12:                               ;   in Loop: Header=BB131_11 Depth=1
	v_mad_u64_u32 v[36:37], s[0:1], v32, s20, 0
	s_mov_b64 s[38:39], 0
	v_mov_b64_e32 v[30:31], s[18:19]
	v_mov_b32_e32 v37, v3
	s_branch .LBB131_14
.LBB131_13:                             ;   in Loop: Header=BB131_14 Depth=2
	s_or_b64 exec, exec, s[0:1]
	v_add_u32_e32 v34, 2, v34
	v_cmp_ge_i32_e64 s[0:1], v34, v3
	s_xor_b64 s[40:41], vcc, -1
	s_or_b64 s[0:1], s[40:41], s[0:1]
	s_and_b64 s[0:1], exec, s[0:1]
	s_or_b64 s[38:39], s[0:1], s[38:39]
	v_mov_b32_e32 v37, v7
	s_andn2_b64 exec, exec, s[38:39]
	s_cbranch_execz .LBB131_22
.LBB131_14:                             ;   Parent Loop BB131_11 Depth=1
                                        ; =>  This Inner Loop Header: Depth=2
	v_ashrrev_i32_e32 v35, 31, v34
	v_lshl_add_u64 v[38:39], v[34:35], 3, s[22:23]
	global_load_dwordx2 v[38:39], v[38:39], off
	v_mov_b32_e32 v7, s47
                                        ; implicit-def: $vgpr40_vgpr41
	s_waitcnt vmcnt(0)
	v_subrev_co_u32_e32 v38, vcc, s33, v38
	s_nop 1
	v_subb_co_u32_e32 v39, vcc, v39, v7, vcc
	v_or_b32_e32 v7, s21, v39
	v_cmp_ne_u64_e32 vcc, 0, v[6:7]
	s_and_saveexec_b64 s[0:1], vcc
	s_xor_b64 s[40:41], exec, s[0:1]
	s_cbranch_execz .LBB131_16
; %bb.15:                               ;   in Loop: Header=BB131_14 Depth=2
	s_add_u32 s0, s20, s34
	s_mov_b32 s35, s34
	s_addc_u32 s1, s21, s34
	s_xor_b64 s[42:43], s[0:1], s[34:35]
	v_cvt_f32_u32_e32 v7, s42
	v_cvt_f32_u32_e32 v40, s43
	s_sub_u32 s0, 0, s42
	s_subb_u32 s1, 0, s43
	v_mov_b32_e32 v47, v6
	v_fmac_f32_e32 v7, 0x4f800000, v40
	v_rcp_f32_e32 v7, v7
	s_nop 0
	v_mul_f32_e32 v7, 0x5f7ffffc, v7
	v_mul_f32_e32 v40, 0x2f800000, v7
	v_trunc_f32_e32 v40, v40
	v_fmac_f32_e32 v7, 0xcf800000, v40
	v_cvt_u32_f32_e32 v48, v40
	v_cvt_u32_f32_e32 v7, v7
	v_mul_lo_u32 v40, s0, v48
	v_mul_hi_u32 v46, s0, v7
	v_mul_lo_u32 v41, s1, v7
	v_add_u32_e32 v40, v46, v40
	v_mul_lo_u32 v49, s0, v7
	v_add_u32_e32 v50, v40, v41
	v_mul_hi_u32 v41, v7, v50
	v_mul_lo_u32 v40, v7, v50
	v_mul_hi_u32 v46, v7, v49
	v_lshl_add_u64 v[40:41], v[46:47], 0, v[40:41]
	v_mul_hi_u32 v47, v48, v49
	v_mul_lo_u32 v49, v48, v49
	v_add_co_u32_e32 v40, vcc, v40, v49
	v_mul_hi_u32 v46, v48, v50
	s_nop 0
	v_addc_co_u32_e32 v40, vcc, v41, v47, vcc
	v_mov_b32_e32 v41, v6
	s_nop 0
	v_addc_co_u32_e32 v47, vcc, 0, v46, vcc
	v_mul_lo_u32 v46, v48, v50
	v_lshl_add_u64 v[40:41], v[40:41], 0, v[46:47]
	v_add_co_u32_e32 v7, vcc, v7, v40
	v_mul_lo_u32 v46, s0, v7
	s_nop 0
	v_addc_co_u32_e32 v48, vcc, v48, v41, vcc
	v_mul_lo_u32 v40, s0, v48
	v_mul_hi_u32 v41, s0, v7
	v_add_u32_e32 v40, v41, v40
	v_mul_lo_u32 v41, s1, v7
	v_add_u32_e32 v49, v40, v41
	v_mul_hi_u32 v51, v48, v46
	v_mul_lo_u32 v52, v48, v46
	v_mul_hi_u32 v41, v7, v49
	v_mul_lo_u32 v40, v7, v49
	v_mul_hi_u32 v46, v7, v46
	v_mov_b32_e32 v47, v6
	v_lshl_add_u64 v[40:41], v[46:47], 0, v[40:41]
	v_add_co_u32_e32 v40, vcc, v40, v52
	v_mul_hi_u32 v50, v48, v49
	s_nop 0
	v_addc_co_u32_e32 v40, vcc, v41, v51, vcc
	v_mul_lo_u32 v46, v48, v49
	s_nop 0
	v_addc_co_u32_e32 v47, vcc, 0, v50, vcc
	v_mov_b32_e32 v41, v6
	v_lshl_add_u64 v[40:41], v[40:41], 0, v[46:47]
	v_add_co_u32_e32 v7, vcc, v7, v40
	v_ashrrev_i32_e32 v40, 31, v39
	s_nop 0
	v_addc_co_u32_e32 v50, vcc, v48, v41, vcc
	v_mov_b32_e32 v41, v40
	v_lshl_add_u64 v[46:47], v[38:39], 0, v[40:41]
	v_xor_b32_e32 v41, v46, v40
	v_xor_b32_e32 v39, v47, v40
	v_mad_u64_u32 v[46:47], s[0:1], v41, v50, 0
	v_mul_hi_u32 v48, v41, v7
	v_mov_b32_e32 v49, v6
	v_lshl_add_u64 v[46:47], v[48:49], 0, v[46:47]
	v_mad_u64_u32 v[48:49], s[0:1], v39, v50, 0
	v_mad_u64_u32 v[50:51], s[0:1], v39, v7, 0
	v_add_co_u32_e32 v7, vcc, v46, v50
	s_nop 1
	v_addc_co_u32_e32 v46, vcc, v47, v51, vcc
	v_mov_b32_e32 v47, v6
	s_nop 0
	v_addc_co_u32_e32 v49, vcc, 0, v49, vcc
	v_lshl_add_u64 v[46:47], v[46:47], 0, v[48:49]
	v_mul_lo_u32 v7, s43, v46
	v_mul_lo_u32 v50, s42, v47
	v_mad_u64_u32 v[48:49], s[0:1], s42, v46, 0
	v_add3_u32 v7, v49, v50, v7
	v_sub_u32_e32 v49, v39, v7
	v_mov_b32_e32 v50, s43
	v_sub_co_u32_e32 v41, vcc, v41, v48
	s_nop 1
	v_subb_co_u32_e64 v48, s[0:1], v49, v50, vcc
	v_subrev_co_u32_e64 v49, s[0:1], s42, v41
	v_subb_co_u32_e32 v7, vcc, v39, v7, vcc
	s_nop 0
	v_subbrev_co_u32_e64 v48, s[0:1], 0, v48, s[0:1]
	v_cmp_le_u32_e64 s[0:1], s43, v48
	v_cmp_le_u32_e32 vcc, s43, v7
	s_nop 0
	v_cndmask_b32_e64 v50, 0, -1, s[0:1]
	v_cmp_le_u32_e64 s[0:1], s42, v49
	v_cndmask_b32_e64 v39, 0, -1, vcc
	v_cmp_le_u32_e32 vcc, s42, v41
	v_cndmask_b32_e64 v49, 0, -1, s[0:1]
	v_cmp_eq_u32_e64 s[0:1], s43, v48
	v_cndmask_b32_e64 v41, 0, -1, vcc
	v_cmp_eq_u32_e32 vcc, s43, v7
	v_cndmask_b32_e64 v52, v50, v49, s[0:1]
	v_lshl_add_u64 v[48:49], v[46:47], 0, 2
	v_lshl_add_u64 v[50:51], v[46:47], 0, 1
	v_cmp_ne_u32_e64 s[0:1], 0, v52
	v_cndmask_b32_e32 v7, v39, v41, vcc
	v_cmp_ne_u32_e32 vcc, 0, v7
	v_cndmask_b32_e64 v39, v50, v48, s[0:1]
	v_cndmask_b32_e64 v49, v51, v49, s[0:1]
	v_cndmask_b32_e32 v39, v46, v39, vcc
	v_xor_b32_e32 v41, s34, v40
	v_cndmask_b32_e32 v7, v47, v49, vcc
	v_xor_b32_e32 v39, v39, v41
	v_xor_b32_e32 v7, v7, v41
	v_sub_co_u32_e32 v40, vcc, v39, v41
	s_nop 1
	v_subb_co_u32_e32 v41, vcc, v7, v41, vcc
.LBB131_16:                             ;   in Loop: Header=BB131_14 Depth=2
	s_andn2_saveexec_b64 s[0:1], s[40:41]
	s_cbranch_execz .LBB131_18
; %bb.17:                               ;   in Loop: Header=BB131_14 Depth=2
	v_cvt_f32_u32_e32 v7, s20
	s_sub_i32 s35, 0, s20
	v_rcp_iflag_f32_e32 v7, v7
	s_nop 0
	v_mul_f32_e32 v7, 0x4f7ffffe, v7
	v_cvt_u32_f32_e32 v7, v7
	v_mul_lo_u32 v39, s35, v7
	v_mul_hi_u32 v39, v7, v39
	v_add_u32_e32 v7, v7, v39
	v_mul_hi_u32 v7, v38, v7
	v_mul_lo_u32 v39, v7, s20
	v_sub_u32_e32 v39, v38, v39
	v_add_u32_e32 v40, 1, v7
	v_subrev_u32_e32 v41, s20, v39
	v_cmp_le_u32_e32 vcc, s20, v39
	s_nop 1
	v_cndmask_b32_e32 v39, v39, v41, vcc
	v_cndmask_b32_e32 v7, v7, v40, vcc
	v_add_u32_e32 v40, 1, v7
	v_cmp_le_u32_e32 vcc, s20, v39
	v_mov_b32_e32 v41, v6
	s_nop 0
	v_cndmask_b32_e32 v40, v7, v40, vcc
.LBB131_18:                             ;   in Loop: Header=BB131_14 Depth=2
	s_or_b64 exec, exec, s[0:1]
	v_cmp_eq_u64_e32 vcc, v[40:41], v[32:33]
	v_cmp_ne_u64_e64 s[0:1], v[40:41], v[32:33]
	s_and_saveexec_b64 s[40:41], s[0:1]
	s_xor_b64 s[40:41], exec, s[40:41]
; %bb.19:                               ;   in Loop: Header=BB131_14 Depth=2
	v_cmp_lt_i64_e64 s[0:1], v[40:41], v[30:31]
                                        ; implicit-def: $vgpr38_vgpr39
                                        ; implicit-def: $vgpr37
	s_nop 1
	v_cndmask_b32_e64 v31, v31, v41, s[0:1]
	v_cndmask_b32_e64 v30, v30, v40, s[0:1]
; %bb.20:                               ;   in Loop: Header=BB131_14 Depth=2
	s_or_saveexec_b64 s[0:1], s[40:41]
	v_mov_b32_e32 v7, v34
	s_xor_b64 exec, exec, s[0:1]
	s_cbranch_execz .LBB131_13
; %bb.21:                               ;   in Loop: Header=BB131_14 Depth=2
	v_lshl_add_u64 v[40:41], v[34:35], 3, s[24:25]
	global_load_dwordx2 v[40:41], v[40:41], off
	v_sub_u32_e32 v7, v38, v36
	v_add_lshl_u32 v7, v43, v7, 3
	ds_write_b8 v42, v1 offset:16384
	s_waitcnt vmcnt(0)
	ds_write_b64 v7, v[40:41]
	v_mov_b32_e32 v7, v37
	s_branch .LBB131_13
.LBB131_22:                             ;   in Loop: Header=BB131_11 Depth=1
	s_or_b64 exec, exec, s[38:39]
.LBB131_23:                             ;   in Loop: Header=BB131_11 Depth=1
	s_or_b64 exec, exec, s[36:37]
	s_waitcnt lgkmcnt(0)
	ds_read_u8 v32, v42 offset:16384
	v_mov_b32_dpp v33, v7 row_shr:1 row_mask:0xf bank_mask:0xf
	v_min_i32_e32 v7, v33, v7
	ds_bpermute_b32 v36, v44, v7
	s_waitcnt lgkmcnt(1)
	v_and_b32_e32 v7, 1, v32
	v_cmp_eq_u32_e32 vcc, 1, v7
	v_mov_b32_e32 v7, 0
	s_and_saveexec_b64 s[36:37], vcc
	s_cbranch_execz .LBB131_10
; %bb.24:                               ;   in Loop: Header=BB131_11 Depth=1
	v_add_u32_e32 v32, s44, v5
	v_ashrrev_i32_e32 v5, 31, v4
	v_ashrrev_i32_e32 v33, 31, v32
	v_lshl_add_u64 v[34:35], v[4:5], 3, s[16:17]
	global_store_dwordx2 v[34:35], v[32:33], off
	v_mul_lo_u32 v7, s45, v4
	v_mul_lo_u32 v5, s46, v5
	v_mad_u64_u32 v[32:33], s[0:1], s46, v4, 0
	v_add3_u32 v33, v33, v5, v7
	v_lshlrev_b64 v[32:33], 3, v[32:33]
	v_lshl_add_u64 v[34:35], v[8:9], 0, v[32:33]
	v_lshl_add_u64 v[32:33], v[10:11], 0, v[32:33]
	s_and_saveexec_b64 s[0:1], s[28:29]
	s_cbranch_execz .LBB131_28
; %bb.25:                               ;   in Loop: Header=BB131_11 Depth=1
	s_and_b64 vcc, exec, s[26:27]
	s_cbranch_vccz .LBB131_55
; %bb.26:                               ;   in Loop: Header=BB131_11 Depth=1
	ds_read_b64 v[38:39], v45
	v_lshl_add_u64 v[40:41], v[12:13], 3, v[34:35]
	s_waitcnt lgkmcnt(0)
	global_store_dwordx2 v[40:41], v[38:39], off
	s_cbranch_execnz .LBB131_28
.LBB131_27:                             ;   in Loop: Header=BB131_11 Depth=1
	ds_read_b64 v[38:39], v45
	v_lshlrev_b32_e32 v40, 3, v0
	v_mov_b32_e32 v41, v6
	v_lshl_add_u64 v[40:41], v[32:33], 0, v[40:41]
	s_waitcnt lgkmcnt(0)
	global_store_dwordx2 v[40:41], v[38:39], off
.LBB131_28:                             ;   in Loop: Header=BB131_11 Depth=1
	s_or_b64 exec, exec, s[0:1]
	v_cndmask_b32_e64 v5, 0, 1, s[26:27]
	v_cmp_ne_u32_e64 s[0:1], 1, v5
	s_and_saveexec_b64 s[38:39], s[30:31]
	s_cbranch_execz .LBB131_32
; %bb.29:                               ;   in Loop: Header=BB131_11 Depth=1
	s_and_b64 vcc, exec, s[0:1]
	s_cbranch_vccnz .LBB131_56
; %bb.30:                               ;   in Loop: Header=BB131_11 Depth=1
	ds_read_b64 v[38:39], v45 offset:16
	v_lshl_add_u64 v[40:41], v[14:15], 3, v[34:35]
	s_waitcnt lgkmcnt(0)
	global_store_dwordx2 v[40:41], v[38:39], off
	s_cbranch_execnz .LBB131_32
.LBB131_31:                             ;   in Loop: Header=BB131_11 Depth=1
	ds_read_b64 v[38:39], v45 offset:16
	v_lshlrev_b32_e32 v40, 3, v0
	v_mov_b32_e32 v41, v6
	v_lshl_add_u64 v[40:41], v[32:33], 0, v[40:41]
	s_waitcnt lgkmcnt(0)
	global_store_dwordx2 v[40:41], v[38:39], off offset:16
.LBB131_32:                             ;   in Loop: Header=BB131_11 Depth=1
	s_or_b64 exec, exec, s[38:39]
	s_and_saveexec_b64 s[38:39], s[2:3]
	s_cbranch_execz .LBB131_36
; %bb.33:                               ;   in Loop: Header=BB131_11 Depth=1
	s_and_b64 vcc, exec, s[0:1]
	s_cbranch_vccnz .LBB131_57
; %bb.34:                               ;   in Loop: Header=BB131_11 Depth=1
	ds_read_b64 v[38:39], v45 offset:32
	v_lshl_add_u64 v[40:41], v[16:17], 3, v[34:35]
	s_waitcnt lgkmcnt(0)
	global_store_dwordx2 v[40:41], v[38:39], off
	s_cbranch_execnz .LBB131_36
.LBB131_35:                             ;   in Loop: Header=BB131_11 Depth=1
	ds_read_b64 v[38:39], v45 offset:32
	v_lshlrev_b32_e32 v40, 3, v0
	v_mov_b32_e32 v41, v6
	v_lshl_add_u64 v[40:41], v[32:33], 0, v[40:41]
	s_waitcnt lgkmcnt(0)
	global_store_dwordx2 v[40:41], v[38:39], off offset:32
.LBB131_36:                             ;   in Loop: Header=BB131_11 Depth=1
	s_or_b64 exec, exec, s[38:39]
	s_and_saveexec_b64 s[38:39], s[6:7]
	s_cbranch_execz .LBB131_40
; %bb.37:                               ;   in Loop: Header=BB131_11 Depth=1
	s_and_b64 vcc, exec, s[0:1]
	s_cbranch_vccnz .LBB131_58
; %bb.38:                               ;   in Loop: Header=BB131_11 Depth=1
	ds_read_b64 v[38:39], v45 offset:48
	v_lshl_add_u64 v[40:41], v[18:19], 3, v[34:35]
	s_waitcnt lgkmcnt(0)
	global_store_dwordx2 v[40:41], v[38:39], off
	s_cbranch_execnz .LBB131_40
.LBB131_39:                             ;   in Loop: Header=BB131_11 Depth=1
	ds_read_b64 v[38:39], v45 offset:48
	v_lshlrev_b32_e32 v40, 3, v0
	v_mov_b32_e32 v41, v6
	v_lshl_add_u64 v[40:41], v[32:33], 0, v[40:41]
	s_waitcnt lgkmcnt(0)
	global_store_dwordx2 v[40:41], v[38:39], off offset:48
.LBB131_40:                             ;   in Loop: Header=BB131_11 Depth=1
	s_or_b64 exec, exec, s[38:39]
	s_and_saveexec_b64 s[38:39], s[8:9]
	s_cbranch_execz .LBB131_44
; %bb.41:                               ;   in Loop: Header=BB131_11 Depth=1
	s_and_b64 vcc, exec, s[0:1]
	s_cbranch_vccnz .LBB131_59
; %bb.42:                               ;   in Loop: Header=BB131_11 Depth=1
	ds_read_b64 v[38:39], v45 offset:64
	v_lshl_add_u64 v[40:41], v[20:21], 3, v[34:35]
	s_waitcnt lgkmcnt(0)
	global_store_dwordx2 v[40:41], v[38:39], off
	s_cbranch_execnz .LBB131_44
.LBB131_43:                             ;   in Loop: Header=BB131_11 Depth=1
	ds_read_b64 v[38:39], v45 offset:64
	v_lshlrev_b32_e32 v40, 3, v0
	v_mov_b32_e32 v41, v6
	v_lshl_add_u64 v[40:41], v[32:33], 0, v[40:41]
	s_waitcnt lgkmcnt(0)
	global_store_dwordx2 v[40:41], v[38:39], off offset:64
.LBB131_44:                             ;   in Loop: Header=BB131_11 Depth=1
	s_or_b64 exec, exec, s[38:39]
	s_and_saveexec_b64 s[38:39], s[10:11]
	s_cbranch_execz .LBB131_48
; %bb.45:                               ;   in Loop: Header=BB131_11 Depth=1
	s_and_b64 vcc, exec, s[0:1]
	s_cbranch_vccnz .LBB131_60
; %bb.46:                               ;   in Loop: Header=BB131_11 Depth=1
	ds_read_b64 v[38:39], v45 offset:80
	v_lshl_add_u64 v[40:41], v[22:23], 3, v[34:35]
	s_waitcnt lgkmcnt(0)
	global_store_dwordx2 v[40:41], v[38:39], off
	s_cbranch_execnz .LBB131_48
.LBB131_47:                             ;   in Loop: Header=BB131_11 Depth=1
	ds_read_b64 v[38:39], v45 offset:80
	v_lshlrev_b32_e32 v40, 3, v0
	v_mov_b32_e32 v41, v6
	v_lshl_add_u64 v[40:41], v[32:33], 0, v[40:41]
	s_waitcnt lgkmcnt(0)
	global_store_dwordx2 v[40:41], v[38:39], off offset:80
.LBB131_48:                             ;   in Loop: Header=BB131_11 Depth=1
	s_or_b64 exec, exec, s[38:39]
	s_and_saveexec_b64 s[38:39], s[12:13]
	s_cbranch_execz .LBB131_52
; %bb.49:                               ;   in Loop: Header=BB131_11 Depth=1
	s_and_b64 vcc, exec, s[0:1]
	s_cbranch_vccnz .LBB131_61
; %bb.50:                               ;   in Loop: Header=BB131_11 Depth=1
	ds_read_b64 v[38:39], v45 offset:96
	v_lshl_add_u64 v[40:41], v[24:25], 3, v[34:35]
	s_waitcnt lgkmcnt(0)
	global_store_dwordx2 v[40:41], v[38:39], off
	s_cbranch_execnz .LBB131_52
.LBB131_51:                             ;   in Loop: Header=BB131_11 Depth=1
	ds_read_b64 v[38:39], v45 offset:96
	v_lshlrev_b32_e32 v40, 3, v0
	v_mov_b32_e32 v41, v6
	v_lshl_add_u64 v[40:41], v[32:33], 0, v[40:41]
	s_waitcnt lgkmcnt(0)
	global_store_dwordx2 v[40:41], v[38:39], off offset:96
.LBB131_52:                             ;   in Loop: Header=BB131_11 Depth=1
	s_or_b64 exec, exec, s[38:39]
	v_mov_b32_e32 v7, 1
	s_and_saveexec_b64 s[38:39], s[4:5]
	s_cbranch_execz .LBB131_9
; %bb.53:                               ;   in Loop: Header=BB131_11 Depth=1
	s_and_b64 vcc, exec, s[0:1]
	s_cbranch_vccnz .LBB131_62
; %bb.54:                               ;   in Loop: Header=BB131_11 Depth=1
	ds_read_b64 v[38:39], v45 offset:112
	v_lshl_add_u64 v[34:35], v[26:27], 3, v[34:35]
	s_mov_b32 s35, 1
	s_waitcnt lgkmcnt(0)
	global_store_dwordx2 v[34:35], v[38:39], off
	s_cbranch_execnz .LBB131_8
	s_branch .LBB131_63
.LBB131_55:                             ;   in Loop: Header=BB131_11 Depth=1
	s_branch .LBB131_27
.LBB131_56:                             ;   in Loop: Header=BB131_11 Depth=1
	s_branch .LBB131_31
.LBB131_57:                             ;   in Loop: Header=BB131_11 Depth=1
	s_branch .LBB131_35
.LBB131_58:                             ;   in Loop: Header=BB131_11 Depth=1
	s_branch .LBB131_39
.LBB131_59:                             ;   in Loop: Header=BB131_11 Depth=1
	s_branch .LBB131_43
.LBB131_60:                             ;   in Loop: Header=BB131_11 Depth=1
	s_branch .LBB131_47
.LBB131_61:                             ;   in Loop: Header=BB131_11 Depth=1
	s_branch .LBB131_51
.LBB131_62:                             ;   in Loop: Header=BB131_11 Depth=1
                                        ; implicit-def: $sgpr35
.LBB131_63:                             ;   in Loop: Header=BB131_11 Depth=1
	ds_read_b64 v[34:35], v45 offset:112
	v_lshlrev_b32_e32 v38, 3, v0
	v_mov_b32_e32 v39, v6
	v_lshl_add_u64 v[32:33], v[32:33], 0, v[38:39]
	s_mov_b32 s35, 1
	s_waitcnt lgkmcnt(0)
	global_store_dwordx2 v[32:33], v[34:35], off offset:112
	s_branch .LBB131_8
.LBB131_64:
	s_endpgm
	.section	.rodata,"a",@progbits
	.p2align	6, 0x0
	.amdhsa_kernel _ZN9rocsparseL42csr2bsr_wavefront_per_row_multipass_kernelILj256ELj32ELj16EdilEEv20rocsparse_direction_T4_S2_S2_S2_S2_21rocsparse_index_base_PKT2_PKT3_PKS2_S3_PS4_PS7_PS2_
		.amdhsa_group_segment_fixed_size 16392
		.amdhsa_private_segment_fixed_size 0
		.amdhsa_kernarg_size 112
		.amdhsa_user_sgpr_count 2
		.amdhsa_user_sgpr_dispatch_ptr 0
		.amdhsa_user_sgpr_queue_ptr 0
		.amdhsa_user_sgpr_kernarg_segment_ptr 1
		.amdhsa_user_sgpr_dispatch_id 0
		.amdhsa_user_sgpr_kernarg_preload_length 0
		.amdhsa_user_sgpr_kernarg_preload_offset 0
		.amdhsa_user_sgpr_private_segment_size 0
		.amdhsa_uses_dynamic_stack 0
		.amdhsa_enable_private_segment 0
		.amdhsa_system_sgpr_workgroup_id_x 1
		.amdhsa_system_sgpr_workgroup_id_y 0
		.amdhsa_system_sgpr_workgroup_id_z 0
		.amdhsa_system_sgpr_workgroup_info 0
		.amdhsa_system_vgpr_workitem_id 0
		.amdhsa_next_free_vgpr 53
		.amdhsa_next_free_sgpr 48
		.amdhsa_accum_offset 56
		.amdhsa_reserve_vcc 1
		.amdhsa_float_round_mode_32 0
		.amdhsa_float_round_mode_16_64 0
		.amdhsa_float_denorm_mode_32 3
		.amdhsa_float_denorm_mode_16_64 3
		.amdhsa_dx10_clamp 1
		.amdhsa_ieee_mode 1
		.amdhsa_fp16_overflow 0
		.amdhsa_tg_split 0
		.amdhsa_exception_fp_ieee_invalid_op 0
		.amdhsa_exception_fp_denorm_src 0
		.amdhsa_exception_fp_ieee_div_zero 0
		.amdhsa_exception_fp_ieee_overflow 0
		.amdhsa_exception_fp_ieee_underflow 0
		.amdhsa_exception_fp_ieee_inexact 0
		.amdhsa_exception_int_div_zero 0
	.end_amdhsa_kernel
	.section	.text._ZN9rocsparseL42csr2bsr_wavefront_per_row_multipass_kernelILj256ELj32ELj16EdilEEv20rocsparse_direction_T4_S2_S2_S2_S2_21rocsparse_index_base_PKT2_PKT3_PKS2_S3_PS4_PS7_PS2_,"axG",@progbits,_ZN9rocsparseL42csr2bsr_wavefront_per_row_multipass_kernelILj256ELj32ELj16EdilEEv20rocsparse_direction_T4_S2_S2_S2_S2_21rocsparse_index_base_PKT2_PKT3_PKS2_S3_PS4_PS7_PS2_,comdat
.Lfunc_end131:
	.size	_ZN9rocsparseL42csr2bsr_wavefront_per_row_multipass_kernelILj256ELj32ELj16EdilEEv20rocsparse_direction_T4_S2_S2_S2_S2_21rocsparse_index_base_PKT2_PKT3_PKS2_S3_PS4_PS7_PS2_, .Lfunc_end131-_ZN9rocsparseL42csr2bsr_wavefront_per_row_multipass_kernelILj256ELj32ELj16EdilEEv20rocsparse_direction_T4_S2_S2_S2_S2_21rocsparse_index_base_PKT2_PKT3_PKS2_S3_PS4_PS7_PS2_
                                        ; -- End function
	.section	.AMDGPU.csdata,"",@progbits
; Kernel info:
; codeLenInByte = 3148
; NumSgprs: 54
; NumVgprs: 53
; NumAgprs: 0
; TotalNumVgprs: 53
; ScratchSize: 0
; MemoryBound: 0
; FloatMode: 240
; IeeeMode: 1
; LDSByteSize: 16392 bytes/workgroup (compile time only)
; SGPRBlocks: 6
; VGPRBlocks: 6
; NumSGPRsForWavesPerEU: 54
; NumVGPRsForWavesPerEU: 53
; AccumOffset: 56
; Occupancy: 3
; WaveLimiterHint : 0
; COMPUTE_PGM_RSRC2:SCRATCH_EN: 0
; COMPUTE_PGM_RSRC2:USER_SGPR: 2
; COMPUTE_PGM_RSRC2:TRAP_HANDLER: 0
; COMPUTE_PGM_RSRC2:TGID_X_EN: 1
; COMPUTE_PGM_RSRC2:TGID_Y_EN: 0
; COMPUTE_PGM_RSRC2:TGID_Z_EN: 0
; COMPUTE_PGM_RSRC2:TIDIG_COMP_CNT: 0
; COMPUTE_PGM_RSRC3_GFX90A:ACCUM_OFFSET: 13
; COMPUTE_PGM_RSRC3_GFX90A:TG_SPLIT: 0
	.section	.text._ZN9rocsparseL38csr2bsr_block_per_row_multipass_kernelILj256ELj32EdilEEv20rocsparse_direction_T3_S2_S2_S2_S2_21rocsparse_index_base_PKT1_PKT2_PKS2_S3_PS4_PS7_PS2_,"axG",@progbits,_ZN9rocsparseL38csr2bsr_block_per_row_multipass_kernelILj256ELj32EdilEEv20rocsparse_direction_T3_S2_S2_S2_S2_21rocsparse_index_base_PKT1_PKT2_PKS2_S3_PS4_PS7_PS2_,comdat
	.globl	_ZN9rocsparseL38csr2bsr_block_per_row_multipass_kernelILj256ELj32EdilEEv20rocsparse_direction_T3_S2_S2_S2_S2_21rocsparse_index_base_PKT1_PKT2_PKS2_S3_PS4_PS7_PS2_ ; -- Begin function _ZN9rocsparseL38csr2bsr_block_per_row_multipass_kernelILj256ELj32EdilEEv20rocsparse_direction_T3_S2_S2_S2_S2_21rocsparse_index_base_PKT1_PKT2_PKS2_S3_PS4_PS7_PS2_
	.p2align	8
	.type	_ZN9rocsparseL38csr2bsr_block_per_row_multipass_kernelILj256ELj32EdilEEv20rocsparse_direction_T3_S2_S2_S2_S2_21rocsparse_index_base_PKT1_PKT2_PKS2_S3_PS4_PS7_PS2_,@function
_ZN9rocsparseL38csr2bsr_block_per_row_multipass_kernelILj256ELj32EdilEEv20rocsparse_direction_T3_S2_S2_S2_S2_21rocsparse_index_base_PKT1_PKT2_PKS2_S3_PS4_PS7_PS2_: ; @_ZN9rocsparseL38csr2bsr_block_per_row_multipass_kernelILj256ELj32EdilEEv20rocsparse_direction_T3_S2_S2_S2_S2_21rocsparse_index_base_PKT1_PKT2_PKS2_S3_PS4_PS7_PS2_
; %bb.0:
	s_load_dwordx2 s[6:7], s[0:1], 0x8
	s_load_dwordx4 s[20:23], s[0:1], 0x20
	s_load_dword s33, s[0:1], 0x30
	s_load_dwordx2 s[4:5], s[0:1], 0x40
	s_ashr_i32 s3, s2, 31
	v_lshrrev_b32_e32 v2, 3, v0
	v_mov_b32_e32 v3, 0
	s_waitcnt lgkmcnt(0)
	s_mul_i32 s8, s2, s23
	s_mul_i32 s9, s3, s22
	v_mov_b32_e32 v1, s22
	s_add_i32 s10, s8, s9
	v_mad_u64_u32 v[4:5], s[8:9], s2, v1, v[2:3]
	v_add_u32_e32 v5, s10, v5
	v_cmp_gt_i64_e32 vcc, s[6:7], v[4:5]
	v_cmp_gt_i64_e64 s[18:19], s[22:23], v[2:3]
	s_and_b64 s[6:7], s[18:19], vcc
	v_mov_b32_e32 v26, v3
	s_and_saveexec_b64 s[8:9], s[6:7]
	s_cbranch_execnz .LBB132_3
; %bb.1:
	s_or_b64 exec, exec, s[8:9]
	s_and_saveexec_b64 s[8:9], s[6:7]
	s_cbranch_execnz .LBB132_4
.LBB132_2:
	s_or_b64 exec, exec, s[8:9]
	v_cmp_lt_i64_e64 s[4:5], s[20:21], 1
	s_and_b64 vcc, exec, s[4:5]
	s_cbranch_vccz .LBB132_5
	s_branch .LBB132_45
.LBB132_3:
	v_lshl_add_u64 v[6:7], v[4:5], 2, s[4:5]
	global_load_dword v1, v[6:7], off
	s_waitcnt vmcnt(0)
	v_subrev_u32_e32 v26, s33, v1
	s_or_b64 exec, exec, s[8:9]
	s_and_saveexec_b64 s[8:9], s[6:7]
	s_cbranch_execz .LBB132_2
.LBB132_4:
	v_lshl_add_u64 v[4:5], v[4:5], 2, s[4:5]
	global_load_dword v1, v[4:5], off offset:4
	s_waitcnt vmcnt(0)
	v_subrev_u32_e32 v3, s33, v1
	s_or_b64 exec, exec, s[8:9]
	v_cmp_lt_i64_e64 s[4:5], s[20:21], 1
	s_and_b64 vcc, exec, s[4:5]
	s_cbranch_vccnz .LBB132_45
.LBB132_5:
	s_load_dwordx2 s[24:25], s[0:1], 0x68
	s_load_dwordx4 s[4:7], s[0:1], 0x58
	s_mul_i32 s8, s22, s23
	s_mul_hi_u32 s9, s22, s22
	s_add_i32 s9, s9, s8
	s_add_i32 s58, s9, s8
	s_lshl_b64 s[2:3], s[2:3], 2
	s_waitcnt lgkmcnt(0)
	s_add_u32 s2, s6, s2
	s_load_dword s61, s[0:1], 0x50
	s_addc_u32 s3, s7, s3
	s_load_dword s6, s[2:3], 0x0
	s_load_dwordx2 s[26:27], s[0:1], 0x48
	s_load_dwordx2 s[28:29], s[0:1], 0x38
	s_load_dword s7, s[0:1], 0x0
	v_mad_u64_u32 v[10:11], s[2:3], v2, s22, 0
	v_mov_b32_e32 v12, v11
	v_mov_b32_e32 v4, 0
	v_mad_u64_u32 v[12:13], s[2:3], v2, s23, v[12:13]
	v_lshlrev_b32_e32 v6, 3, v2
	v_mov_b32_e32 v7, v4
	v_and_b32_e32 v8, 7, v0
	s_waitcnt lgkmcnt(0)
	s_sub_i32 s30, s6, s61
	v_lshlrev_b32_e32 v30, 5, v2
	v_mbcnt_lo_u32_b32 v1, -1, 0
	v_mov_b32_e32 v11, v12
	s_movk_i32 s2, 0x80
	v_lshl_add_u64 v[6:7], s[4:5], 0, v[6:7]
	v_mbcnt_hi_u32_b32 v1, -1, v1
	s_cmp_eq_u32 s7, 0
	v_lshl_add_u64 v[10:11], v[10:11], 3, s[4:5]
	v_lshlrev_b32_e32 v2, 3, v0
	v_cmp_gt_u32_e64 s[2:3], s2, v0
	v_cmp_gt_u32_e64 s[4:5], 64, v0
	;; [unrolled: 1-line block ×7, first 2 shown]
	v_cmp_eq_u32_e64 s[16:17], 0, v0
	v_or_b32_e32 v0, v30, v8
	v_lshl_or_b32 v31, v1, 2, 28
	v_lshlrev_b32_e32 v12, 3, v8
	v_mov_b32_e32 v13, v4
	v_lshlrev_b32_e32 v32, 3, v0
	v_mad_u64_u32 v[0:1], s[36:37], v8, s22, 0
	v_lshl_add_u64 v[10:11], v[10:11], 0, v[12:13]
	v_mov_b32_e32 v12, v1
	v_mad_u64_u32 v[12:13], s[36:37], v8, s23, v[12:13]
	v_or_b32_e32 v14, 8, v8
	v_mov_b32_e32 v9, v4
	v_mov_b32_e32 v1, v12
	v_mad_u64_u32 v[12:13], s[38:39], v14, s22, 0
	v_cmp_gt_i64_e32 vcc, s[22:23], v[8:9]
	v_mov_b32_e32 v15, v4
	v_mov_b32_e32 v16, v13
	s_cselect_b64 s[0:1], -1, 0
	s_and_b64 s[34:35], s[18:19], vcc
	v_cmp_gt_i64_e32 vcc, s[22:23], v[14:15]
	v_mad_u64_u32 v[14:15], s[38:39], v14, s23, v[16:17]
	v_or_b32_e32 v16, 16, v8
	v_mov_b32_e32 v13, v14
	v_mad_u64_u32 v[14:15], s[40:41], v16, s22, 0
	v_mov_b32_e32 v17, v4
	v_mov_b32_e32 v18, v15
	s_and_b64 s[36:37], s[18:19], vcc
	v_cmp_gt_i64_e32 vcc, s[22:23], v[16:17]
	v_mad_u64_u32 v[16:17], s[40:41], v16, s23, v[18:19]
	v_or_b32_e32 v18, 24, v8
	v_mov_b32_e32 v19, v4
	s_and_b64 s[38:39], s[18:19], vcc
	v_cmp_gt_i64_e32 vcc, s[22:23], v[18:19]
	v_mov_b32_e32 v15, v16
	s_and_b64 s[40:41], s[18:19], vcc
	v_mad_u64_u32 v[16:17], s[18:19], v18, s22, 0
	v_mov_b32_e32 v20, v17
	s_mov_b32 s60, 0
	v_mad_u64_u32 v[18:19], s[18:19], v18, s23, v[20:21]
	s_mov_b32 s18, s60
	s_mov_b32 s19, s60
	s_mul_i32 s59, s22, s22
	v_mov_b32_e32 v17, v18
	s_mov_b64 s[46:47], 0
	v_mov_b64_e32 v[18:19], s[18:19]
	s_mov_b64 s[42:43], 0x80
	s_mov_b64 s[44:45], 0xc0
	v_mov_b32_e32 v9, 1
	v_mov_b32_e32 v22, 0
	s_branch .LBB132_7
.LBB132_6:                              ;   in Loop: Header=BB132_7 Depth=1
	s_or_b64 exec, exec, s[18:19]
	s_waitcnt lgkmcnt(0)
	s_barrier
	ds_read_b64 v[22:23], v4
	v_mov_b64_e32 v[20:21], s[20:21]
	s_add_i32 s30, s31, s30
	s_waitcnt lgkmcnt(0)
	s_barrier
	v_readfirstlane_b32 s18, v22
	v_readfirstlane_b32 s19, v23
	s_bfe_i64 s[46:47], s[18:19], 0x200000
	v_cmp_lt_i64_e32 vcc, s[46:47], v[20:21]
	s_cbranch_vccz .LBB132_45
.LBB132_7:                              ; =>This Loop Header: Depth=1
                                        ;     Child Loop BB132_10 Depth 2
	v_add_u32_e32 v24, v26, v8
	v_cmp_lt_i32_e32 vcc, v24, v3
	v_mov_b64_e32 v[20:21], s[20:21]
	v_mov_b32_e32 v5, v3
	ds_write_b8 v4, v4 offset:8192
	ds_write2_b64 v32, v[18:19], v[18:19] offset1:8
	ds_write2_b64 v32, v[18:19], v[18:19] offset0:16 offset1:24
	s_waitcnt lgkmcnt(0)
	s_barrier
	s_and_saveexec_b64 s[48:49], vcc
	s_cbranch_execz .LBB132_19
; %bb.8:                                ;   in Loop: Header=BB132_7 Depth=1
	s_mul_i32 s31, s46, s22
	s_mov_b64 s[50:51], 0
	v_mov_b64_e32 v[20:21], s[20:21]
	v_mov_b32_e32 v23, v3
	s_branch .LBB132_10
.LBB132_9:                              ;   in Loop: Header=BB132_10 Depth=2
	s_or_b64 exec, exec, s[18:19]
	v_add_u32_e32 v24, 8, v24
	v_cmp_ge_i32_e64 s[18:19], v24, v3
	s_xor_b64 s[52:53], vcc, -1
	s_or_b64 s[18:19], s[52:53], s[18:19]
	s_and_b64 s[18:19], exec, s[18:19]
	s_or_b64 s[50:51], s[18:19], s[50:51]
	v_mov_b32_e32 v23, v5
	s_andn2_b64 exec, exec, s[50:51]
	s_cbranch_execz .LBB132_18
.LBB132_10:                             ;   Parent Loop BB132_7 Depth=1
                                        ; =>  This Inner Loop Header: Depth=2
	v_ashrrev_i32_e32 v25, 31, v24
	v_lshl_add_u64 v[26:27], v[24:25], 3, s[26:27]
	global_load_dwordx2 v[26:27], v[26:27], off
	v_mov_b32_e32 v5, s60
                                        ; implicit-def: $vgpr28_vgpr29
	s_waitcnt vmcnt(0)
	v_subrev_co_u32_e32 v26, vcc, s33, v26
	s_nop 1
	v_subb_co_u32_e32 v27, vcc, v27, v5, vcc
	v_or_b32_e32 v5, s23, v27
	v_cmp_ne_u64_e32 vcc, 0, v[4:5]
	s_and_saveexec_b64 s[18:19], vcc
	s_xor_b64 s[52:53], exec, s[18:19]
	s_cbranch_execz .LBB132_12
; %bb.11:                               ;   in Loop: Header=BB132_10 Depth=2
	s_ashr_i32 s54, s23, 31
	s_add_u32 s18, s22, s54
	s_mov_b32 s55, s54
	s_addc_u32 s19, s23, s54
	s_xor_b64 s[56:57], s[18:19], s[54:55]
	v_cvt_f32_u32_e32 v5, s56
	v_cvt_f32_u32_e32 v28, s57
	s_sub_u32 s18, 0, s56
	s_subb_u32 s19, 0, s57
	v_mov_b32_e32 v35, v4
	v_fmac_f32_e32 v5, 0x4f800000, v28
	v_rcp_f32_e32 v5, v5
	s_nop 0
	v_mul_f32_e32 v5, 0x5f7ffffc, v5
	v_mul_f32_e32 v28, 0x2f800000, v5
	v_trunc_f32_e32 v28, v28
	v_fmac_f32_e32 v5, 0xcf800000, v28
	v_cvt_u32_f32_e32 v33, v28
	v_cvt_u32_f32_e32 v5, v5
	v_mul_lo_u32 v28, s18, v33
	v_mul_hi_u32 v34, s18, v5
	v_mul_lo_u32 v29, s19, v5
	v_add_u32_e32 v28, v34, v28
	v_mul_lo_u32 v36, s18, v5
	v_add_u32_e32 v37, v28, v29
	v_mul_hi_u32 v29, v5, v37
	v_mul_lo_u32 v28, v5, v37
	v_mul_hi_u32 v34, v5, v36
	v_lshl_add_u64 v[28:29], v[34:35], 0, v[28:29]
	v_mul_hi_u32 v35, v33, v36
	v_mul_lo_u32 v36, v33, v36
	v_add_co_u32_e32 v28, vcc, v28, v36
	v_mul_hi_u32 v34, v33, v37
	s_nop 0
	v_addc_co_u32_e32 v28, vcc, v29, v35, vcc
	v_mov_b32_e32 v29, v4
	s_nop 0
	v_addc_co_u32_e32 v35, vcc, 0, v34, vcc
	v_mul_lo_u32 v34, v33, v37
	v_lshl_add_u64 v[28:29], v[28:29], 0, v[34:35]
	v_add_co_u32_e32 v5, vcc, v5, v28
	v_mul_lo_u32 v34, s18, v5
	s_nop 0
	v_addc_co_u32_e32 v33, vcc, v33, v29, vcc
	v_mul_lo_u32 v28, s18, v33
	v_mul_hi_u32 v29, s18, v5
	v_add_u32_e32 v28, v29, v28
	v_mul_lo_u32 v29, s19, v5
	v_add_u32_e32 v36, v28, v29
	v_mul_hi_u32 v38, v33, v34
	v_mul_lo_u32 v39, v33, v34
	v_mul_hi_u32 v29, v5, v36
	v_mul_lo_u32 v28, v5, v36
	v_mul_hi_u32 v34, v5, v34
	v_mov_b32_e32 v35, v4
	v_lshl_add_u64 v[28:29], v[34:35], 0, v[28:29]
	v_add_co_u32_e32 v28, vcc, v28, v39
	v_mul_hi_u32 v37, v33, v36
	s_nop 0
	v_addc_co_u32_e32 v28, vcc, v29, v38, vcc
	v_mul_lo_u32 v34, v33, v36
	s_nop 0
	v_addc_co_u32_e32 v35, vcc, 0, v37, vcc
	v_mov_b32_e32 v29, v4
	v_lshl_add_u64 v[28:29], v[28:29], 0, v[34:35]
	v_add_co_u32_e32 v5, vcc, v5, v28
	v_ashrrev_i32_e32 v28, 31, v27
	s_nop 0
	v_addc_co_u32_e32 v33, vcc, v33, v29, vcc
	v_mov_b32_e32 v29, v28
	v_lshl_add_u64 v[34:35], v[26:27], 0, v[28:29]
	v_xor_b32_e32 v29, v34, v28
	v_xor_b32_e32 v27, v35, v28
	v_mad_u64_u32 v[34:35], s[18:19], v29, v33, 0
	v_mul_hi_u32 v36, v29, v5
	v_mov_b32_e32 v37, v4
	v_lshl_add_u64 v[34:35], v[36:37], 0, v[34:35]
	v_mad_u64_u32 v[38:39], s[18:19], v27, v5, 0
	v_add_co_u32_e32 v5, vcc, v34, v38
	v_mad_u64_u32 v[36:37], s[18:19], v27, v33, 0
	s_nop 0
	v_addc_co_u32_e32 v34, vcc, v35, v39, vcc
	v_mov_b32_e32 v35, v4
	s_nop 0
	v_addc_co_u32_e32 v37, vcc, 0, v37, vcc
	v_lshl_add_u64 v[34:35], v[34:35], 0, v[36:37]
	v_mul_lo_u32 v5, s57, v34
	v_mul_lo_u32 v33, s56, v35
	v_mad_u64_u32 v[36:37], s[18:19], s56, v34, 0
	v_add3_u32 v5, v37, v33, v5
	v_sub_u32_e32 v33, v27, v5
	v_mov_b32_e32 v37, s57
	v_sub_co_u32_e32 v29, vcc, v29, v36
	v_lshl_add_u64 v[38:39], v[34:35], 0, 1
	s_nop 0
	v_subb_co_u32_e64 v33, s[18:19], v33, v37, vcc
	v_subrev_co_u32_e64 v36, s[18:19], s56, v29
	v_subb_co_u32_e32 v5, vcc, v27, v5, vcc
	s_nop 0
	v_subbrev_co_u32_e64 v33, s[18:19], 0, v33, s[18:19]
	v_cmp_le_u32_e64 s[18:19], s57, v33
	v_cmp_le_u32_e32 vcc, s57, v5
	s_nop 0
	v_cndmask_b32_e64 v37, 0, -1, s[18:19]
	v_cmp_le_u32_e64 s[18:19], s56, v36
	v_cndmask_b32_e64 v27, 0, -1, vcc
	v_cmp_le_u32_e32 vcc, s56, v29
	v_cndmask_b32_e64 v36, 0, -1, s[18:19]
	v_cmp_eq_u32_e64 s[18:19], s57, v33
	v_cndmask_b32_e64 v29, 0, -1, vcc
	v_cmp_eq_u32_e32 vcc, s57, v5
	v_cndmask_b32_e64 v33, v37, v36, s[18:19]
	v_lshl_add_u64 v[36:37], v[34:35], 0, 2
	v_cmp_ne_u32_e64 s[18:19], 0, v33
	v_cndmask_b32_e32 v5, v27, v29, vcc
	v_cmp_ne_u32_e32 vcc, 0, v5
	v_cndmask_b32_e64 v27, v38, v36, s[18:19]
	v_cndmask_b32_e64 v33, v39, v37, s[18:19]
	v_cndmask_b32_e32 v27, v34, v27, vcc
	v_xor_b32_e32 v29, s54, v28
	v_cndmask_b32_e32 v5, v35, v33, vcc
	v_xor_b32_e32 v27, v27, v29
	v_xor_b32_e32 v5, v5, v29
	v_sub_co_u32_e32 v28, vcc, v27, v29
	s_nop 1
	v_subb_co_u32_e32 v29, vcc, v5, v29, vcc
.LBB132_12:                             ;   in Loop: Header=BB132_10 Depth=2
	s_andn2_saveexec_b64 s[18:19], s[52:53]
	s_cbranch_execz .LBB132_14
; %bb.13:                               ;   in Loop: Header=BB132_10 Depth=2
	v_cvt_f32_u32_e32 v5, s22
	s_sub_i32 s52, 0, s22
	v_rcp_iflag_f32_e32 v5, v5
	s_nop 0
	v_mul_f32_e32 v5, 0x4f7ffffe, v5
	v_cvt_u32_f32_e32 v5, v5
	v_mul_lo_u32 v27, s52, v5
	v_mul_hi_u32 v27, v5, v27
	v_add_u32_e32 v5, v5, v27
	v_mul_hi_u32 v5, v26, v5
	v_mul_lo_u32 v27, v5, s22
	v_sub_u32_e32 v27, v26, v27
	v_add_u32_e32 v28, 1, v5
	v_subrev_u32_e32 v29, s22, v27
	v_cmp_le_u32_e32 vcc, s22, v27
	s_nop 1
	v_cndmask_b32_e32 v27, v27, v29, vcc
	v_cndmask_b32_e32 v5, v5, v28, vcc
	v_add_u32_e32 v28, 1, v5
	v_cmp_le_u32_e32 vcc, s22, v27
	v_mov_b32_e32 v29, v4
	s_nop 0
	v_cndmask_b32_e32 v28, v5, v28, vcc
.LBB132_14:                             ;   in Loop: Header=BB132_10 Depth=2
	s_or_b64 exec, exec, s[18:19]
	v_cmp_eq_u64_e32 vcc, s[46:47], v[28:29]
	v_cmp_ne_u64_e64 s[18:19], s[46:47], v[28:29]
	s_and_saveexec_b64 s[52:53], s[18:19]
	s_xor_b64 s[52:53], exec, s[52:53]
; %bb.15:                               ;   in Loop: Header=BB132_10 Depth=2
	v_cmp_lt_i64_e64 s[18:19], v[28:29], v[20:21]
                                        ; implicit-def: $vgpr26_vgpr27
                                        ; implicit-def: $vgpr23
	s_nop 1
	v_cndmask_b32_e64 v21, v21, v29, s[18:19]
	v_cndmask_b32_e64 v20, v20, v28, s[18:19]
; %bb.16:                               ;   in Loop: Header=BB132_10 Depth=2
	s_or_saveexec_b64 s[18:19], s[52:53]
	v_mov_b32_e32 v5, v24
	s_xor_b64 exec, exec, s[18:19]
	s_cbranch_execz .LBB132_9
; %bb.17:                               ;   in Loop: Header=BB132_10 Depth=2
	v_lshl_add_u64 v[28:29], v[24:25], 3, s[28:29]
	global_load_dwordx2 v[28:29], v[28:29], off
	v_subrev_u32_e32 v5, s31, v26
	v_add_lshl_u32 v5, v30, v5, 3
	ds_write_b8 v4, v9 offset:8192
	s_waitcnt vmcnt(0)
	ds_write_b64 v5, v[28:29]
	v_mov_b32_e32 v5, v23
	s_branch .LBB132_9
.LBB132_18:                             ;   in Loop: Header=BB132_7 Depth=1
	s_or_b64 exec, exec, s[50:51]
.LBB132_19:                             ;   in Loop: Header=BB132_7 Depth=1
	s_or_b64 exec, exec, s[48:49]
	v_mov_b32_dpp v23, v5 row_shr:1 row_mask:0xf bank_mask:0xf
	v_min_i32_e32 v5, v23, v5
	s_waitcnt lgkmcnt(0)
	s_barrier
	v_mov_b32_dpp v23, v5 row_shr:2 row_mask:0xf bank_mask:0xf
	v_min_i32_e32 v5, v23, v5
	ds_read_u8 v23, v4 offset:8192
	s_nop 0
	v_mov_b32_dpp v24, v5 row_shr:4 row_mask:0xf bank_mask:0xe
	v_min_i32_e32 v5, v24, v5
	ds_bpermute_b32 v26, v31, v5
	s_mov_b32 s31, 0
	s_waitcnt lgkmcnt(1)
	v_cmp_eq_u32_e32 vcc, 0, v23
	s_cbranch_vccnz .LBB132_26
; %bb.20:                               ;   in Loop: Header=BB132_7 Depth=1
	s_ashr_i32 s31, s30, 31
	s_lshl_b64 s[18:19], s[30:31], 3
	v_add_u32_e32 v22, s61, v22
	s_add_u32 s18, s24, s18
	v_ashrrev_i32_e32 v23, 31, v22
	s_addc_u32 s19, s25, s19
	global_store_dwordx2 v4, v[22:23], s[18:19]
	s_mul_hi_u32 s18, s59, s30
	s_mul_i32 s19, s59, s31
	s_add_i32 s18, s18, s19
	s_mul_i32 s19, s58, s30
	s_add_i32 s19, s18, s19
	s_mul_i32 s18, s59, s30
	s_lshl_b64 s[18:19], s[18:19], 3
	v_lshl_add_u64 v[22:23], v[6:7], 0, s[18:19]
	v_lshl_add_u64 v[24:25], v[10:11], 0, s[18:19]
	s_and_saveexec_b64 s[18:19], s[34:35]
	s_cbranch_execnz .LBB132_42
; %bb.21:                               ;   in Loop: Header=BB132_7 Depth=1
	s_or_b64 exec, exec, s[18:19]
	s_and_saveexec_b64 s[18:19], s[36:37]
	s_cbranch_execnz .LBB132_43
.LBB132_22:                             ;   in Loop: Header=BB132_7 Depth=1
	s_or_b64 exec, exec, s[18:19]
	s_and_saveexec_b64 s[18:19], s[38:39]
	s_cbranch_execnz .LBB132_44
.LBB132_23:                             ;   in Loop: Header=BB132_7 Depth=1
	s_or_b64 exec, exec, s[18:19]
	s_and_saveexec_b64 s[18:19], s[40:41]
	s_cbranch_execz .LBB132_25
.LBB132_24:                             ;   in Loop: Header=BB132_7 Depth=1
	ds_read_b64 v[28:29], v32 offset:192
	v_lshl_add_u64 v[24:25], v[24:25], 0, s[44:45]
	v_lshl_add_u64 v[22:23], v[16:17], 3, v[22:23]
	v_cndmask_b32_e64 v23, v23, v25, s[0:1]
	v_cndmask_b32_e64 v22, v22, v24, s[0:1]
	s_waitcnt lgkmcnt(0)
	global_store_dwordx2 v[22:23], v[28:29], off
.LBB132_25:                             ;   in Loop: Header=BB132_7 Depth=1
	s_or_b64 exec, exec, s[18:19]
	s_mov_b32 s31, 1
.LBB132_26:                             ;   in Loop: Header=BB132_7 Depth=1
	s_waitcnt lgkmcnt(0)
	s_barrier
	ds_write_b64 v2, v[20:21]
	s_waitcnt lgkmcnt(0)
	s_barrier
	s_and_saveexec_b64 s[18:19], s[2:3]
	s_cbranch_execz .LBB132_28
; %bb.27:                               ;   in Loop: Header=BB132_7 Depth=1
	ds_read2st64_b64 v[20:23], v2 offset1:2
	s_waitcnt lgkmcnt(0)
	v_cmp_lt_i64_e32 vcc, v[22:23], v[20:21]
	s_nop 1
	v_cndmask_b32_e32 v21, v21, v23, vcc
	v_cndmask_b32_e32 v20, v20, v22, vcc
	ds_write_b64 v2, v[20:21]
.LBB132_28:                             ;   in Loop: Header=BB132_7 Depth=1
	s_or_b64 exec, exec, s[18:19]
	s_waitcnt lgkmcnt(0)
	s_barrier
	s_and_saveexec_b64 s[18:19], s[4:5]
	s_cbranch_execz .LBB132_30
; %bb.29:                               ;   in Loop: Header=BB132_7 Depth=1
	ds_read2st64_b64 v[20:23], v2 offset1:1
	s_waitcnt lgkmcnt(0)
	v_cmp_lt_i64_e32 vcc, v[22:23], v[20:21]
	s_nop 1
	v_cndmask_b32_e32 v21, v21, v23, vcc
	v_cndmask_b32_e32 v20, v20, v22, vcc
	ds_write_b64 v2, v[20:21]
.LBB132_30:                             ;   in Loop: Header=BB132_7 Depth=1
	s_or_b64 exec, exec, s[18:19]
	s_waitcnt lgkmcnt(0)
	s_barrier
	s_and_saveexec_b64 s[18:19], s[6:7]
	s_cbranch_execz .LBB132_32
; %bb.31:                               ;   in Loop: Header=BB132_7 Depth=1
	ds_read2_b64 v[20:23], v2 offset1:32
	s_waitcnt lgkmcnt(0)
	v_cmp_lt_i64_e32 vcc, v[22:23], v[20:21]
	s_nop 1
	v_cndmask_b32_e32 v21, v21, v23, vcc
	v_cndmask_b32_e32 v20, v20, v22, vcc
	ds_write_b64 v2, v[20:21]
.LBB132_32:                             ;   in Loop: Header=BB132_7 Depth=1
	s_or_b64 exec, exec, s[18:19]
	s_waitcnt lgkmcnt(0)
	s_barrier
	s_and_saveexec_b64 s[18:19], s[8:9]
	s_cbranch_execz .LBB132_34
; %bb.33:                               ;   in Loop: Header=BB132_7 Depth=1
	ds_read2_b64 v[20:23], v2 offset1:16
	s_waitcnt lgkmcnt(0)
	v_cmp_lt_i64_e32 vcc, v[22:23], v[20:21]
	s_nop 1
	v_cndmask_b32_e32 v21, v21, v23, vcc
	v_cndmask_b32_e32 v20, v20, v22, vcc
	ds_write_b64 v2, v[20:21]
.LBB132_34:                             ;   in Loop: Header=BB132_7 Depth=1
	;; [unrolled: 14-line block ×5, first 2 shown]
	s_or_b64 exec, exec, s[18:19]
	s_waitcnt lgkmcnt(0)
	s_barrier
	s_and_saveexec_b64 s[18:19], s[16:17]
	s_cbranch_execz .LBB132_6
; %bb.41:                               ;   in Loop: Header=BB132_7 Depth=1
	ds_read_b128 v[20:23], v4
	s_waitcnt lgkmcnt(0)
	v_cmp_lt_i64_e32 vcc, v[22:23], v[20:21]
	s_nop 1
	v_cndmask_b32_e32 v21, v21, v23, vcc
	v_cndmask_b32_e32 v20, v20, v22, vcc
	ds_write_b64 v4, v[20:21]
	s_branch .LBB132_6
.LBB132_42:                             ;   in Loop: Header=BB132_7 Depth=1
	ds_read_b64 v[28:29], v32
	v_lshl_add_u64 v[34:35], v[0:1], 3, v[22:23]
	v_cndmask_b32_e64 v35, v35, v25, s[0:1]
	v_cndmask_b32_e64 v34, v34, v24, s[0:1]
	s_waitcnt lgkmcnt(0)
	global_store_dwordx2 v[34:35], v[28:29], off
	s_or_b64 exec, exec, s[18:19]
	s_and_saveexec_b64 s[18:19], s[36:37]
	s_cbranch_execz .LBB132_22
.LBB132_43:                             ;   in Loop: Header=BB132_7 Depth=1
	ds_read_b64 v[28:29], v32 offset:64
	v_lshl_add_u64 v[34:35], v[24:25], 0, 64
	v_lshl_add_u64 v[36:37], v[12:13], 3, v[22:23]
	v_cndmask_b32_e64 v35, v37, v35, s[0:1]
	v_cndmask_b32_e64 v34, v36, v34, s[0:1]
	s_waitcnt lgkmcnt(0)
	global_store_dwordx2 v[34:35], v[28:29], off
	s_or_b64 exec, exec, s[18:19]
	s_and_saveexec_b64 s[18:19], s[38:39]
	s_cbranch_execz .LBB132_23
.LBB132_44:                             ;   in Loop: Header=BB132_7 Depth=1
	ds_read_b64 v[28:29], v32 offset:128
	v_lshl_add_u64 v[34:35], v[24:25], 0, s[42:43]
	v_lshl_add_u64 v[36:37], v[14:15], 3, v[22:23]
	v_cndmask_b32_e64 v35, v37, v35, s[0:1]
	v_cndmask_b32_e64 v34, v36, v34, s[0:1]
	s_waitcnt lgkmcnt(0)
	global_store_dwordx2 v[34:35], v[28:29], off
	s_or_b64 exec, exec, s[18:19]
	s_and_saveexec_b64 s[18:19], s[40:41]
	s_cbranch_execnz .LBB132_24
	s_branch .LBB132_25
.LBB132_45:
	s_endpgm
	.section	.rodata,"a",@progbits
	.p2align	6, 0x0
	.amdhsa_kernel _ZN9rocsparseL38csr2bsr_block_per_row_multipass_kernelILj256ELj32EdilEEv20rocsparse_direction_T3_S2_S2_S2_S2_21rocsparse_index_base_PKT1_PKT2_PKS2_S3_PS4_PS7_PS2_
		.amdhsa_group_segment_fixed_size 8200
		.amdhsa_private_segment_fixed_size 0
		.amdhsa_kernarg_size 112
		.amdhsa_user_sgpr_count 2
		.amdhsa_user_sgpr_dispatch_ptr 0
		.amdhsa_user_sgpr_queue_ptr 0
		.amdhsa_user_sgpr_kernarg_segment_ptr 1
		.amdhsa_user_sgpr_dispatch_id 0
		.amdhsa_user_sgpr_kernarg_preload_length 0
		.amdhsa_user_sgpr_kernarg_preload_offset 0
		.amdhsa_user_sgpr_private_segment_size 0
		.amdhsa_uses_dynamic_stack 0
		.amdhsa_enable_private_segment 0
		.amdhsa_system_sgpr_workgroup_id_x 1
		.amdhsa_system_sgpr_workgroup_id_y 0
		.amdhsa_system_sgpr_workgroup_id_z 0
		.amdhsa_system_sgpr_workgroup_info 0
		.amdhsa_system_vgpr_workitem_id 0
		.amdhsa_next_free_vgpr 40
		.amdhsa_next_free_sgpr 62
		.amdhsa_accum_offset 40
		.amdhsa_reserve_vcc 1
		.amdhsa_float_round_mode_32 0
		.amdhsa_float_round_mode_16_64 0
		.amdhsa_float_denorm_mode_32 3
		.amdhsa_float_denorm_mode_16_64 3
		.amdhsa_dx10_clamp 1
		.amdhsa_ieee_mode 1
		.amdhsa_fp16_overflow 0
		.amdhsa_tg_split 0
		.amdhsa_exception_fp_ieee_invalid_op 0
		.amdhsa_exception_fp_denorm_src 0
		.amdhsa_exception_fp_ieee_div_zero 0
		.amdhsa_exception_fp_ieee_overflow 0
		.amdhsa_exception_fp_ieee_underflow 0
		.amdhsa_exception_fp_ieee_inexact 0
		.amdhsa_exception_int_div_zero 0
	.end_amdhsa_kernel
	.section	.text._ZN9rocsparseL38csr2bsr_block_per_row_multipass_kernelILj256ELj32EdilEEv20rocsparse_direction_T3_S2_S2_S2_S2_21rocsparse_index_base_PKT1_PKT2_PKS2_S3_PS4_PS7_PS2_,"axG",@progbits,_ZN9rocsparseL38csr2bsr_block_per_row_multipass_kernelILj256ELj32EdilEEv20rocsparse_direction_T3_S2_S2_S2_S2_21rocsparse_index_base_PKT1_PKT2_PKS2_S3_PS4_PS7_PS2_,comdat
.Lfunc_end132:
	.size	_ZN9rocsparseL38csr2bsr_block_per_row_multipass_kernelILj256ELj32EdilEEv20rocsparse_direction_T3_S2_S2_S2_S2_21rocsparse_index_base_PKT1_PKT2_PKS2_S3_PS4_PS7_PS2_, .Lfunc_end132-_ZN9rocsparseL38csr2bsr_block_per_row_multipass_kernelILj256ELj32EdilEEv20rocsparse_direction_T3_S2_S2_S2_S2_21rocsparse_index_base_PKT1_PKT2_PKS2_S3_PS4_PS7_PS2_
                                        ; -- End function
	.section	.AMDGPU.csdata,"",@progbits
; Kernel info:
; codeLenInByte = 2852
; NumSgprs: 68
; NumVgprs: 40
; NumAgprs: 0
; TotalNumVgprs: 40
; ScratchSize: 0
; MemoryBound: 0
; FloatMode: 240
; IeeeMode: 1
; LDSByteSize: 8200 bytes/workgroup (compile time only)
; SGPRBlocks: 8
; VGPRBlocks: 4
; NumSGPRsForWavesPerEU: 68
; NumVGPRsForWavesPerEU: 40
; AccumOffset: 40
; Occupancy: 7
; WaveLimiterHint : 1
; COMPUTE_PGM_RSRC2:SCRATCH_EN: 0
; COMPUTE_PGM_RSRC2:USER_SGPR: 2
; COMPUTE_PGM_RSRC2:TRAP_HANDLER: 0
; COMPUTE_PGM_RSRC2:TGID_X_EN: 1
; COMPUTE_PGM_RSRC2:TGID_Y_EN: 0
; COMPUTE_PGM_RSRC2:TGID_Z_EN: 0
; COMPUTE_PGM_RSRC2:TIDIG_COMP_CNT: 0
; COMPUTE_PGM_RSRC3_GFX90A:ACCUM_OFFSET: 9
; COMPUTE_PGM_RSRC3_GFX90A:TG_SPLIT: 0
	.section	.text._ZN9rocsparseL38csr2bsr_block_per_row_multipass_kernelILj256ELj64EdilEEv20rocsparse_direction_T3_S2_S2_S2_S2_21rocsparse_index_base_PKT1_PKT2_PKS2_S3_PS4_PS7_PS2_,"axG",@progbits,_ZN9rocsparseL38csr2bsr_block_per_row_multipass_kernelILj256ELj64EdilEEv20rocsparse_direction_T3_S2_S2_S2_S2_21rocsparse_index_base_PKT1_PKT2_PKS2_S3_PS4_PS7_PS2_,comdat
	.globl	_ZN9rocsparseL38csr2bsr_block_per_row_multipass_kernelILj256ELj64EdilEEv20rocsparse_direction_T3_S2_S2_S2_S2_21rocsparse_index_base_PKT1_PKT2_PKS2_S3_PS4_PS7_PS2_ ; -- Begin function _ZN9rocsparseL38csr2bsr_block_per_row_multipass_kernelILj256ELj64EdilEEv20rocsparse_direction_T3_S2_S2_S2_S2_21rocsparse_index_base_PKT1_PKT2_PKS2_S3_PS4_PS7_PS2_
	.p2align	8
	.type	_ZN9rocsparseL38csr2bsr_block_per_row_multipass_kernelILj256ELj64EdilEEv20rocsparse_direction_T3_S2_S2_S2_S2_21rocsparse_index_base_PKT1_PKT2_PKS2_S3_PS4_PS7_PS2_,@function
_ZN9rocsparseL38csr2bsr_block_per_row_multipass_kernelILj256ELj64EdilEEv20rocsparse_direction_T3_S2_S2_S2_S2_21rocsparse_index_base_PKT1_PKT2_PKS2_S3_PS4_PS7_PS2_: ; @_ZN9rocsparseL38csr2bsr_block_per_row_multipass_kernelILj256ELj64EdilEEv20rocsparse_direction_T3_S2_S2_S2_S2_21rocsparse_index_base_PKT1_PKT2_PKS2_S3_PS4_PS7_PS2_
; %bb.0:
	s_load_dwordx2 s[6:7], s[0:1], 0x8
	s_load_dwordx4 s[20:23], s[0:1], 0x20
	s_load_dword s33, s[0:1], 0x30
	s_load_dwordx2 s[4:5], s[0:1], 0x40
	s_ashr_i32 s3, s2, 31
	v_lshrrev_b32_e32 v2, 2, v0
	v_mov_b32_e32 v3, 0
	s_waitcnt lgkmcnt(0)
	s_mul_i32 s8, s2, s23
	s_mul_i32 s9, s3, s22
	v_mov_b32_e32 v1, s22
	s_add_i32 s10, s8, s9
	v_mad_u64_u32 v[4:5], s[8:9], s2, v1, v[2:3]
	v_add_u32_e32 v5, s10, v5
	v_cmp_gt_i64_e32 vcc, s[6:7], v[4:5]
	v_cmp_gt_i64_e64 s[18:19], s[22:23], v[2:3]
	s_and_b64 s[6:7], s[18:19], vcc
	v_mov_b32_e32 v52, v3
	s_and_saveexec_b64 s[8:9], s[6:7]
	s_cbranch_execnz .LBB133_3
; %bb.1:
	s_or_b64 exec, exec, s[8:9]
	s_and_saveexec_b64 s[8:9], s[6:7]
	s_cbranch_execnz .LBB133_4
.LBB133_2:
	s_or_b64 exec, exec, s[8:9]
	v_cmp_lt_i64_e64 s[4:5], s[20:21], 1
	s_and_b64 vcc, exec, s[4:5]
	s_cbranch_vccz .LBB133_5
	s_branch .LBB133_69
.LBB133_3:
	v_lshl_add_u64 v[6:7], v[4:5], 2, s[4:5]
	global_load_dword v1, v[6:7], off
	s_waitcnt vmcnt(0)
	v_subrev_u32_e32 v52, s33, v1
	s_or_b64 exec, exec, s[8:9]
	s_and_saveexec_b64 s[8:9], s[6:7]
	s_cbranch_execz .LBB133_2
.LBB133_4:
	v_lshl_add_u64 v[4:5], v[4:5], 2, s[4:5]
	global_load_dword v1, v[4:5], off offset:4
	s_waitcnt vmcnt(0)
	v_subrev_u32_e32 v3, s33, v1
	s_or_b64 exec, exec, s[8:9]
	v_cmp_lt_i64_e64 s[4:5], s[20:21], 1
	s_and_b64 vcc, exec, s[4:5]
	s_cbranch_vccnz .LBB133_69
.LBB133_5:
	s_load_dwordx2 s[24:25], s[0:1], 0x68
	s_load_dwordx4 s[4:7], s[0:1], 0x58
	s_mul_i32 s8, s22, s23
	s_mul_hi_u32 s9, s22, s22
	s_add_i32 s9, s9, s8
	s_add_i32 s70, s9, s8
	s_lshl_b64 s[2:3], s[2:3], 2
	s_waitcnt lgkmcnt(0)
	s_add_u32 s2, s6, s2
	s_load_dword s73, s[0:1], 0x50
	s_addc_u32 s3, s7, s3
	s_load_dword s6, s[2:3], 0x0
	s_load_dwordx2 s[26:27], s[0:1], 0x48
	s_load_dwordx2 s[28:29], s[0:1], 0x38
	s_load_dword s7, s[0:1], 0x0
	v_mad_u64_u32 v[10:11], s[2:3], v2, s22, 0
	v_mov_b32_e32 v12, v11
	v_mov_b32_e32 v4, 0
	v_mad_u64_u32 v[12:13], s[2:3], v2, s23, v[12:13]
	v_lshlrev_b32_e32 v6, 3, v2
	v_mov_b32_e32 v7, v4
	v_and_b32_e32 v8, 3, v0
	s_waitcnt lgkmcnt(0)
	s_sub_i32 s30, s6, s73
	v_lshlrev_b32_e32 v56, 6, v2
	v_mbcnt_lo_u32_b32 v1, -1, 0
	v_mov_b32_e32 v11, v12
	s_movk_i32 s2, 0x80
	v_lshl_add_u64 v[6:7], s[4:5], 0, v[6:7]
	v_mbcnt_hi_u32_b32 v1, -1, v1
	s_cmp_eq_u32 s7, 0
	v_lshl_add_u64 v[10:11], v[10:11], 3, s[4:5]
	v_lshlrev_b32_e32 v2, 3, v0
	v_cmp_gt_u32_e64 s[2:3], s2, v0
	v_cmp_gt_u32_e64 s[4:5], 64, v0
	;; [unrolled: 1-line block ×7, first 2 shown]
	v_cmp_eq_u32_e64 s[16:17], 0, v0
	v_or_b32_e32 v0, v56, v8
	v_lshl_or_b32 v57, v1, 2, 12
	v_lshlrev_b32_e32 v12, 3, v8
	v_mov_b32_e32 v13, v4
	v_lshlrev_b32_e32 v58, 3, v0
	v_mad_u64_u32 v[0:1], s[36:37], v8, s22, 0
	v_lshl_add_u64 v[10:11], v[10:11], 0, v[12:13]
	v_mov_b32_e32 v12, v1
	v_mad_u64_u32 v[12:13], s[36:37], v8, s23, v[12:13]
	v_or_b32_e32 v14, 4, v8
	v_mov_b32_e32 v9, v4
	v_mov_b32_e32 v1, v12
	v_mad_u64_u32 v[12:13], s[38:39], v14, s22, 0
	v_cmp_gt_i64_e32 vcc, s[22:23], v[8:9]
	v_mov_b32_e32 v15, v4
	v_mov_b32_e32 v16, v13
	s_cselect_b64 s[0:1], -1, 0
	s_and_b64 s[34:35], s[18:19], vcc
	v_cmp_gt_i64_e32 vcc, s[22:23], v[14:15]
	v_mad_u64_u32 v[14:15], s[38:39], v14, s23, v[16:17]
	v_or_b32_e32 v16, 8, v8
	v_mov_b32_e32 v13, v14
	v_mad_u64_u32 v[14:15], s[40:41], v16, s22, 0
	v_mov_b32_e32 v17, v4
	v_mov_b32_e32 v18, v15
	s_and_b64 s[36:37], s[18:19], vcc
	v_cmp_gt_i64_e32 vcc, s[22:23], v[16:17]
	v_mad_u64_u32 v[16:17], s[40:41], v16, s23, v[18:19]
	v_or_b32_e32 v18, 12, v8
	v_mov_b32_e32 v15, v16
	v_mad_u64_u32 v[16:17], s[42:43], v18, s22, 0
	v_mov_b32_e32 v19, v4
	v_mov_b32_e32 v20, v17
	;; [unrolled: 8-line block ×11, first 2 shown]
	s_and_b64 s[56:57], s[18:19], vcc
	v_cmp_gt_i64_e32 vcc, s[22:23], v[36:37]
	v_mad_u64_u32 v[36:37], s[60:61], v36, s23, v[38:39]
	v_or_b32_e32 v38, 52, v8
	v_cvt_f32_u32_e32 v5, s22
	v_mov_b32_e32 v35, v36
	v_mad_u64_u32 v[36:37], s[62:63], v38, s22, 0
	v_mov_b32_e32 v39, v4
	v_mov_b32_e32 v40, v37
	s_and_b64 s[58:59], s[18:19], vcc
	v_cmp_gt_i64_e32 vcc, s[22:23], v[38:39]
	v_mad_u64_u32 v[38:39], s[62:63], v38, s23, v[40:41]
	v_or_b32_e32 v40, 56, v8
	v_mov_b32_e32 v37, v38
	v_mad_u64_u32 v[38:39], s[64:65], v40, s22, 0
	v_rcp_iflag_f32_e32 v5, v5
	v_mov_b32_e32 v41, v4
	v_mov_b32_e32 v42, v39
	s_and_b64 s[60:61], s[18:19], vcc
	v_cmp_gt_i64_e32 vcc, s[22:23], v[40:41]
	v_mad_u64_u32 v[40:41], s[64:65], v40, s23, v[42:43]
	v_or_b32_e32 v42, 60, v8
	v_mov_b32_e32 v43, v4
	s_and_b64 s[62:63], s[18:19], vcc
	v_cmp_gt_i64_e32 vcc, s[22:23], v[42:43]
	v_mov_b32_e32 v39, v40
	s_and_b64 s[64:65], s[18:19], vcc
	v_mad_u64_u32 v[40:41], s[18:19], v42, s22, 0
	v_mul_f32_e32 v5, 0x4f7ffffe, v5
	v_mov_b32_e32 v44, v41
	v_cvt_u32_f32_e32 v9, v5
	s_mov_b32 s72, 0
	v_mad_u64_u32 v[42:43], s[18:19], v42, s23, v[44:45]
	s_mov_b32 s18, s72
	s_mov_b32 s19, s72
	s_mul_i32 s71, s22, s22
	v_mov_b32_e32 v41, v42
	s_mov_b64 s[92:93], 0
	v_mov_b64_e32 v[42:43], s[18:19]
	s_mov_b64 s[74:75], 0xe0
	s_mov_b64 s[76:77], 0x100
	;; [unrolled: 1-line block ×9, first 2 shown]
	v_mov_b64_e32 v[44:45], s[20:21]
	v_mov_b32_e32 v59, 1
	v_mov_b32_e32 v48, 0
	s_branch .LBB133_7
.LBB133_6:                              ;   in Loop: Header=BB133_7 Depth=1
	s_or_b64 exec, exec, s[18:19]
	s_waitcnt lgkmcnt(0)
	s_barrier
	ds_read_b64 v[48:49], v4
	s_add_i32 s30, s31, s30
	s_waitcnt lgkmcnt(0)
	s_barrier
	v_readfirstlane_b32 s18, v48
	v_readfirstlane_b32 s19, v49
	s_bfe_i64 s[92:93], s[18:19], 0x200000
	v_cmp_lt_i64_e32 vcc, s[92:93], v[44:45]
	s_cbranch_vccz .LBB133_69
.LBB133_7:                              ; =>This Loop Header: Depth=1
                                        ;     Child Loop BB133_10 Depth 2
	v_add_u32_e32 v50, v52, v8
	v_cmp_lt_i32_e32 vcc, v50, v3
	v_mov_b64_e32 v[46:47], s[20:21]
	v_mov_b32_e32 v5, v3
	ds_write_b8 v4, v4 offset:32768
	ds_write2_b64 v58, v[42:43], v[42:43] offset1:4
	ds_write2_b64 v58, v[42:43], v[42:43] offset0:8 offset1:12
	ds_write2_b64 v58, v[42:43], v[42:43] offset0:16 offset1:20
	ds_write2_b64 v58, v[42:43], v[42:43] offset0:24 offset1:28
	ds_write2_b64 v58, v[42:43], v[42:43] offset0:32 offset1:36
	ds_write2_b64 v58, v[42:43], v[42:43] offset0:40 offset1:44
	ds_write2_b64 v58, v[42:43], v[42:43] offset0:48 offset1:52
	ds_write2_b64 v58, v[42:43], v[42:43] offset0:56 offset1:60
	s_waitcnt lgkmcnt(0)
	s_barrier
	s_and_saveexec_b64 s[94:95], vcc
	s_cbranch_execz .LBB133_19
; %bb.8:                                ;   in Loop: Header=BB133_7 Depth=1
	s_mul_i32 s31, s92, s22
	s_mov_b64 s[96:97], 0
	v_mov_b64_e32 v[46:47], s[20:21]
	v_mov_b32_e32 v49, v3
	s_branch .LBB133_10
.LBB133_9:                              ;   in Loop: Header=BB133_10 Depth=2
	s_or_b64 exec, exec, s[18:19]
	v_add_u32_e32 v50, 4, v50
	v_cmp_ge_i32_e64 s[18:19], v50, v3
	s_xor_b64 s[66:67], vcc, -1
	s_or_b64 s[18:19], s[66:67], s[18:19]
	s_and_b64 s[18:19], exec, s[18:19]
	s_or_b64 s[96:97], s[18:19], s[96:97]
	v_mov_b32_e32 v49, v5
	s_andn2_b64 exec, exec, s[96:97]
	s_cbranch_execz .LBB133_18
.LBB133_10:                             ;   Parent Loop BB133_7 Depth=1
                                        ; =>  This Inner Loop Header: Depth=2
	v_ashrrev_i32_e32 v51, 31, v50
	v_lshl_add_u64 v[52:53], v[50:51], 3, s[26:27]
	global_load_dwordx2 v[52:53], v[52:53], off
	v_mov_b32_e32 v5, s72
                                        ; implicit-def: $vgpr54_vgpr55
	s_waitcnt vmcnt(0)
	v_subrev_co_u32_e32 v52, vcc, s33, v52
	s_nop 1
	v_subb_co_u32_e32 v53, vcc, v53, v5, vcc
	v_or_b32_e32 v5, s23, v53
	v_cmp_ne_u64_e32 vcc, 0, v[4:5]
	s_and_saveexec_b64 s[18:19], vcc
	s_xor_b64 s[98:99], exec, s[18:19]
	s_cbranch_execz .LBB133_12
; %bb.11:                               ;   in Loop: Header=BB133_10 Depth=2
	s_ashr_i32 s66, s23, 31
	s_add_u32 s18, s22, s66
	s_mov_b32 s67, s66
	s_addc_u32 s19, s23, s66
	s_xor_b64 s[68:69], s[18:19], s[66:67]
	v_cvt_f32_u32_e32 v5, s68
	v_cvt_f32_u32_e32 v54, s69
	s_sub_u32 s18, 0, s68
	s_subb_u32 s19, 0, s69
	v_mov_b32_e32 v61, v4
	v_fmac_f32_e32 v5, 0x4f800000, v54
	v_rcp_f32_e32 v5, v5
	s_nop 0
	v_mul_f32_e32 v5, 0x5f7ffffc, v5
	v_mul_f32_e32 v54, 0x2f800000, v5
	v_trunc_f32_e32 v54, v54
	v_fmac_f32_e32 v5, 0xcf800000, v54
	v_cvt_u32_f32_e32 v62, v54
	v_cvt_u32_f32_e32 v5, v5
	v_mul_lo_u32 v54, s18, v62
	v_mul_hi_u32 v60, s18, v5
	v_mul_lo_u32 v55, s19, v5
	v_add_u32_e32 v54, v60, v54
	v_mul_lo_u32 v63, s18, v5
	v_add_u32_e32 v64, v54, v55
	v_mul_hi_u32 v55, v5, v64
	v_mul_lo_u32 v54, v5, v64
	v_mul_hi_u32 v60, v5, v63
	v_lshl_add_u64 v[54:55], v[60:61], 0, v[54:55]
	v_mul_hi_u32 v61, v62, v63
	v_mul_lo_u32 v63, v62, v63
	v_add_co_u32_e32 v54, vcc, v54, v63
	v_mul_hi_u32 v60, v62, v64
	s_nop 0
	v_addc_co_u32_e32 v54, vcc, v55, v61, vcc
	v_mov_b32_e32 v55, v4
	s_nop 0
	v_addc_co_u32_e32 v61, vcc, 0, v60, vcc
	v_mul_lo_u32 v60, v62, v64
	v_lshl_add_u64 v[54:55], v[54:55], 0, v[60:61]
	v_add_co_u32_e32 v5, vcc, v5, v54
	v_mul_lo_u32 v60, s18, v5
	s_nop 0
	v_addc_co_u32_e32 v62, vcc, v62, v55, vcc
	v_mul_lo_u32 v54, s18, v62
	v_mul_hi_u32 v55, s18, v5
	v_add_u32_e32 v54, v55, v54
	v_mul_lo_u32 v55, s19, v5
	v_add_u32_e32 v63, v54, v55
	v_mul_hi_u32 v65, v62, v60
	v_mul_lo_u32 v66, v62, v60
	v_mul_hi_u32 v55, v5, v63
	v_mul_lo_u32 v54, v5, v63
	v_mul_hi_u32 v60, v5, v60
	v_mov_b32_e32 v61, v4
	v_lshl_add_u64 v[54:55], v[60:61], 0, v[54:55]
	v_add_co_u32_e32 v54, vcc, v54, v66
	v_mul_hi_u32 v64, v62, v63
	s_nop 0
	v_addc_co_u32_e32 v54, vcc, v55, v65, vcc
	v_mul_lo_u32 v60, v62, v63
	s_nop 0
	v_addc_co_u32_e32 v61, vcc, 0, v64, vcc
	v_mov_b32_e32 v55, v4
	v_lshl_add_u64 v[54:55], v[54:55], 0, v[60:61]
	v_add_co_u32_e32 v5, vcc, v5, v54
	v_ashrrev_i32_e32 v54, 31, v53
	s_nop 0
	v_addc_co_u32_e32 v64, vcc, v62, v55, vcc
	v_mov_b32_e32 v55, v54
	v_lshl_add_u64 v[60:61], v[52:53], 0, v[54:55]
	v_xor_b32_e32 v55, v60, v54
	v_xor_b32_e32 v53, v61, v54
	v_mad_u64_u32 v[60:61], s[18:19], v55, v64, 0
	v_mul_hi_u32 v62, v55, v5
	v_mov_b32_e32 v63, v4
	v_lshl_add_u64 v[60:61], v[62:63], 0, v[60:61]
	v_mad_u64_u32 v[62:63], s[18:19], v53, v64, 0
	v_mad_u64_u32 v[64:65], s[18:19], v53, v5, 0
	v_add_co_u32_e32 v5, vcc, v60, v64
	s_nop 1
	v_addc_co_u32_e32 v60, vcc, v61, v65, vcc
	v_mov_b32_e32 v61, v4
	s_nop 0
	v_addc_co_u32_e32 v63, vcc, 0, v63, vcc
	v_lshl_add_u64 v[60:61], v[60:61], 0, v[62:63]
	v_mul_lo_u32 v5, s69, v60
	v_mul_lo_u32 v64, s68, v61
	v_mad_u64_u32 v[62:63], s[18:19], s68, v60, 0
	v_add3_u32 v5, v63, v64, v5
	v_sub_u32_e32 v63, v53, v5
	v_mov_b32_e32 v64, s69
	v_sub_co_u32_e32 v55, vcc, v55, v62
	s_nop 1
	v_subb_co_u32_e64 v62, s[18:19], v63, v64, vcc
	v_subrev_co_u32_e64 v63, s[18:19], s68, v55
	v_subb_co_u32_e32 v5, vcc, v53, v5, vcc
	s_nop 0
	v_subbrev_co_u32_e64 v62, s[18:19], 0, v62, s[18:19]
	v_cmp_le_u32_e64 s[18:19], s69, v62
	v_cmp_le_u32_e32 vcc, s69, v5
	s_nop 0
	v_cndmask_b32_e64 v64, 0, -1, s[18:19]
	v_cmp_le_u32_e64 s[18:19], s68, v63
	v_cndmask_b32_e64 v53, 0, -1, vcc
	v_cmp_le_u32_e32 vcc, s68, v55
	v_cndmask_b32_e64 v63, 0, -1, s[18:19]
	v_cmp_eq_u32_e64 s[18:19], s69, v62
	v_cndmask_b32_e64 v55, 0, -1, vcc
	v_cmp_eq_u32_e32 vcc, s69, v5
	v_cndmask_b32_e64 v66, v64, v63, s[18:19]
	v_lshl_add_u64 v[62:63], v[60:61], 0, 2
	v_lshl_add_u64 v[64:65], v[60:61], 0, 1
	v_cmp_ne_u32_e64 s[18:19], 0, v66
	v_cndmask_b32_e32 v5, v53, v55, vcc
	v_cmp_ne_u32_e32 vcc, 0, v5
	v_cndmask_b32_e64 v53, v64, v62, s[18:19]
	v_cndmask_b32_e64 v63, v65, v63, s[18:19]
	v_cndmask_b32_e32 v53, v60, v53, vcc
	v_xor_b32_e32 v55, s66, v54
	v_cndmask_b32_e32 v5, v61, v63, vcc
	v_xor_b32_e32 v53, v53, v55
	v_xor_b32_e32 v5, v5, v55
	v_sub_co_u32_e32 v54, vcc, v53, v55
	s_nop 1
	v_subb_co_u32_e32 v55, vcc, v5, v55, vcc
.LBB133_12:                             ;   in Loop: Header=BB133_10 Depth=2
	s_andn2_saveexec_b64 s[18:19], s[98:99]
	s_cbranch_execz .LBB133_14
; %bb.13:                               ;   in Loop: Header=BB133_10 Depth=2
	s_sub_i32 s66, 0, s22
	v_mul_lo_u32 v5, s66, v9
	v_mul_hi_u32 v5, v9, v5
	v_add_u32_e32 v5, v9, v5
	v_mul_hi_u32 v5, v52, v5
	v_mul_lo_u32 v53, v5, s22
	v_sub_u32_e32 v53, v52, v53
	v_subrev_u32_e32 v54, s22, v53
	v_cmp_le_u32_e32 vcc, s22, v53
	v_mov_b32_e32 v55, v4
	s_nop 0
	v_cndmask_b32_e32 v53, v53, v54, vcc
	v_add_u32_e32 v54, 1, v5
	v_cndmask_b32_e32 v5, v5, v54, vcc
	v_add_u32_e32 v54, 1, v5
	v_cmp_le_u32_e32 vcc, s22, v53
	s_nop 1
	v_cndmask_b32_e32 v54, v5, v54, vcc
.LBB133_14:                             ;   in Loop: Header=BB133_10 Depth=2
	s_or_b64 exec, exec, s[18:19]
	v_cmp_eq_u64_e32 vcc, s[92:93], v[54:55]
	v_cmp_ne_u64_e64 s[18:19], s[92:93], v[54:55]
	s_and_saveexec_b64 s[66:67], s[18:19]
	s_xor_b64 s[66:67], exec, s[66:67]
; %bb.15:                               ;   in Loop: Header=BB133_10 Depth=2
	v_cmp_lt_i64_e64 s[18:19], v[54:55], v[46:47]
                                        ; implicit-def: $vgpr52_vgpr53
                                        ; implicit-def: $vgpr49
	s_nop 1
	v_cndmask_b32_e64 v47, v47, v55, s[18:19]
	v_cndmask_b32_e64 v46, v46, v54, s[18:19]
; %bb.16:                               ;   in Loop: Header=BB133_10 Depth=2
	s_or_saveexec_b64 s[18:19], s[66:67]
	v_mov_b32_e32 v5, v50
	s_xor_b64 exec, exec, s[18:19]
	s_cbranch_execz .LBB133_9
; %bb.17:                               ;   in Loop: Header=BB133_10 Depth=2
	v_lshl_add_u64 v[54:55], v[50:51], 3, s[28:29]
	global_load_dwordx2 v[54:55], v[54:55], off
	v_subrev_u32_e32 v5, s31, v52
	v_add_lshl_u32 v5, v56, v5, 3
	ds_write_b8 v4, v59 offset:32768
	s_waitcnt vmcnt(0)
	ds_write_b64 v5, v[54:55]
	v_mov_b32_e32 v5, v49
	s_branch .LBB133_9
.LBB133_18:                             ;   in Loop: Header=BB133_7 Depth=1
	s_or_b64 exec, exec, s[96:97]
.LBB133_19:                             ;   in Loop: Header=BB133_7 Depth=1
	s_or_b64 exec, exec, s[94:95]
	v_mov_b32_dpp v49, v5 row_shr:1 row_mask:0xf bank_mask:0xf
	v_min_i32_e32 v5, v49, v5
	s_waitcnt lgkmcnt(0)
	s_barrier
	ds_read_u8 v49, v4 offset:32768
	v_mov_b32_dpp v50, v5 row_shr:2 row_mask:0xf bank_mask:0xf
	v_min_i32_e32 v5, v50, v5
	ds_bpermute_b32 v52, v57, v5
	s_mov_b32 s31, 0
	s_waitcnt lgkmcnt(1)
	v_cmp_eq_u32_e32 vcc, 0, v49
	s_cbranch_vccnz .LBB133_38
; %bb.20:                               ;   in Loop: Header=BB133_7 Depth=1
	s_ashr_i32 s31, s30, 31
	s_lshl_b64 s[18:19], s[30:31], 3
	v_add_u32_e32 v48, s73, v48
	s_add_u32 s18, s24, s18
	v_ashrrev_i32_e32 v49, 31, v48
	s_addc_u32 s19, s25, s19
	global_store_dwordx2 v4, v[48:49], s[18:19]
	s_mul_hi_u32 s18, s71, s30
	s_mul_i32 s19, s71, s31
	s_add_i32 s18, s18, s19
	s_mul_i32 s19, s70, s30
	s_add_i32 s19, s18, s19
	s_mul_i32 s18, s71, s30
	s_lshl_b64 s[18:19], s[18:19], 3
	v_lshl_add_u64 v[48:49], v[6:7], 0, s[18:19]
	v_lshl_add_u64 v[50:51], v[10:11], 0, s[18:19]
	s_and_saveexec_b64 s[18:19], s[34:35]
	s_cbranch_execnz .LBB133_54
; %bb.21:                               ;   in Loop: Header=BB133_7 Depth=1
	s_or_b64 exec, exec, s[18:19]
	s_and_saveexec_b64 s[18:19], s[36:37]
	s_cbranch_execnz .LBB133_55
.LBB133_22:                             ;   in Loop: Header=BB133_7 Depth=1
	s_or_b64 exec, exec, s[18:19]
	s_and_saveexec_b64 s[18:19], s[38:39]
	s_cbranch_execnz .LBB133_56
.LBB133_23:                             ;   in Loop: Header=BB133_7 Depth=1
	s_or_b64 exec, exec, s[18:19]
	s_and_saveexec_b64 s[18:19], s[40:41]
	s_cbranch_execnz .LBB133_57
.LBB133_24:                             ;   in Loop: Header=BB133_7 Depth=1
	s_or_b64 exec, exec, s[18:19]
	s_and_saveexec_b64 s[18:19], s[42:43]
	s_cbranch_execnz .LBB133_58
.LBB133_25:                             ;   in Loop: Header=BB133_7 Depth=1
	s_or_b64 exec, exec, s[18:19]
	s_and_saveexec_b64 s[18:19], s[44:45]
	s_cbranch_execnz .LBB133_59
.LBB133_26:                             ;   in Loop: Header=BB133_7 Depth=1
	s_or_b64 exec, exec, s[18:19]
	s_and_saveexec_b64 s[18:19], s[46:47]
	s_cbranch_execnz .LBB133_60
.LBB133_27:                             ;   in Loop: Header=BB133_7 Depth=1
	s_or_b64 exec, exec, s[18:19]
	s_and_saveexec_b64 s[18:19], s[48:49]
	s_cbranch_execnz .LBB133_61
.LBB133_28:                             ;   in Loop: Header=BB133_7 Depth=1
	s_or_b64 exec, exec, s[18:19]
	s_and_saveexec_b64 s[18:19], s[50:51]
	s_cbranch_execnz .LBB133_62
.LBB133_29:                             ;   in Loop: Header=BB133_7 Depth=1
	s_or_b64 exec, exec, s[18:19]
	s_and_saveexec_b64 s[18:19], s[52:53]
	s_cbranch_execnz .LBB133_63
.LBB133_30:                             ;   in Loop: Header=BB133_7 Depth=1
	s_or_b64 exec, exec, s[18:19]
	s_and_saveexec_b64 s[18:19], s[54:55]
	s_cbranch_execnz .LBB133_64
.LBB133_31:                             ;   in Loop: Header=BB133_7 Depth=1
	s_or_b64 exec, exec, s[18:19]
	s_and_saveexec_b64 s[18:19], s[56:57]
	s_cbranch_execnz .LBB133_65
.LBB133_32:                             ;   in Loop: Header=BB133_7 Depth=1
	s_or_b64 exec, exec, s[18:19]
	s_and_saveexec_b64 s[18:19], s[58:59]
	s_cbranch_execnz .LBB133_66
.LBB133_33:                             ;   in Loop: Header=BB133_7 Depth=1
	s_or_b64 exec, exec, s[18:19]
	s_and_saveexec_b64 s[18:19], s[60:61]
	s_cbranch_execnz .LBB133_67
.LBB133_34:                             ;   in Loop: Header=BB133_7 Depth=1
	s_or_b64 exec, exec, s[18:19]
	s_and_saveexec_b64 s[18:19], s[62:63]
	s_cbranch_execnz .LBB133_68
.LBB133_35:                             ;   in Loop: Header=BB133_7 Depth=1
	s_or_b64 exec, exec, s[18:19]
	s_and_saveexec_b64 s[18:19], s[64:65]
	s_cbranch_execz .LBB133_37
.LBB133_36:                             ;   in Loop: Header=BB133_7 Depth=1
	ds_read_b64 v[54:55], v58 offset:480
	v_lshl_add_u64 v[50:51], v[50:51], 0, s[90:91]
	v_lshl_add_u64 v[48:49], v[40:41], 3, v[48:49]
	v_cndmask_b32_e64 v49, v49, v51, s[0:1]
	v_cndmask_b32_e64 v48, v48, v50, s[0:1]
	s_waitcnt lgkmcnt(0)
	global_store_dwordx2 v[48:49], v[54:55], off
.LBB133_37:                             ;   in Loop: Header=BB133_7 Depth=1
	s_or_b64 exec, exec, s[18:19]
	s_mov_b32 s31, 1
.LBB133_38:                             ;   in Loop: Header=BB133_7 Depth=1
	s_waitcnt lgkmcnt(0)
	s_barrier
	ds_write_b64 v2, v[46:47]
	s_waitcnt lgkmcnt(0)
	s_barrier
	s_and_saveexec_b64 s[18:19], s[2:3]
	s_cbranch_execz .LBB133_40
; %bb.39:                               ;   in Loop: Header=BB133_7 Depth=1
	ds_read2st64_b64 v[46:49], v2 offset1:2
	s_waitcnt lgkmcnt(0)
	v_cmp_lt_i64_e32 vcc, v[48:49], v[46:47]
	s_nop 1
	v_cndmask_b32_e32 v47, v47, v49, vcc
	v_cndmask_b32_e32 v46, v46, v48, vcc
	ds_write_b64 v2, v[46:47]
.LBB133_40:                             ;   in Loop: Header=BB133_7 Depth=1
	s_or_b64 exec, exec, s[18:19]
	s_waitcnt lgkmcnt(0)
	s_barrier
	s_and_saveexec_b64 s[18:19], s[4:5]
	s_cbranch_execz .LBB133_42
; %bb.41:                               ;   in Loop: Header=BB133_7 Depth=1
	ds_read2st64_b64 v[46:49], v2 offset1:1
	s_waitcnt lgkmcnt(0)
	v_cmp_lt_i64_e32 vcc, v[48:49], v[46:47]
	s_nop 1
	v_cndmask_b32_e32 v47, v47, v49, vcc
	v_cndmask_b32_e32 v46, v46, v48, vcc
	ds_write_b64 v2, v[46:47]
.LBB133_42:                             ;   in Loop: Header=BB133_7 Depth=1
	s_or_b64 exec, exec, s[18:19]
	s_waitcnt lgkmcnt(0)
	s_barrier
	s_and_saveexec_b64 s[18:19], s[6:7]
	s_cbranch_execz .LBB133_44
; %bb.43:                               ;   in Loop: Header=BB133_7 Depth=1
	ds_read2_b64 v[46:49], v2 offset1:32
	s_waitcnt lgkmcnt(0)
	v_cmp_lt_i64_e32 vcc, v[48:49], v[46:47]
	s_nop 1
	v_cndmask_b32_e32 v47, v47, v49, vcc
	v_cndmask_b32_e32 v46, v46, v48, vcc
	ds_write_b64 v2, v[46:47]
.LBB133_44:                             ;   in Loop: Header=BB133_7 Depth=1
	s_or_b64 exec, exec, s[18:19]
	s_waitcnt lgkmcnt(0)
	s_barrier
	s_and_saveexec_b64 s[18:19], s[8:9]
	s_cbranch_execz .LBB133_46
; %bb.45:                               ;   in Loop: Header=BB133_7 Depth=1
	ds_read2_b64 v[46:49], v2 offset1:16
	s_waitcnt lgkmcnt(0)
	v_cmp_lt_i64_e32 vcc, v[48:49], v[46:47]
	s_nop 1
	v_cndmask_b32_e32 v47, v47, v49, vcc
	v_cndmask_b32_e32 v46, v46, v48, vcc
	ds_write_b64 v2, v[46:47]
.LBB133_46:                             ;   in Loop: Header=BB133_7 Depth=1
	;; [unrolled: 14-line block ×5, first 2 shown]
	s_or_b64 exec, exec, s[18:19]
	s_waitcnt lgkmcnt(0)
	s_barrier
	s_and_saveexec_b64 s[18:19], s[16:17]
	s_cbranch_execz .LBB133_6
; %bb.53:                               ;   in Loop: Header=BB133_7 Depth=1
	ds_read_b128 v[46:49], v4
	s_waitcnt lgkmcnt(0)
	v_cmp_lt_i64_e32 vcc, v[48:49], v[46:47]
	s_nop 1
	v_cndmask_b32_e32 v47, v47, v49, vcc
	v_cndmask_b32_e32 v46, v46, v48, vcc
	ds_write_b64 v4, v[46:47]
	s_branch .LBB133_6
.LBB133_54:                             ;   in Loop: Header=BB133_7 Depth=1
	ds_read_b64 v[54:55], v58
	v_lshl_add_u64 v[60:61], v[0:1], 3, v[48:49]
	v_cndmask_b32_e64 v61, v61, v51, s[0:1]
	v_cndmask_b32_e64 v60, v60, v50, s[0:1]
	s_waitcnt lgkmcnt(0)
	global_store_dwordx2 v[60:61], v[54:55], off
	s_or_b64 exec, exec, s[18:19]
	s_and_saveexec_b64 s[18:19], s[36:37]
	s_cbranch_execz .LBB133_22
.LBB133_55:                             ;   in Loop: Header=BB133_7 Depth=1
	ds_read_b64 v[54:55], v58 offset:32
	v_lshl_add_u64 v[60:61], v[50:51], 0, 32
	v_lshl_add_u64 v[62:63], v[12:13], 3, v[48:49]
	v_cndmask_b32_e64 v61, v63, v61, s[0:1]
	v_cndmask_b32_e64 v60, v62, v60, s[0:1]
	s_waitcnt lgkmcnt(0)
	global_store_dwordx2 v[60:61], v[54:55], off
	s_or_b64 exec, exec, s[18:19]
	s_and_saveexec_b64 s[18:19], s[38:39]
	s_cbranch_execz .LBB133_23
.LBB133_56:                             ;   in Loop: Header=BB133_7 Depth=1
	ds_read_b64 v[54:55], v58 offset:64
	v_lshl_add_u64 v[60:61], v[50:51], 0, 64
	v_lshl_add_u64 v[62:63], v[14:15], 3, v[48:49]
	v_cndmask_b32_e64 v61, v63, v61, s[0:1]
	v_cndmask_b32_e64 v60, v62, v60, s[0:1]
	s_waitcnt lgkmcnt(0)
	global_store_dwordx2 v[60:61], v[54:55], off
	s_or_b64 exec, exec, s[18:19]
	s_and_saveexec_b64 s[18:19], s[40:41]
	s_cbranch_execz .LBB133_24
.LBB133_57:                             ;   in Loop: Header=BB133_7 Depth=1
	ds_read_b64 v[54:55], v58 offset:96
	s_mov_b64 s[66:67], 0x60
	v_lshl_add_u64 v[60:61], v[50:51], 0, s[66:67]
	v_lshl_add_u64 v[62:63], v[16:17], 3, v[48:49]
	v_cndmask_b32_e64 v61, v63, v61, s[0:1]
	v_cndmask_b32_e64 v60, v62, v60, s[0:1]
	s_waitcnt lgkmcnt(0)
	global_store_dwordx2 v[60:61], v[54:55], off
	s_or_b64 exec, exec, s[18:19]
	s_and_saveexec_b64 s[18:19], s[42:43]
	s_cbranch_execz .LBB133_25
.LBB133_58:                             ;   in Loop: Header=BB133_7 Depth=1
	ds_read_b64 v[54:55], v58 offset:128
	s_mov_b64 s[66:67], 0x80
	v_lshl_add_u64 v[60:61], v[50:51], 0, s[66:67]
	v_lshl_add_u64 v[62:63], v[18:19], 3, v[48:49]
	v_cndmask_b32_e64 v61, v63, v61, s[0:1]
	v_cndmask_b32_e64 v60, v62, v60, s[0:1]
	s_waitcnt lgkmcnt(0)
	global_store_dwordx2 v[60:61], v[54:55], off
	s_or_b64 exec, exec, s[18:19]
	s_and_saveexec_b64 s[18:19], s[44:45]
	s_cbranch_execz .LBB133_26
.LBB133_59:                             ;   in Loop: Header=BB133_7 Depth=1
	ds_read_b64 v[54:55], v58 offset:160
	s_mov_b64 s[66:67], 0xa0
	v_lshl_add_u64 v[60:61], v[50:51], 0, s[66:67]
	v_lshl_add_u64 v[62:63], v[20:21], 3, v[48:49]
	v_cndmask_b32_e64 v61, v63, v61, s[0:1]
	v_cndmask_b32_e64 v60, v62, v60, s[0:1]
	s_waitcnt lgkmcnt(0)
	global_store_dwordx2 v[60:61], v[54:55], off
	s_or_b64 exec, exec, s[18:19]
	s_and_saveexec_b64 s[18:19], s[46:47]
	s_cbranch_execz .LBB133_27
.LBB133_60:                             ;   in Loop: Header=BB133_7 Depth=1
	ds_read_b64 v[54:55], v58 offset:192
	s_mov_b64 s[66:67], 0xc0
	v_lshl_add_u64 v[60:61], v[50:51], 0, s[66:67]
	v_lshl_add_u64 v[62:63], v[22:23], 3, v[48:49]
	v_cndmask_b32_e64 v61, v63, v61, s[0:1]
	v_cndmask_b32_e64 v60, v62, v60, s[0:1]
	s_waitcnt lgkmcnt(0)
	global_store_dwordx2 v[60:61], v[54:55], off
	s_or_b64 exec, exec, s[18:19]
	s_and_saveexec_b64 s[18:19], s[48:49]
	s_cbranch_execz .LBB133_28
.LBB133_61:                             ;   in Loop: Header=BB133_7 Depth=1
	ds_read_b64 v[54:55], v58 offset:224
	v_lshl_add_u64 v[60:61], v[50:51], 0, s[74:75]
	v_lshl_add_u64 v[62:63], v[24:25], 3, v[48:49]
	v_cndmask_b32_e64 v61, v63, v61, s[0:1]
	v_cndmask_b32_e64 v60, v62, v60, s[0:1]
	s_waitcnt lgkmcnt(0)
	global_store_dwordx2 v[60:61], v[54:55], off
	s_or_b64 exec, exec, s[18:19]
	s_and_saveexec_b64 s[18:19], s[50:51]
	s_cbranch_execz .LBB133_29
.LBB133_62:                             ;   in Loop: Header=BB133_7 Depth=1
	ds_read_b64 v[54:55], v58 offset:256
	v_lshl_add_u64 v[60:61], v[50:51], 0, s[76:77]
	v_lshl_add_u64 v[62:63], v[26:27], 3, v[48:49]
	v_cndmask_b32_e64 v61, v63, v61, s[0:1]
	v_cndmask_b32_e64 v60, v62, v60, s[0:1]
	s_waitcnt lgkmcnt(0)
	global_store_dwordx2 v[60:61], v[54:55], off
	s_or_b64 exec, exec, s[18:19]
	s_and_saveexec_b64 s[18:19], s[52:53]
	s_cbranch_execz .LBB133_30
.LBB133_63:                             ;   in Loop: Header=BB133_7 Depth=1
	ds_read_b64 v[54:55], v58 offset:288
	v_lshl_add_u64 v[60:61], v[50:51], 0, s[78:79]
	v_lshl_add_u64 v[62:63], v[28:29], 3, v[48:49]
	v_cndmask_b32_e64 v61, v63, v61, s[0:1]
	v_cndmask_b32_e64 v60, v62, v60, s[0:1]
	s_waitcnt lgkmcnt(0)
	global_store_dwordx2 v[60:61], v[54:55], off
	s_or_b64 exec, exec, s[18:19]
	s_and_saveexec_b64 s[18:19], s[54:55]
	s_cbranch_execz .LBB133_31
.LBB133_64:                             ;   in Loop: Header=BB133_7 Depth=1
	ds_read_b64 v[54:55], v58 offset:320
	v_lshl_add_u64 v[60:61], v[50:51], 0, s[80:81]
	v_lshl_add_u64 v[62:63], v[30:31], 3, v[48:49]
	v_cndmask_b32_e64 v61, v63, v61, s[0:1]
	v_cndmask_b32_e64 v60, v62, v60, s[0:1]
	s_waitcnt lgkmcnt(0)
	global_store_dwordx2 v[60:61], v[54:55], off
	s_or_b64 exec, exec, s[18:19]
	s_and_saveexec_b64 s[18:19], s[56:57]
	s_cbranch_execz .LBB133_32
.LBB133_65:                             ;   in Loop: Header=BB133_7 Depth=1
	ds_read_b64 v[54:55], v58 offset:352
	v_lshl_add_u64 v[60:61], v[50:51], 0, s[82:83]
	v_lshl_add_u64 v[62:63], v[32:33], 3, v[48:49]
	v_cndmask_b32_e64 v61, v63, v61, s[0:1]
	v_cndmask_b32_e64 v60, v62, v60, s[0:1]
	s_waitcnt lgkmcnt(0)
	global_store_dwordx2 v[60:61], v[54:55], off
	s_or_b64 exec, exec, s[18:19]
	s_and_saveexec_b64 s[18:19], s[58:59]
	s_cbranch_execz .LBB133_33
.LBB133_66:                             ;   in Loop: Header=BB133_7 Depth=1
	ds_read_b64 v[54:55], v58 offset:384
	v_lshl_add_u64 v[60:61], v[50:51], 0, s[84:85]
	v_lshl_add_u64 v[62:63], v[34:35], 3, v[48:49]
	v_cndmask_b32_e64 v61, v63, v61, s[0:1]
	v_cndmask_b32_e64 v60, v62, v60, s[0:1]
	s_waitcnt lgkmcnt(0)
	global_store_dwordx2 v[60:61], v[54:55], off
	s_or_b64 exec, exec, s[18:19]
	s_and_saveexec_b64 s[18:19], s[60:61]
	s_cbranch_execz .LBB133_34
.LBB133_67:                             ;   in Loop: Header=BB133_7 Depth=1
	ds_read_b64 v[54:55], v58 offset:416
	v_lshl_add_u64 v[60:61], v[50:51], 0, s[86:87]
	v_lshl_add_u64 v[62:63], v[36:37], 3, v[48:49]
	v_cndmask_b32_e64 v61, v63, v61, s[0:1]
	v_cndmask_b32_e64 v60, v62, v60, s[0:1]
	s_waitcnt lgkmcnt(0)
	global_store_dwordx2 v[60:61], v[54:55], off
	s_or_b64 exec, exec, s[18:19]
	s_and_saveexec_b64 s[18:19], s[62:63]
	s_cbranch_execz .LBB133_35
.LBB133_68:                             ;   in Loop: Header=BB133_7 Depth=1
	ds_read_b64 v[54:55], v58 offset:448
	v_lshl_add_u64 v[60:61], v[50:51], 0, s[88:89]
	v_lshl_add_u64 v[62:63], v[38:39], 3, v[48:49]
	v_cndmask_b32_e64 v61, v63, v61, s[0:1]
	v_cndmask_b32_e64 v60, v62, v60, s[0:1]
	s_waitcnt lgkmcnt(0)
	global_store_dwordx2 v[60:61], v[54:55], off
	s_or_b64 exec, exec, s[18:19]
	s_and_saveexec_b64 s[18:19], s[64:65]
	s_cbranch_execnz .LBB133_36
	s_branch .LBB133_37
.LBB133_69:
	s_endpgm
	.section	.rodata,"a",@progbits
	.p2align	6, 0x0
	.amdhsa_kernel _ZN9rocsparseL38csr2bsr_block_per_row_multipass_kernelILj256ELj64EdilEEv20rocsparse_direction_T3_S2_S2_S2_S2_21rocsparse_index_base_PKT1_PKT2_PKS2_S3_PS4_PS7_PS2_
		.amdhsa_group_segment_fixed_size 32776
		.amdhsa_private_segment_fixed_size 0
		.amdhsa_kernarg_size 112
		.amdhsa_user_sgpr_count 2
		.amdhsa_user_sgpr_dispatch_ptr 0
		.amdhsa_user_sgpr_queue_ptr 0
		.amdhsa_user_sgpr_kernarg_segment_ptr 1
		.amdhsa_user_sgpr_dispatch_id 0
		.amdhsa_user_sgpr_kernarg_preload_length 0
		.amdhsa_user_sgpr_kernarg_preload_offset 0
		.amdhsa_user_sgpr_private_segment_size 0
		.amdhsa_uses_dynamic_stack 0
		.amdhsa_enable_private_segment 0
		.amdhsa_system_sgpr_workgroup_id_x 1
		.amdhsa_system_sgpr_workgroup_id_y 0
		.amdhsa_system_sgpr_workgroup_id_z 0
		.amdhsa_system_sgpr_workgroup_info 0
		.amdhsa_system_vgpr_workitem_id 0
		.amdhsa_next_free_vgpr 67
		.amdhsa_next_free_sgpr 100
		.amdhsa_accum_offset 68
		.amdhsa_reserve_vcc 1
		.amdhsa_float_round_mode_32 0
		.amdhsa_float_round_mode_16_64 0
		.amdhsa_float_denorm_mode_32 3
		.amdhsa_float_denorm_mode_16_64 3
		.amdhsa_dx10_clamp 1
		.amdhsa_ieee_mode 1
		.amdhsa_fp16_overflow 0
		.amdhsa_tg_split 0
		.amdhsa_exception_fp_ieee_invalid_op 0
		.amdhsa_exception_fp_denorm_src 0
		.amdhsa_exception_fp_ieee_div_zero 0
		.amdhsa_exception_fp_ieee_overflow 0
		.amdhsa_exception_fp_ieee_underflow 0
		.amdhsa_exception_fp_ieee_inexact 0
		.amdhsa_exception_int_div_zero 0
	.end_amdhsa_kernel
	.section	.text._ZN9rocsparseL38csr2bsr_block_per_row_multipass_kernelILj256ELj64EdilEEv20rocsparse_direction_T3_S2_S2_S2_S2_21rocsparse_index_base_PKT1_PKT2_PKS2_S3_PS4_PS7_PS2_,"axG",@progbits,_ZN9rocsparseL38csr2bsr_block_per_row_multipass_kernelILj256ELj64EdilEEv20rocsparse_direction_T3_S2_S2_S2_S2_21rocsparse_index_base_PKT1_PKT2_PKS2_S3_PS4_PS7_PS2_,comdat
.Lfunc_end133:
	.size	_ZN9rocsparseL38csr2bsr_block_per_row_multipass_kernelILj256ELj64EdilEEv20rocsparse_direction_T3_S2_S2_S2_S2_21rocsparse_index_base_PKT1_PKT2_PKS2_S3_PS4_PS7_PS2_, .Lfunc_end133-_ZN9rocsparseL38csr2bsr_block_per_row_multipass_kernelILj256ELj64EdilEEv20rocsparse_direction_T3_S2_S2_S2_S2_21rocsparse_index_base_PKT1_PKT2_PKS2_S3_PS4_PS7_PS2_
                                        ; -- End function
	.section	.AMDGPU.csdata,"",@progbits
; Kernel info:
; codeLenInByte = 4360
; NumSgprs: 106
; NumVgprs: 67
; NumAgprs: 0
; TotalNumVgprs: 67
; ScratchSize: 0
; MemoryBound: 0
; FloatMode: 240
; IeeeMode: 1
; LDSByteSize: 32776 bytes/workgroup (compile time only)
; SGPRBlocks: 13
; VGPRBlocks: 8
; NumSGPRsForWavesPerEU: 106
; NumVGPRsForWavesPerEU: 67
; AccumOffset: 68
; Occupancy: 1
; WaveLimiterHint : 1
; COMPUTE_PGM_RSRC2:SCRATCH_EN: 0
; COMPUTE_PGM_RSRC2:USER_SGPR: 2
; COMPUTE_PGM_RSRC2:TRAP_HANDLER: 0
; COMPUTE_PGM_RSRC2:TGID_X_EN: 1
; COMPUTE_PGM_RSRC2:TGID_Y_EN: 0
; COMPUTE_PGM_RSRC2:TGID_Z_EN: 0
; COMPUTE_PGM_RSRC2:TIDIG_COMP_CNT: 0
; COMPUTE_PGM_RSRC3_GFX90A:ACCUM_OFFSET: 16
; COMPUTE_PGM_RSRC3_GFX90A:TG_SPLIT: 0
	.section	.text._ZN9rocsparseL21csr2bsr_65_inf_kernelILj32EdilEEv20rocsparse_direction_T2_S2_S2_S2_S2_S2_21rocsparse_index_base_PKT0_PKT1_PKS2_S3_PS4_PS7_PS2_SD_SE_SC_,"axG",@progbits,_ZN9rocsparseL21csr2bsr_65_inf_kernelILj32EdilEEv20rocsparse_direction_T2_S2_S2_S2_S2_S2_21rocsparse_index_base_PKT0_PKT1_PKS2_S3_PS4_PS7_PS2_SD_SE_SC_,comdat
	.globl	_ZN9rocsparseL21csr2bsr_65_inf_kernelILj32EdilEEv20rocsparse_direction_T2_S2_S2_S2_S2_S2_21rocsparse_index_base_PKT0_PKT1_PKS2_S3_PS4_PS7_PS2_SD_SE_SC_ ; -- Begin function _ZN9rocsparseL21csr2bsr_65_inf_kernelILj32EdilEEv20rocsparse_direction_T2_S2_S2_S2_S2_S2_21rocsparse_index_base_PKT0_PKT1_PKS2_S3_PS4_PS7_PS2_SD_SE_SC_
	.p2align	8
	.type	_ZN9rocsparseL21csr2bsr_65_inf_kernelILj32EdilEEv20rocsparse_direction_T2_S2_S2_S2_S2_S2_21rocsparse_index_base_PKT0_PKT1_PKS2_S3_PS4_PS7_PS2_SD_SE_SC_,@function
_ZN9rocsparseL21csr2bsr_65_inf_kernelILj32EdilEEv20rocsparse_direction_T2_S2_S2_S2_S2_S2_21rocsparse_index_base_PKT0_PKT1_PKS2_S3_PS4_PS7_PS2_SD_SE_SC_: ; @_ZN9rocsparseL21csr2bsr_65_inf_kernelILj32EdilEEv20rocsparse_direction_T2_S2_S2_S2_S2_S2_21rocsparse_index_base_PKT0_PKT1_PKS2_S3_PS4_PS7_PS2_SD_SE_SC_
; %bb.0:
	s_load_dwordx2 s[4:5], s[0:1], 0x18
	s_load_dwordx4 s[8:11], s[0:1], 0x8
	s_mov_b32 s3, 0
	s_mov_b64 s[6:7], 0
	s_waitcnt lgkmcnt(0)
	v_mov_b32_e32 v2, s4
	v_mov_b32_e32 v3, s5
	s_load_dwordx2 s[4:5], s[0:1], 0x78
	s_load_dword s16, s[0:1], 0x58
	v_cmp_ge_i64_e32 vcc, s[2:3], v[2:3]
	s_cbranch_vccnz .LBB134_2
; %bb.1:
	s_load_dwordx2 s[6:7], s[0:1], 0x68
	s_lshl_b64 s[12:13], s[2:3], 2
	s_waitcnt lgkmcnt(0)
	s_add_u32 s6, s6, s12
	s_addc_u32 s7, s7, s13
	s_load_dword s3, s[6:7], 0x0
	s_waitcnt lgkmcnt(0)
	s_sub_i32 s6, s3, s16
	s_ashr_i32 s7, s6, 31
.LBB134_2:
	s_load_dwordx4 s[12:15], s[0:1], 0x28
	s_load_dword s33, s[0:1], 0x38
	v_mov_b32_e32 v1, 0
	s_waitcnt lgkmcnt(0)
	s_mul_i32 s3, s2, s15
	s_mul_hi_u32 s17, s2, s14
	s_mul_i32 s18, s2, s14
	s_add_i32 s19, s17, s3
	s_lshl_b64 s[18:19], s[18:19], 8
	s_add_u32 s4, s4, s18
	s_addc_u32 s5, s5, s19
	v_mad_u64_u32 v[6:7], s[18:19], v0, s14, 0
	v_mov_b32_e32 v2, v7
	v_mad_u64_u32 v[2:3], s[18:19], v0, s15, v[2:3]
	v_mov_b32_e32 v7, v2
	v_lshlrev_b64 v[4:5], 2, v[6:7]
	s_lshl_b64 s[18:19], s[14:15], 7
	v_lshl_add_u64 v[2:3], s[4:5], 0, v[4:5]
	s_add_u32 s4, s4, s18
	s_addc_u32 s5, s5, s19
	v_lshl_add_u64 v[4:5], s[4:5], 0, v[4:5]
	v_cmp_lt_i64_e64 s[4:5], s[14:15], 1
	v_cmp_gt_i64_e64 s[36:37], s[14:15], 0
	s_and_b64 vcc, exec, s[4:5]
	s_cbranch_vccnz .LBB134_7
; %bb.3:
	s_load_dwordx2 s[4:5], s[0:1], 0x48
	v_mov_b32_e32 v8, s12
	s_mul_i32 s3, s2, s13
	v_mad_u64_u32 v[8:9], s[20:21], s2, v8, v[0:1]
	v_add_u32_e32 v9, s3, v9
	s_mul_hi_u32 s17, s2, s12
	s_waitcnt lgkmcnt(0)
	v_lshl_add_u64 v[8:9], v[8:9], 2, s[4:5]
	s_add_i32 s19, s17, s3
	s_mul_i32 s18, s2, s12
	v_lshl_add_u64 v[8:9], v[8:9], 0, 4
	s_mov_b64 s[20:21], 0x80
	v_mov_b64_e32 v[10:11], v[4:5]
	v_mov_b64_e32 v[12:13], v[2:3]
	;; [unrolled: 1-line block ×3, first 2 shown]
	s_mov_b64 s[22:23], s[14:15]
	s_branch .LBB134_5
.LBB134_4:                              ;   in Loop: Header=BB134_5 Depth=1
	s_or_b64 exec, exec, s[4:5]
	s_add_u32 s22, s22, -1
	s_addc_u32 s23, s23, -1
	v_lshl_add_u64 v[14:15], v[14:15], 0, 32
	v_lshl_add_u64 v[12:13], v[12:13], 0, 4
	;; [unrolled: 1-line block ×3, first 2 shown]
	s_cmp_eq_u64 s[22:23], 0
	v_lshl_add_u64 v[10:11], v[10:11], 0, 4
	s_cbranch_scc1 .LBB134_7
.LBB134_5:                              ; =>This Inner Loop Header: Depth=1
	v_lshl_add_u64 v[16:17], s[18:19], 0, v[14:15]
	v_cmp_gt_i64_e32 vcc, s[8:9], v[16:17]
	v_cmp_gt_i64_e64 s[4:5], s[12:13], v[14:15]
	s_and_b64 s[24:25], vcc, s[4:5]
	global_store_dword v[12:13], v1, off
	global_store_dword v[10:11], v1, off
	s_and_saveexec_b64 s[4:5], s[24:25]
	s_cbranch_execz .LBB134_4
; %bb.6:                                ;   in Loop: Header=BB134_5 Depth=1
	global_load_dwordx2 v[16:17], v[8:9], off offset:-4
	s_waitcnt vmcnt(0)
	v_subrev_u32_e32 v16, s33, v16
	v_subrev_u32_e32 v17, s33, v17
	global_store_dword v[12:13], v16, off
	global_store_dword v[10:11], v17, off
	s_branch .LBB134_4
.LBB134_7:
	v_cmp_lt_i64_e64 s[4:5], s[10:11], 1
	s_and_b64 vcc, exec, s[4:5]
	s_cbranch_vccnz .LBB134_52
; %bb.8:
	s_load_dwordx4 s[20:23], s[0:1], 0x80
	s_load_dwordx2 s[4:5], s[0:1], 0x70
	s_lshl_b64 s[8:9], s[14:15], 5
	s_mul_i32 s3, s9, s2
	s_mul_hi_u32 s9, s8, s2
	s_add_i32 s3, s9, s3
	s_mul_i32 s2, s8, s2
	s_lshl_b64 s[2:3], s[2:3], 3
	s_waitcnt lgkmcnt(0)
	s_add_u32 s8, s20, s2
	s_addc_u32 s9, s21, s3
	v_lshlrev_b64 v[8:9], 3, v[6:7]
	v_lshl_add_u64 v[6:7], s[8:9], 0, v[8:9]
	s_add_u32 s2, s22, s2
	s_load_dwordx2 s[8:9], s[0:1], 0x60
	s_load_dwordx2 s[18:19], s[0:1], 0x50
	;; [unrolled: 1-line block ×3, first 2 shown]
	s_load_dword s24, s[0:1], 0x0
	s_addc_u32 s3, s23, s3
	v_lshl_add_u64 v[8:9], s[2:3], 0, v[8:9]
	s_lshl_b64 s[2:3], s[6:7], 3
	s_add_u32 s22, s4, s2
	s_addc_u32 s23, s5, s3
	v_mbcnt_lo_u32_b32 v11, -1, 0
	v_mov_b32_e32 v10, 0
	v_mbcnt_hi_u32_b32 v11, -1, v11
	v_mov_b32_e32 v12, 0x7c
	s_waitcnt lgkmcnt(0)
	s_cmp_lg_u32 s24, 0
	s_mov_b32 s48, 0
	v_lshl_or_b32 v36, v11, 2, v12
	s_cselect_b64 s[24:25], -1, 0
	s_add_u32 s26, s6, -1
	v_lshlrev_b32_e32 v12, 3, v0
	v_mov_b32_e32 v13, v10
	v_mov_b64_e32 v[18:19], 0
	v_cndmask_b32_e64 v11, 0, 1, s[36:37]
	v_cmp_eq_u32_e64 s[0:1], 31, v0
	s_mov_b32 s17, s48
	s_addc_u32 s27, s7, -1
	s_lshl_b64 s[28:29], s[12:13], 3
	s_lshl_b64 s[30:31], s[12:13], 8
	v_lshl_add_u64 v[12:13], s[8:9], 0, v[12:13]
	s_mov_b64 s[34:35], 0
	v_cmp_ne_u32_e64 s[2:3], 1, v11
	s_mov_b64 s[36:37], 0x100
	v_mov_b64_e32 v[16:17], v[18:19]
	v_mov_b64_e32 v[14:15], v[18:19]
	s_branch .LBB134_10
.LBB134_9:                              ;   in Loop: Header=BB134_10 Depth=1
	s_waitcnt lgkmcnt(2)
	v_lshl_add_u64 v[18:19], v[18:19], 0, 1
	v_cmp_le_i64_e32 vcc, s[10:11], v[18:19]
	s_or_b64 s[34:35], vcc, s[34:35]
	s_andn2_b64 exec, exec, s[34:35]
	s_cbranch_execz .LBB134_52
.LBB134_10:                             ; =>This Loop Header: Depth=1
                                        ;     Child Loop BB134_14 Depth 2
                                        ;       Child Loop BB134_17 Depth 3
                                        ;     Child Loop BB134_33 Depth 2
	s_and_b64 vcc, exec, s[2:3]
	v_mov_b64_e32 v[20:21], s[10:11]
	s_cbranch_vccnz .LBB134_23
; %bb.11:                               ;   in Loop: Header=BB134_10 Depth=1
	s_mov_b64 s[4:5], 0
	v_mov_b64_e32 v[20:21], s[10:11]
	s_branch .LBB134_14
.LBB134_12:                             ;   in Loop: Header=BB134_14 Depth=2
	s_or_b64 exec, exec, s[38:39]
.LBB134_13:                             ;   in Loop: Header=BB134_14 Depth=2
	s_or_b64 exec, exec, s[6:7]
	s_add_u32 s4, s4, 1
	s_addc_u32 s5, s5, 0
	s_cmp_eq_u64 s[4:5], s[14:15]
	s_cbranch_scc1 .LBB134_23
.LBB134_14:                             ;   Parent Loop BB134_10 Depth=1
                                        ; =>  This Loop Header: Depth=2
                                        ;       Child Loop BB134_17 Depth 3
	s_lshl_b64 s[6:7], s[4:5], 2
	v_lshl_add_u64 v[22:23], v[2:3], 0, s[6:7]
	v_lshl_add_u64 v[24:25], v[4:5], 0, s[6:7]
	global_load_dword v32, v[22:23], off
	global_load_dword v37, v[24:25], off
	s_lshl_b64 s[6:7], s[4:5], 3
	v_lshl_add_u64 v[24:25], v[8:9], 0, s[6:7]
	v_mov_b32_e32 v11, v10
	v_lshl_add_u64 v[26:27], v[6:7], 0, s[6:7]
	v_mov_b64_e32 v[28:29], s[10:11]
	global_store_dwordx2 v[24:25], v[10:11], off
	global_store_dwordx2 v[26:27], v[28:29], off
	s_waitcnt vmcnt(2)
	v_cmp_lt_i32_e32 vcc, v32, v37
	s_and_saveexec_b64 s[6:7], vcc
	s_cbranch_execz .LBB134_13
; %bb.15:                               ;   in Loop: Header=BB134_14 Depth=2
	v_ashrrev_i32_e32 v33, 31, v32
	v_lshl_add_u64 v[34:35], v[32:33], 3, s[18:19]
	s_mov_b64 s[38:39], 0
                                        ; implicit-def: $sgpr40_sgpr41
                                        ; implicit-def: $sgpr44_sgpr45
                                        ; implicit-def: $sgpr42_sgpr43
	s_branch .LBB134_17
.LBB134_16:                             ;   in Loop: Header=BB134_17 Depth=3
	s_or_b64 exec, exec, s[46:47]
	s_and_b64 s[46:47], exec, s[44:45]
	s_or_b64 s[38:39], s[46:47], s[38:39]
	s_andn2_b64 s[40:41], s[40:41], exec
	s_and_b64 s[46:47], s[42:43], exec
	s_or_b64 s[40:41], s[40:41], s[46:47]
	s_andn2_b64 exec, exec, s[38:39]
	s_cbranch_execz .LBB134_19
.LBB134_17:                             ;   Parent Loop BB134_10 Depth=1
                                        ;     Parent Loop BB134_14 Depth=2
                                        ; =>    This Inner Loop Header: Depth=3
	global_load_dwordx2 v[30:31], v[34:35], off
	v_mov_b32_e32 v11, s48
	v_mov_b64_e32 v[28:29], v[32:33]
	s_or_b64 s[42:43], s[42:43], exec
	s_or_b64 s[44:45], s[44:45], exec
                                        ; implicit-def: $vgpr32_vgpr33
	s_waitcnt vmcnt(0)
	v_subrev_co_u32_e32 v30, vcc, s33, v30
	s_nop 1
	v_subb_co_u32_e32 v31, vcc, v31, v11, vcc
	v_cmp_lt_i64_e32 vcc, v[30:31], v[18:19]
	s_and_saveexec_b64 s[46:47], vcc
	s_cbranch_execz .LBB134_16
; %bb.18:                               ;   in Loop: Header=BB134_17 Depth=3
	v_lshl_add_u64 v[32:33], v[28:29], 0, 1
	v_cmp_ge_i32_e32 vcc, v32, v37
	s_andn2_b64 s[44:45], s[44:45], exec
	s_and_b64 s[50:51], vcc, exec
	v_lshl_add_u64 v[34:35], v[34:35], 0, 8
	s_andn2_b64 s[42:43], s[42:43], exec
	s_or_b64 s[44:45], s[44:45], s[50:51]
	s_branch .LBB134_16
.LBB134_19:                             ;   in Loop: Header=BB134_14 Depth=2
	s_or_b64 exec, exec, s[38:39]
	s_xor_b64 s[38:39], s[40:41], -1
	v_lshl_add_u64 v[32:33], v[28:29], 3, s[20:21]
	s_and_saveexec_b64 s[40:41], s[38:39]
	s_xor_b64 s[38:39], exec, s[40:41]
	s_cbranch_execz .LBB134_21
; %bb.20:                               ;   in Loop: Header=BB134_14 Depth=2
	global_load_dwordx2 v[22:23], v[32:33], off
                                        ; implicit-def: $vgpr32_vgpr33
	s_waitcnt vmcnt(0)
	global_store_dwordx2 v[24:25], v[22:23], off
	global_store_dwordx2 v[26:27], v[30:31], off
                                        ; implicit-def: $vgpr24_vgpr25
                                        ; implicit-def: $vgpr26_vgpr27
                                        ; implicit-def: $vgpr22_vgpr23
.LBB134_21:                             ;   in Loop: Header=BB134_14 Depth=2
	s_andn2_saveexec_b64 s[38:39], s[38:39]
	s_cbranch_execz .LBB134_12
; %bb.22:                               ;   in Loop: Header=BB134_14 Depth=2
	global_load_dwordx2 v[32:33], v[32:33], off
	v_cmp_lt_i64_e32 vcc, v[30:31], v[20:21]
	global_store_dwordx2 v[26:27], v[30:31], off
	s_waitcnt vmcnt(1)
	global_store_dwordx2 v[24:25], v[32:33], off
	global_store_dword v[22:23], v28, off
	v_cndmask_b32_e32 v21, v21, v31, vcc
	v_cndmask_b32_e32 v20, v20, v30, vcc
	s_branch .LBB134_12
.LBB134_23:                             ;   in Loop: Header=BB134_10 Depth=1
	s_nop 0
	v_mov_b32_dpp v18, v20 row_shr:1 row_mask:0xf bank_mask:0xf
	v_mov_b32_dpp v19, v21 row_shr:1 row_mask:0xf bank_mask:0xf
	v_cmp_lt_i64_e32 vcc, v[18:19], v[20:21]
	s_nop 1
	v_cndmask_b32_e32 v19, v21, v19, vcc
	v_cndmask_b32_e32 v18, v20, v18, vcc
	s_nop 0
	v_mov_b32_dpp v21, v19 row_shr:2 row_mask:0xf bank_mask:0xf
	v_mov_b32_dpp v20, v18 row_shr:2 row_mask:0xf bank_mask:0xf
	v_cmp_lt_i64_e32 vcc, v[20:21], v[18:19]
	s_nop 1
	v_cndmask_b32_e32 v19, v19, v21, vcc
	v_cndmask_b32_e32 v18, v18, v20, vcc
	;; [unrolled: 7-line block ×4, first 2 shown]
	s_nop 0
	v_mov_b32_dpp v21, v19 row_bcast:15 row_mask:0xa bank_mask:0xf
	v_mov_b32_dpp v20, v18 row_bcast:15 row_mask:0xa bank_mask:0xf
	v_cmp_lt_i64_e32 vcc, v[20:21], v[18:19]
	s_nop 1
	v_cndmask_b32_e32 v19, v19, v21, vcc
	v_cndmask_b32_e32 v18, v18, v20, vcc
	v_cmp_gt_i64_e32 vcc, s[10:11], v[18:19]
	s_and_b64 s[4:5], s[0:1], vcc
	s_and_saveexec_b64 s[6:7], s[4:5]
	s_cbranch_execz .LBB134_29
; %bb.24:                               ;   in Loop: Header=BB134_10 Depth=1
	v_or_b32_e32 v11, s13, v19
	v_cmp_ne_u64_e32 vcc, 0, v[10:11]
                                        ; implicit-def: $vgpr20_vgpr21
	s_and_saveexec_b64 s[4:5], vcc
	s_xor_b64 s[38:39], exec, s[4:5]
	s_cbranch_execnz .LBB134_50
; %bb.25:                               ;   in Loop: Header=BB134_10 Depth=1
	s_andn2_saveexec_b64 s[4:5], s[38:39]
	s_cbranch_execnz .LBB134_51
.LBB134_26:                             ;   in Loop: Header=BB134_10 Depth=1
	s_or_b64 exec, exec, s[4:5]
	v_cmp_ge_i64_e32 vcc, v[20:21], v[16:17]
	s_and_saveexec_b64 s[4:5], vcc
	s_cbranch_execz .LBB134_28
.LBB134_27:                             ;   in Loop: Header=BB134_10 Depth=1
	v_lshl_add_u64 v[16:17], v[20:21], 0, s[16:17]
	s_waitcnt lgkmcnt(0)
	v_lshl_add_u64 v[22:23], v[14:15], 3, s[22:23]
	global_store_dwordx2 v[22:23], v[16:17], off
	v_lshl_add_u64 v[14:15], v[14:15], 0, 1
	v_lshl_add_u64 v[16:17], v[20:21], 0, 1
.LBB134_28:                             ;   in Loop: Header=BB134_10 Depth=1
	s_or_b64 exec, exec, s[4:5]
.LBB134_29:                             ;   in Loop: Header=BB134_10 Depth=1
	s_or_b64 exec, exec, s[6:7]
	ds_bpermute_b32 v18, v36, v18
	ds_bpermute_b32 v19, v36, v19
	s_waitcnt lgkmcnt(3)
	ds_bpermute_b32 v14, v36, v14
	s_waitcnt lgkmcnt(3)
	ds_bpermute_b32 v15, v36, v15
	s_and_b64 vcc, exec, s[2:3]
	s_cbranch_vccnz .LBB134_9
; %bb.30:                               ;   in Loop: Header=BB134_10 Depth=1
	s_waitcnt lgkmcnt(0)
	v_lshl_add_u64 v[20:21], s[26:27], 0, v[14:15]
	v_mov_b32_e32 v11, v15
	v_mul_lo_u32 v24, v21, s12
	v_mul_lo_u32 v25, v20, s13
	v_mad_u64_u32 v[20:21], s[4:5], v20, s12, 0
	v_mov_b32_e32 v22, v14
	v_mov_b32_e32 v23, v10
	v_add3_u32 v21, v21, v25, v24
	v_lshl_add_u64 v[24:25], s[26:27], 0, v[10:11]
	v_lshl_add_u64 v[22:23], v[24:25], 0, v[22:23]
	v_mul_lo_u32 v11, s12, v23
	v_mul_lo_u32 v24, s13, v22
	v_mad_u64_u32 v[22:23], s[4:5], s12, v22, v[0:1]
	v_add3_u32 v11, v24, v23, v11
	v_mov_b64_e32 v[24:25], s[8:9]
	v_mul_lo_u32 v11, s28, v11
	v_mul_lo_u32 v26, s29, v22
	v_mad_u64_u32 v[22:23], s[4:5], s28, v22, v[24:25]
	v_add3_u32 v23, v26, v23, v11
	v_mov_b64_e32 v[24:25], v[6:7]
	v_mov_b64_e32 v[26:27], v[8:9]
	;; [unrolled: 1-line block ×3, first 2 shown]
	s_mov_b64 s[38:39], s[14:15]
	s_branch .LBB134_33
.LBB134_31:                             ;   in Loop: Header=BB134_33 Depth=2
	s_or_b64 exec, exec, s[4:5]
	global_load_dwordx2 v[30:31], v[26:27], off
	v_lshl_add_u64 v[32:33], v[32:33], 3, v[22:23]
	s_waitcnt vmcnt(0)
	global_store_dwordx2 v[32:33], v[30:31], off
.LBB134_32:                             ;   in Loop: Header=BB134_33 Depth=2
	s_or_b64 exec, exec, s[40:41]
	s_add_u32 s38, s38, -1
	s_addc_u32 s39, s39, -1
	v_lshl_add_u64 v[22:23], v[22:23], 0, s[30:31]
	v_lshl_add_u64 v[28:29], v[28:29], 0, s[36:37]
	v_lshl_add_u64 v[26:27], v[26:27], 0, 8
	s_cmp_eq_u64 s[38:39], 0
	v_lshl_add_u64 v[24:25], v[24:25], 0, 8
	s_cbranch_scc1 .LBB134_9
.LBB134_33:                             ;   Parent Loop BB134_10 Depth=1
                                        ; =>  This Inner Loop Header: Depth=2
	global_load_dwordx2 v[30:31], v[24:25], off
	s_waitcnt vmcnt(0)
	v_cmp_gt_i64_e32 vcc, s[10:11], v[30:31]
	s_and_saveexec_b64 s[40:41], vcc
	s_cbranch_execz .LBB134_32
; %bb.34:                               ;   in Loop: Header=BB134_33 Depth=2
	v_or_b32_e32 v37, s13, v31
	v_mov_b32_e32 v11, v37
	v_cmp_ne_u64_e32 vcc, 0, v[10:11]
                                        ; implicit-def: $vgpr32_vgpr33
	s_and_saveexec_b64 s[4:5], vcc
	s_xor_b64 s[6:7], exec, s[4:5]
	s_cbranch_execz .LBB134_36
; %bb.35:                               ;   in Loop: Header=BB134_33 Depth=2
	s_ashr_i32 s42, s13, 31
	s_add_u32 s4, s12, s42
	s_mov_b32 s43, s42
	s_addc_u32 s5, s13, s42
	s_xor_b64 s[44:45], s[4:5], s[42:43]
	v_cvt_f32_u32_e32 v11, s44
	v_cvt_f32_u32_e32 v32, s45
	s_sub_u32 s4, 0, s44
	s_subb_u32 s5, 0, s45
	v_mov_b32_e32 v35, v10
	v_fmac_f32_e32 v11, 0x4f800000, v32
	v_rcp_f32_e32 v11, v11
	s_nop 0
	v_mul_f32_e32 v11, 0x5f7ffffc, v11
	v_mul_f32_e32 v32, 0x2f800000, v11
	v_trunc_f32_e32 v32, v32
	v_fmac_f32_e32 v11, 0xcf800000, v32
	v_cvt_u32_f32_e32 v38, v32
	v_cvt_u32_f32_e32 v11, v11
	v_mul_lo_u32 v32, s4, v38
	v_mul_hi_u32 v34, s4, v11
	v_mul_lo_u32 v33, s5, v11
	v_add_u32_e32 v32, v34, v32
	v_mul_lo_u32 v39, s4, v11
	v_add_u32_e32 v40, v32, v33
	v_mul_hi_u32 v33, v11, v40
	v_mul_lo_u32 v32, v11, v40
	v_mul_hi_u32 v34, v11, v39
	v_lshl_add_u64 v[32:33], v[34:35], 0, v[32:33]
	v_mul_hi_u32 v35, v38, v39
	v_mul_lo_u32 v39, v38, v39
	v_add_co_u32_e32 v32, vcc, v32, v39
	v_mul_hi_u32 v34, v38, v40
	s_nop 0
	v_addc_co_u32_e32 v32, vcc, v33, v35, vcc
	v_mov_b32_e32 v33, v10
	s_nop 0
	v_addc_co_u32_e32 v35, vcc, 0, v34, vcc
	v_mul_lo_u32 v34, v38, v40
	v_lshl_add_u64 v[32:33], v[32:33], 0, v[34:35]
	v_add_co_u32_e32 v11, vcc, v11, v32
	v_mul_lo_u32 v34, s4, v11
	s_nop 0
	v_addc_co_u32_e32 v38, vcc, v38, v33, vcc
	v_mul_lo_u32 v32, s4, v38
	v_mul_hi_u32 v33, s4, v11
	v_add_u32_e32 v32, v33, v32
	v_mul_lo_u32 v33, s5, v11
	v_add_u32_e32 v39, v32, v33
	v_mul_hi_u32 v41, v38, v34
	v_mul_lo_u32 v42, v38, v34
	v_mul_hi_u32 v33, v11, v39
	v_mul_lo_u32 v32, v11, v39
	v_mul_hi_u32 v34, v11, v34
	v_mov_b32_e32 v35, v10
	v_lshl_add_u64 v[32:33], v[34:35], 0, v[32:33]
	v_add_co_u32_e32 v32, vcc, v32, v42
	v_mul_hi_u32 v40, v38, v39
	s_nop 0
	v_addc_co_u32_e32 v32, vcc, v33, v41, vcc
	v_mul_lo_u32 v34, v38, v39
	s_nop 0
	v_addc_co_u32_e32 v35, vcc, 0, v40, vcc
	v_mov_b32_e32 v33, v10
	v_lshl_add_u64 v[32:33], v[32:33], 0, v[34:35]
	v_add_co_u32_e32 v11, vcc, v11, v32
	v_ashrrev_i32_e32 v32, 31, v31
	s_nop 0
	v_addc_co_u32_e32 v40, vcc, v38, v33, vcc
	v_mov_b32_e32 v33, v32
	v_lshl_add_u64 v[34:35], v[30:31], 0, v[32:33]
	v_xor_b32_e32 v42, v34, v32
	v_xor_b32_e32 v33, v35, v32
	v_mad_u64_u32 v[34:35], s[4:5], v42, v40, 0
	v_mul_hi_u32 v38, v42, v11
	v_mov_b32_e32 v39, v10
	v_lshl_add_u64 v[34:35], v[38:39], 0, v[34:35]
	v_mad_u64_u32 v[38:39], s[4:5], v33, v40, 0
	v_mad_u64_u32 v[40:41], s[4:5], v33, v11, 0
	v_add_co_u32_e32 v11, vcc, v34, v40
	s_nop 1
	v_addc_co_u32_e32 v34, vcc, v35, v41, vcc
	v_mov_b32_e32 v35, v10
	s_nop 0
	v_addc_co_u32_e32 v39, vcc, 0, v39, vcc
	v_lshl_add_u64 v[34:35], v[34:35], 0, v[38:39]
	v_mul_lo_u32 v11, s45, v34
	v_mul_lo_u32 v40, s44, v35
	v_mad_u64_u32 v[38:39], s[4:5], s44, v34, 0
	v_add3_u32 v11, v39, v40, v11
	v_sub_u32_e32 v39, v33, v11
	v_mov_b32_e32 v40, s45
	v_sub_co_u32_e32 v42, vcc, v42, v38
	s_nop 1
	v_subb_co_u32_e64 v38, s[4:5], v39, v40, vcc
	v_subrev_co_u32_e64 v39, s[4:5], s44, v42
	v_subb_co_u32_e32 v11, vcc, v33, v11, vcc
	s_nop 0
	v_subbrev_co_u32_e64 v38, s[4:5], 0, v38, s[4:5]
	v_cmp_le_u32_e64 s[4:5], s45, v38
	v_cmp_le_u32_e32 vcc, s45, v11
	s_nop 0
	v_cndmask_b32_e64 v40, 0, -1, s[4:5]
	v_cmp_le_u32_e64 s[4:5], s44, v39
	v_cndmask_b32_e64 v33, 0, -1, vcc
	v_cmp_le_u32_e32 vcc, s44, v42
	v_cndmask_b32_e64 v39, 0, -1, s[4:5]
	v_cmp_eq_u32_e64 s[4:5], s45, v38
	s_nop 1
	v_cndmask_b32_e64 v43, v40, v39, s[4:5]
	v_lshl_add_u64 v[38:39], v[34:35], 0, 2
	v_lshl_add_u64 v[40:41], v[34:35], 0, 1
	v_cmp_ne_u32_e64 s[4:5], 0, v43
	s_nop 1
	v_cndmask_b32_e64 v39, v41, v39, s[4:5]
	v_cndmask_b32_e64 v41, 0, -1, vcc
	v_cmp_eq_u32_e32 vcc, s45, v11
	s_nop 1
	v_cndmask_b32_e32 v11, v33, v41, vcc
	v_cmp_ne_u32_e32 vcc, 0, v11
	v_cndmask_b32_e64 v33, v40, v38, s[4:5]
	s_nop 0
	v_cndmask_b32_e32 v33, v34, v33, vcc
	v_xor_b32_e32 v34, s42, v32
	v_cndmask_b32_e32 v11, v35, v39, vcc
	v_xor_b32_e32 v32, v33, v34
	v_xor_b32_e32 v11, v11, v34
	v_sub_co_u32_e32 v32, vcc, v32, v34
	s_nop 1
	v_subb_co_u32_e32 v33, vcc, v11, v34, vcc
.LBB134_36:                             ;   in Loop: Header=BB134_33 Depth=2
	s_andn2_saveexec_b64 s[4:5], s[6:7]
	s_cbranch_execz .LBB134_38
; %bb.37:                               ;   in Loop: Header=BB134_33 Depth=2
	v_cvt_f32_u32_e32 v11, s12
	s_sub_i32 s6, 0, s12
	v_rcp_iflag_f32_e32 v11, v11
	s_nop 0
	v_mul_f32_e32 v11, 0x4f7ffffe, v11
	v_cvt_u32_f32_e32 v11, v11
	v_mul_lo_u32 v32, s6, v11
	v_mul_hi_u32 v32, v11, v32
	v_add_u32_e32 v11, v11, v32
	v_mul_hi_u32 v11, v30, v11
	v_mul_lo_u32 v32, v11, s12
	v_sub_u32_e32 v32, v30, v32
	v_add_u32_e32 v33, 1, v11
	v_subrev_u32_e32 v34, s12, v32
	v_cmp_le_u32_e32 vcc, s12, v32
	s_nop 1
	v_cndmask_b32_e32 v32, v32, v34, vcc
	v_cndmask_b32_e32 v11, v11, v33, vcc
	v_add_u32_e32 v33, 1, v11
	v_cmp_le_u32_e32 vcc, s12, v32
	s_nop 1
	v_cndmask_b32_e32 v32, v11, v33, vcc
	v_mov_b32_e32 v33, v10
.LBB134_38:                             ;   in Loop: Header=BB134_33 Depth=2
	s_or_b64 exec, exec, s[4:5]
	v_or_b32_e32 v11, s13, v19
	v_cmp_ne_u64_e32 vcc, 0, v[10:11]
                                        ; implicit-def: $vgpr34_vgpr35
	s_and_saveexec_b64 s[4:5], vcc
	s_xor_b64 s[6:7], exec, s[4:5]
	s_cbranch_execnz .LBB134_41
; %bb.39:                               ;   in Loop: Header=BB134_33 Depth=2
	s_andn2_saveexec_b64 s[4:5], s[6:7]
	s_cbranch_execnz .LBB134_42
.LBB134_40:                             ;   in Loop: Header=BB134_33 Depth=2
	s_or_b64 exec, exec, s[4:5]
	v_cmp_eq_u64_e32 vcc, v[32:33], v[34:35]
	s_and_b64 exec, exec, vcc
	s_cbranch_execz .LBB134_32
	s_branch .LBB134_43
.LBB134_41:                             ;   in Loop: Header=BB134_33 Depth=2
	s_ashr_i32 s42, s13, 31
	s_add_u32 s4, s12, s42
	s_mov_b32 s43, s42
	s_addc_u32 s5, s13, s42
	s_xor_b64 s[44:45], s[4:5], s[42:43]
	v_cvt_f32_u32_e32 v11, s44
	v_cvt_f32_u32_e32 v34, s45
	s_sub_u32 s4, 0, s44
	s_subb_u32 s5, 0, s45
	v_mov_b32_e32 v39, v10
	v_fmac_f32_e32 v11, 0x4f800000, v34
	v_rcp_f32_e32 v11, v11
	s_nop 0
	v_mul_f32_e32 v11, 0x5f7ffffc, v11
	v_mul_f32_e32 v34, 0x2f800000, v11
	v_trunc_f32_e32 v34, v34
	v_fmac_f32_e32 v11, 0xcf800000, v34
	v_cvt_u32_f32_e32 v40, v34
	v_cvt_u32_f32_e32 v11, v11
	v_mul_lo_u32 v34, s4, v40
	v_mul_hi_u32 v38, s4, v11
	v_mul_lo_u32 v35, s5, v11
	v_add_u32_e32 v34, v38, v34
	v_mul_lo_u32 v41, s4, v11
	v_add_u32_e32 v42, v34, v35
	v_mul_hi_u32 v35, v11, v42
	v_mul_lo_u32 v34, v11, v42
	v_mul_hi_u32 v38, v11, v41
	v_lshl_add_u64 v[34:35], v[38:39], 0, v[34:35]
	v_mul_hi_u32 v39, v40, v41
	v_mul_lo_u32 v41, v40, v41
	v_add_co_u32_e32 v34, vcc, v34, v41
	v_mul_hi_u32 v38, v40, v42
	s_nop 0
	v_addc_co_u32_e32 v34, vcc, v35, v39, vcc
	v_mov_b32_e32 v35, v10
	s_nop 0
	v_addc_co_u32_e32 v39, vcc, 0, v38, vcc
	v_mul_lo_u32 v38, v40, v42
	v_lshl_add_u64 v[34:35], v[34:35], 0, v[38:39]
	v_add_co_u32_e32 v11, vcc, v11, v34
	v_mul_lo_u32 v38, s4, v11
	s_nop 0
	v_addc_co_u32_e32 v40, vcc, v40, v35, vcc
	v_mul_lo_u32 v34, s4, v40
	v_mul_hi_u32 v35, s4, v11
	v_add_u32_e32 v34, v35, v34
	v_mul_lo_u32 v35, s5, v11
	v_add_u32_e32 v41, v34, v35
	v_mul_hi_u32 v43, v40, v38
	v_mul_lo_u32 v44, v40, v38
	v_mul_hi_u32 v35, v11, v41
	v_mul_lo_u32 v34, v11, v41
	v_mul_hi_u32 v38, v11, v38
	v_mov_b32_e32 v39, v10
	v_lshl_add_u64 v[34:35], v[38:39], 0, v[34:35]
	v_add_co_u32_e32 v34, vcc, v34, v44
	v_mul_hi_u32 v42, v40, v41
	s_nop 0
	v_addc_co_u32_e32 v34, vcc, v35, v43, vcc
	v_mul_lo_u32 v38, v40, v41
	s_nop 0
	v_addc_co_u32_e32 v39, vcc, 0, v42, vcc
	v_mov_b32_e32 v35, v10
	v_lshl_add_u64 v[34:35], v[34:35], 0, v[38:39]
	v_add_co_u32_e32 v11, vcc, v11, v34
	v_ashrrev_i32_e32 v34, 31, v19
	s_nop 0
	v_addc_co_u32_e32 v42, vcc, v40, v35, vcc
	v_mov_b32_e32 v35, v34
	v_lshl_add_u64 v[38:39], v[18:19], 0, v[34:35]
	v_xor_b32_e32 v44, v38, v34
	v_xor_b32_e32 v35, v39, v34
	v_mad_u64_u32 v[38:39], s[4:5], v44, v42, 0
	v_mul_hi_u32 v40, v44, v11
	v_mov_b32_e32 v41, v10
	v_lshl_add_u64 v[38:39], v[40:41], 0, v[38:39]
	v_mad_u64_u32 v[40:41], s[4:5], v35, v42, 0
	v_mad_u64_u32 v[42:43], s[4:5], v35, v11, 0
	v_add_co_u32_e32 v11, vcc, v38, v42
	s_nop 1
	v_addc_co_u32_e32 v38, vcc, v39, v43, vcc
	v_mov_b32_e32 v39, v10
	s_nop 0
	v_addc_co_u32_e32 v41, vcc, 0, v41, vcc
	v_lshl_add_u64 v[38:39], v[38:39], 0, v[40:41]
	v_mul_lo_u32 v11, s45, v38
	v_mul_lo_u32 v42, s44, v39
	v_mad_u64_u32 v[40:41], s[4:5], s44, v38, 0
	v_add3_u32 v11, v41, v42, v11
	v_sub_u32_e32 v41, v35, v11
	v_mov_b32_e32 v42, s45
	v_sub_co_u32_e32 v44, vcc, v44, v40
	s_nop 1
	v_subb_co_u32_e64 v40, s[4:5], v41, v42, vcc
	v_subrev_co_u32_e64 v41, s[4:5], s44, v44
	v_subb_co_u32_e32 v11, vcc, v35, v11, vcc
	s_nop 0
	v_subbrev_co_u32_e64 v40, s[4:5], 0, v40, s[4:5]
	v_cmp_le_u32_e64 s[4:5], s45, v40
	v_cmp_le_u32_e32 vcc, s45, v11
	s_nop 0
	v_cndmask_b32_e64 v42, 0, -1, s[4:5]
	v_cmp_le_u32_e64 s[4:5], s44, v41
	v_cndmask_b32_e64 v35, 0, -1, vcc
	v_cmp_le_u32_e32 vcc, s44, v44
	v_cndmask_b32_e64 v41, 0, -1, s[4:5]
	v_cmp_eq_u32_e64 s[4:5], s45, v40
	s_nop 1
	v_cndmask_b32_e64 v45, v42, v41, s[4:5]
	v_lshl_add_u64 v[40:41], v[38:39], 0, 2
	v_lshl_add_u64 v[42:43], v[38:39], 0, 1
	v_cmp_ne_u32_e64 s[4:5], 0, v45
	s_nop 1
	v_cndmask_b32_e64 v41, v43, v41, s[4:5]
	v_cndmask_b32_e64 v43, 0, -1, vcc
	v_cmp_eq_u32_e32 vcc, s45, v11
	s_nop 1
	v_cndmask_b32_e32 v11, v35, v43, vcc
	v_cmp_ne_u32_e32 vcc, 0, v11
	v_cndmask_b32_e64 v35, v42, v40, s[4:5]
	s_nop 0
	v_cndmask_b32_e32 v35, v38, v35, vcc
	v_xor_b32_e32 v38, s42, v34
	v_cndmask_b32_e32 v11, v39, v41, vcc
	v_xor_b32_e32 v34, v35, v38
	v_xor_b32_e32 v11, v11, v38
	v_sub_co_u32_e32 v34, vcc, v34, v38
	s_nop 1
	v_subb_co_u32_e32 v35, vcc, v11, v38, vcc
	s_andn2_saveexec_b64 s[4:5], s[6:7]
	s_cbranch_execz .LBB134_40
.LBB134_42:                             ;   in Loop: Header=BB134_33 Depth=2
	v_cvt_f32_u32_e32 v11, s12
	s_sub_i32 s6, 0, s12
	v_rcp_iflag_f32_e32 v11, v11
	s_nop 0
	v_mul_f32_e32 v11, 0x4f7ffffe, v11
	v_cvt_u32_f32_e32 v11, v11
	v_mul_lo_u32 v34, s6, v11
	v_mul_hi_u32 v34, v11, v34
	v_add_u32_e32 v11, v11, v34
	v_mul_hi_u32 v11, v18, v11
	v_mul_lo_u32 v34, v11, s12
	v_sub_u32_e32 v34, v18, v34
	v_add_u32_e32 v35, 1, v11
	v_subrev_u32_e32 v38, s12, v34
	v_cmp_le_u32_e32 vcc, s12, v34
	s_nop 1
	v_cndmask_b32_e32 v34, v34, v38, vcc
	v_cndmask_b32_e32 v11, v11, v35, vcc
	v_add_u32_e32 v35, 1, v11
	v_cmp_le_u32_e32 vcc, s12, v34
	s_nop 1
	v_cndmask_b32_e32 v34, v11, v35, vcc
	v_mov_b32_e32 v35, v10
	s_or_b64 exec, exec, s[4:5]
	v_cmp_eq_u64_e32 vcc, v[32:33], v[34:35]
	s_and_b64 exec, exec, vcc
	s_cbranch_execz .LBB134_32
.LBB134_43:                             ;   in Loop: Header=BB134_33 Depth=2
	s_and_b64 vcc, exec, s[24:25]
	s_cbranch_vccz .LBB134_45
; %bb.44:                               ;   in Loop: Header=BB134_33 Depth=2
	global_load_dwordx2 v[34:35], v[26:27], off
	v_mul_lo_u32 v11, v33, s12
	v_mul_lo_u32 v38, v32, s13
	v_mad_u64_u32 v[32:33], s[4:5], v32, s12, 0
	v_add3_u32 v11, v33, v38, v11
	v_sub_co_u32_e32 v32, vcc, v30, v32
	s_nop 1
	v_subb_co_u32_e32 v33, vcc, v31, v11, vcc
	v_lshl_add_u64 v[32:33], v[32:33], 0, v[20:21]
	v_mul_lo_u32 v11, s28, v33
	v_mul_lo_u32 v38, s29, v32
	v_mad_u64_u32 v[32:33], s[4:5], s28, v32, v[28:29]
	v_add3_u32 v33, v38, v33, v11
	s_waitcnt vmcnt(0)
	global_store_dwordx2 v[32:33], v[34:35], off
	s_cbranch_execnz .LBB134_32
	s_branch .LBB134_46
.LBB134_45:                             ;   in Loop: Header=BB134_33 Depth=2
.LBB134_46:                             ;   in Loop: Header=BB134_33 Depth=2
	v_mov_b32_e32 v11, v37
	v_cmp_ne_u64_e32 vcc, 0, v[10:11]
                                        ; implicit-def: $vgpr32_vgpr33
	s_and_saveexec_b64 s[4:5], vcc
	s_xor_b64 s[42:43], exec, s[4:5]
	s_cbranch_execz .LBB134_48
; %bb.47:                               ;   in Loop: Header=BB134_33 Depth=2
	s_ashr_i32 s4, s13, 31
	s_add_u32 s6, s12, s4
	s_mov_b32 s5, s4
	s_addc_u32 s7, s13, s4
	s_xor_b64 s[44:45], s[6:7], s[4:5]
	v_cvt_f32_u32_e32 v11, s44
	v_cvt_f32_u32_e32 v32, s45
	s_sub_u32 s4, 0, s44
	s_subb_u32 s5, 0, s45
	v_mov_b32_e32 v35, v10
	v_fmac_f32_e32 v11, 0x4f800000, v32
	v_rcp_f32_e32 v11, v11
	s_nop 0
	v_mul_f32_e32 v11, 0x5f7ffffc, v11
	v_mul_f32_e32 v32, 0x2f800000, v11
	v_trunc_f32_e32 v32, v32
	v_fmac_f32_e32 v11, 0xcf800000, v32
	v_cvt_u32_f32_e32 v37, v32
	v_cvt_u32_f32_e32 v11, v11
	v_mul_lo_u32 v32, s4, v37
	v_mul_hi_u32 v34, s4, v11
	v_mul_lo_u32 v33, s5, v11
	v_add_u32_e32 v32, v34, v32
	v_mul_lo_u32 v38, s4, v11
	v_add_u32_e32 v39, v32, v33
	v_mul_hi_u32 v33, v11, v39
	v_mul_lo_u32 v32, v11, v39
	v_mul_hi_u32 v34, v11, v38
	v_lshl_add_u64 v[32:33], v[34:35], 0, v[32:33]
	v_mul_hi_u32 v35, v37, v38
	v_mul_lo_u32 v38, v37, v38
	v_add_co_u32_e32 v32, vcc, v32, v38
	v_mul_hi_u32 v34, v37, v39
	s_nop 0
	v_addc_co_u32_e32 v32, vcc, v33, v35, vcc
	v_mov_b32_e32 v33, v10
	s_nop 0
	v_addc_co_u32_e32 v35, vcc, 0, v34, vcc
	v_mul_lo_u32 v34, v37, v39
	v_lshl_add_u64 v[32:33], v[32:33], 0, v[34:35]
	v_add_co_u32_e32 v11, vcc, v11, v32
	v_mul_lo_u32 v34, s4, v11
	s_nop 0
	v_addc_co_u32_e32 v37, vcc, v37, v33, vcc
	v_mul_lo_u32 v32, s4, v37
	v_mul_hi_u32 v33, s4, v11
	v_add_u32_e32 v32, v33, v32
	v_mul_lo_u32 v33, s5, v11
	v_add_u32_e32 v38, v32, v33
	v_mul_hi_u32 v40, v37, v34
	v_mul_lo_u32 v41, v37, v34
	v_mul_hi_u32 v33, v11, v38
	v_mul_lo_u32 v32, v11, v38
	v_mul_hi_u32 v34, v11, v34
	v_mov_b32_e32 v35, v10
	v_lshl_add_u64 v[32:33], v[34:35], 0, v[32:33]
	v_add_co_u32_e32 v32, vcc, v32, v41
	v_mul_hi_u32 v39, v37, v38
	s_nop 0
	v_addc_co_u32_e32 v32, vcc, v33, v40, vcc
	v_mul_lo_u32 v34, v37, v38
	s_nop 0
	v_addc_co_u32_e32 v35, vcc, 0, v39, vcc
	v_mov_b32_e32 v33, v10
	v_lshl_add_u64 v[32:33], v[32:33], 0, v[34:35]
	v_ashrrev_i32_e32 v34, 31, v31
	v_mov_b32_e32 v35, v34
	v_add_co_u32_e32 v11, vcc, v11, v32
	v_lshl_add_u64 v[30:31], v[30:31], 0, v[34:35]
	s_nop 0
	v_addc_co_u32_e32 v37, vcc, v37, v33, vcc
	v_xor_b32_e32 v40, v30, v34
	v_xor_b32_e32 v35, v31, v34
	v_mad_u64_u32 v[30:31], s[4:5], v40, v37, 0
	v_mul_hi_u32 v32, v40, v11
	v_mov_b32_e32 v33, v10
	v_lshl_add_u64 v[30:31], v[32:33], 0, v[30:31]
	v_mad_u64_u32 v[38:39], s[4:5], v35, v11, 0
	v_add_co_u32_e32 v11, vcc, v30, v38
	v_mad_u64_u32 v[32:33], s[4:5], v35, v37, 0
	s_nop 0
	v_addc_co_u32_e32 v30, vcc, v31, v39, vcc
	v_mov_b32_e32 v31, v10
	s_nop 0
	v_addc_co_u32_e32 v33, vcc, 0, v33, vcc
	v_lshl_add_u64 v[30:31], v[30:31], 0, v[32:33]
	v_mul_lo_u32 v11, s45, v30
	v_mul_lo_u32 v32, s44, v31
	v_mad_u64_u32 v[30:31], s[4:5], s44, v30, 0
	v_add3_u32 v11, v31, v32, v11
	v_sub_u32_e32 v31, v35, v11
	v_mov_b32_e32 v32, s45
	v_sub_co_u32_e32 v30, vcc, v40, v30
	s_nop 1
	v_subb_co_u32_e64 v31, s[4:5], v31, v32, vcc
	v_subrev_co_u32_e64 v33, s[4:5], s44, v30
	v_subb_co_u32_e32 v11, vcc, v35, v11, vcc
	s_nop 0
	v_subbrev_co_u32_e64 v37, s[6:7], 0, v31, s[4:5]
	v_cmp_le_u32_e64 s[6:7], s45, v37
	v_subb_co_u32_e64 v31, s[4:5], v31, v32, s[4:5]
	s_nop 0
	v_cndmask_b32_e64 v38, 0, -1, s[6:7]
	v_cmp_le_u32_e64 s[6:7], s44, v33
	v_subrev_co_u32_e64 v32, s[4:5], s44, v33
	s_nop 0
	v_cndmask_b32_e64 v39, 0, -1, s[6:7]
	v_cmp_eq_u32_e64 s[6:7], s45, v37
	v_subbrev_co_u32_e64 v31, s[4:5], 0, v31, s[4:5]
	s_nop 0
	v_cndmask_b32_e64 v38, v38, v39, s[6:7]
	v_cmp_le_u32_e32 vcc, s45, v11
	v_cmp_ne_u32_e64 s[4:5], 0, v38
	s_nop 0
	v_cndmask_b32_e64 v35, 0, -1, vcc
	v_cmp_le_u32_e32 vcc, s44, v30
	v_cndmask_b32_e64 v31, v37, v31, s[4:5]
	s_nop 0
	v_cndmask_b32_e64 v37, 0, -1, vcc
	v_cmp_eq_u32_e32 vcc, s45, v11
	s_nop 1
	v_cndmask_b32_e32 v35, v35, v37, vcc
	v_cmp_ne_u32_e32 vcc, 0, v35
	s_nop 1
	v_cndmask_b32_e32 v11, v11, v31, vcc
	v_cndmask_b32_e64 v31, v33, v32, s[4:5]
	v_cndmask_b32_e32 v30, v30, v31, vcc
	v_xor_b32_e32 v30, v30, v34
	v_xor_b32_e32 v11, v11, v34
	v_sub_co_u32_e32 v32, vcc, v30, v34
                                        ; implicit-def: $vgpr30_vgpr31
	s_nop 1
	v_subb_co_u32_e32 v33, vcc, v11, v34, vcc
.LBB134_48:                             ;   in Loop: Header=BB134_33 Depth=2
	s_andn2_saveexec_b64 s[4:5], s[42:43]
	s_cbranch_execz .LBB134_31
; %bb.49:                               ;   in Loop: Header=BB134_33 Depth=2
	v_cvt_f32_u32_e32 v11, s12
	s_sub_i32 s6, 0, s12
	v_mov_b32_e32 v33, v10
	v_rcp_iflag_f32_e32 v11, v11
	s_nop 0
	v_mul_f32_e32 v11, 0x4f7ffffe, v11
	v_cvt_u32_f32_e32 v11, v11
	v_mul_lo_u32 v31, s6, v11
	v_mul_hi_u32 v31, v11, v31
	v_add_u32_e32 v11, v11, v31
	v_mul_hi_u32 v11, v30, v11
	v_mul_lo_u32 v11, v11, s12
	v_sub_u32_e32 v11, v30, v11
	v_subrev_u32_e32 v30, s12, v11
	v_cmp_le_u32_e32 vcc, s12, v11
	s_nop 1
	v_cndmask_b32_e32 v11, v11, v30, vcc
	v_subrev_u32_e32 v30, s12, v11
	v_cmp_le_u32_e32 vcc, s12, v11
	s_nop 1
	v_cndmask_b32_e32 v32, v11, v30, vcc
	s_branch .LBB134_31
.LBB134_50:                             ;   in Loop: Header=BB134_10 Depth=1
	s_ashr_i32 s40, s13, 31
	s_add_u32 s4, s12, s40
	s_mov_b32 s41, s40
	s_addc_u32 s5, s13, s40
	s_xor_b64 s[42:43], s[4:5], s[40:41]
	v_cvt_f32_u32_e32 v11, s42
	v_cvt_f32_u32_e32 v20, s43
	s_sub_u32 s4, 0, s42
	s_subb_u32 s5, 0, s43
	v_mov_b32_e32 v23, v10
	v_fmac_f32_e32 v11, 0x4f800000, v20
	v_rcp_f32_e32 v11, v11
	s_nop 0
	v_mul_f32_e32 v11, 0x5f7ffffc, v11
	v_mul_f32_e32 v20, 0x2f800000, v11
	v_trunc_f32_e32 v20, v20
	v_fmac_f32_e32 v11, 0xcf800000, v20
	v_cvt_u32_f32_e32 v24, v20
	v_cvt_u32_f32_e32 v11, v11
	v_mul_lo_u32 v20, s4, v24
	v_mul_hi_u32 v22, s4, v11
	v_mul_lo_u32 v21, s5, v11
	v_add_u32_e32 v20, v22, v20
	v_mul_lo_u32 v25, s4, v11
	v_add_u32_e32 v26, v20, v21
	v_mul_hi_u32 v21, v11, v26
	v_mul_lo_u32 v20, v11, v26
	v_mul_hi_u32 v22, v11, v25
	v_lshl_add_u64 v[20:21], v[22:23], 0, v[20:21]
	v_mul_hi_u32 v23, v24, v25
	v_mul_lo_u32 v25, v24, v25
	v_add_co_u32_e32 v20, vcc, v20, v25
	v_mul_hi_u32 v22, v24, v26
	s_nop 0
	v_addc_co_u32_e32 v20, vcc, v21, v23, vcc
	v_mov_b32_e32 v21, v10
	s_nop 0
	v_addc_co_u32_e32 v23, vcc, 0, v22, vcc
	v_mul_lo_u32 v22, v24, v26
	v_lshl_add_u64 v[20:21], v[20:21], 0, v[22:23]
	v_add_co_u32_e32 v11, vcc, v11, v20
	v_mul_lo_u32 v22, s4, v11
	s_nop 0
	v_addc_co_u32_e32 v24, vcc, v24, v21, vcc
	v_mul_lo_u32 v20, s4, v24
	v_mul_hi_u32 v21, s4, v11
	v_add_u32_e32 v20, v21, v20
	v_mul_lo_u32 v21, s5, v11
	v_add_u32_e32 v25, v20, v21
	v_mul_hi_u32 v27, v24, v22
	v_mul_lo_u32 v28, v24, v22
	v_mul_hi_u32 v21, v11, v25
	v_mul_lo_u32 v20, v11, v25
	v_mul_hi_u32 v22, v11, v22
	v_mov_b32_e32 v23, v10
	v_lshl_add_u64 v[20:21], v[22:23], 0, v[20:21]
	v_add_co_u32_e32 v20, vcc, v20, v28
	v_mul_hi_u32 v26, v24, v25
	s_nop 0
	v_addc_co_u32_e32 v20, vcc, v21, v27, vcc
	v_mul_lo_u32 v22, v24, v25
	s_nop 0
	v_addc_co_u32_e32 v23, vcc, 0, v26, vcc
	v_mov_b32_e32 v21, v10
	v_lshl_add_u64 v[20:21], v[20:21], 0, v[22:23]
	v_add_co_u32_e32 v11, vcc, v11, v20
	v_ashrrev_i32_e32 v20, 31, v19
	s_nop 0
	v_addc_co_u32_e32 v26, vcc, v24, v21, vcc
	v_mov_b32_e32 v21, v20
	v_lshl_add_u64 v[22:23], v[18:19], 0, v[20:21]
	v_xor_b32_e32 v28, v22, v20
	v_xor_b32_e32 v21, v23, v20
	v_mad_u64_u32 v[22:23], s[4:5], v28, v26, 0
	v_mul_hi_u32 v24, v28, v11
	v_mov_b32_e32 v25, v10
	v_lshl_add_u64 v[22:23], v[24:25], 0, v[22:23]
	v_mad_u64_u32 v[24:25], s[4:5], v21, v26, 0
	v_mad_u64_u32 v[26:27], s[4:5], v21, v11, 0
	v_add_co_u32_e32 v11, vcc, v22, v26
	s_nop 1
	v_addc_co_u32_e32 v22, vcc, v23, v27, vcc
	v_mov_b32_e32 v23, v10
	s_nop 0
	v_addc_co_u32_e32 v25, vcc, 0, v25, vcc
	v_lshl_add_u64 v[22:23], v[22:23], 0, v[24:25]
	v_mul_lo_u32 v11, s43, v22
	v_mul_lo_u32 v26, s42, v23
	v_mad_u64_u32 v[24:25], s[4:5], s42, v22, 0
	v_add3_u32 v11, v25, v26, v11
	v_sub_u32_e32 v25, v21, v11
	v_mov_b32_e32 v26, s43
	v_sub_co_u32_e32 v28, vcc, v28, v24
	s_nop 1
	v_subb_co_u32_e64 v24, s[4:5], v25, v26, vcc
	v_subrev_co_u32_e64 v25, s[4:5], s42, v28
	v_subb_co_u32_e32 v11, vcc, v21, v11, vcc
	s_nop 0
	v_subbrev_co_u32_e64 v24, s[4:5], 0, v24, s[4:5]
	v_cmp_le_u32_e64 s[4:5], s43, v24
	v_cmp_le_u32_e32 vcc, s43, v11
	s_nop 0
	v_cndmask_b32_e64 v26, 0, -1, s[4:5]
	v_cmp_le_u32_e64 s[4:5], s42, v25
	v_cndmask_b32_e64 v21, 0, -1, vcc
	v_cmp_le_u32_e32 vcc, s42, v28
	v_cndmask_b32_e64 v25, 0, -1, s[4:5]
	v_cmp_eq_u32_e64 s[4:5], s43, v24
	s_nop 1
	v_cndmask_b32_e64 v29, v26, v25, s[4:5]
	v_lshl_add_u64 v[24:25], v[22:23], 0, 2
	v_lshl_add_u64 v[26:27], v[22:23], 0, 1
	v_cmp_ne_u32_e64 s[4:5], 0, v29
	s_nop 1
	v_cndmask_b32_e64 v25, v27, v25, s[4:5]
	v_cndmask_b32_e64 v27, 0, -1, vcc
	v_cmp_eq_u32_e32 vcc, s43, v11
	s_nop 1
	v_cndmask_b32_e32 v11, v21, v27, vcc
	v_cmp_ne_u32_e32 vcc, 0, v11
	v_cndmask_b32_e64 v21, v26, v24, s[4:5]
	s_nop 0
	v_cndmask_b32_e32 v21, v22, v21, vcc
	v_xor_b32_e32 v22, s40, v20
	v_cndmask_b32_e32 v11, v23, v25, vcc
	v_xor_b32_e32 v20, v21, v22
	v_xor_b32_e32 v11, v11, v22
	v_sub_co_u32_e32 v20, vcc, v20, v22
	s_nop 1
	v_subb_co_u32_e32 v21, vcc, v11, v22, vcc
	s_andn2_saveexec_b64 s[4:5], s[38:39]
	s_cbranch_execz .LBB134_26
.LBB134_51:                             ;   in Loop: Header=BB134_10 Depth=1
	v_cvt_f32_u32_e32 v11, s12
	s_sub_i32 s38, 0, s12
	v_rcp_iflag_f32_e32 v11, v11
	s_nop 0
	v_mul_f32_e32 v11, 0x4f7ffffe, v11
	v_cvt_u32_f32_e32 v11, v11
	v_mul_lo_u32 v20, s38, v11
	v_mul_hi_u32 v20, v11, v20
	v_add_u32_e32 v11, v11, v20
	v_mul_hi_u32 v11, v18, v11
	v_mul_lo_u32 v20, v11, s12
	v_sub_u32_e32 v20, v18, v20
	v_add_u32_e32 v21, 1, v11
	v_subrev_u32_e32 v22, s12, v20
	v_cmp_le_u32_e32 vcc, s12, v20
	s_nop 1
	v_cndmask_b32_e32 v20, v20, v22, vcc
	v_cndmask_b32_e32 v11, v11, v21, vcc
	v_add_u32_e32 v21, 1, v11
	v_cmp_le_u32_e32 vcc, s12, v20
	s_nop 1
	v_cndmask_b32_e32 v20, v11, v21, vcc
	v_mov_b32_e32 v21, v10
	s_or_b64 exec, exec, s[4:5]
	v_cmp_ge_i64_e32 vcc, v[20:21], v[16:17]
	s_and_saveexec_b64 s[4:5], vcc
	s_cbranch_execnz .LBB134_27
	s_branch .LBB134_28
.LBB134_52:
	s_endpgm
	.section	.rodata,"a",@progbits
	.p2align	6, 0x0
	.amdhsa_kernel _ZN9rocsparseL21csr2bsr_65_inf_kernelILj32EdilEEv20rocsparse_direction_T2_S2_S2_S2_S2_S2_21rocsparse_index_base_PKT0_PKT1_PKS2_S3_PS4_PS7_PS2_SD_SE_SC_
		.amdhsa_group_segment_fixed_size 0
		.amdhsa_private_segment_fixed_size 0
		.amdhsa_kernarg_size 144
		.amdhsa_user_sgpr_count 2
		.amdhsa_user_sgpr_dispatch_ptr 0
		.amdhsa_user_sgpr_queue_ptr 0
		.amdhsa_user_sgpr_kernarg_segment_ptr 1
		.amdhsa_user_sgpr_dispatch_id 0
		.amdhsa_user_sgpr_kernarg_preload_length 0
		.amdhsa_user_sgpr_kernarg_preload_offset 0
		.amdhsa_user_sgpr_private_segment_size 0
		.amdhsa_uses_dynamic_stack 0
		.amdhsa_enable_private_segment 0
		.amdhsa_system_sgpr_workgroup_id_x 1
		.amdhsa_system_sgpr_workgroup_id_y 0
		.amdhsa_system_sgpr_workgroup_id_z 0
		.amdhsa_system_sgpr_workgroup_info 0
		.amdhsa_system_vgpr_workitem_id 0
		.amdhsa_next_free_vgpr 46
		.amdhsa_next_free_sgpr 52
		.amdhsa_accum_offset 48
		.amdhsa_reserve_vcc 1
		.amdhsa_float_round_mode_32 0
		.amdhsa_float_round_mode_16_64 0
		.amdhsa_float_denorm_mode_32 3
		.amdhsa_float_denorm_mode_16_64 3
		.amdhsa_dx10_clamp 1
		.amdhsa_ieee_mode 1
		.amdhsa_fp16_overflow 0
		.amdhsa_tg_split 0
		.amdhsa_exception_fp_ieee_invalid_op 0
		.amdhsa_exception_fp_denorm_src 0
		.amdhsa_exception_fp_ieee_div_zero 0
		.amdhsa_exception_fp_ieee_overflow 0
		.amdhsa_exception_fp_ieee_underflow 0
		.amdhsa_exception_fp_ieee_inexact 0
		.amdhsa_exception_int_div_zero 0
	.end_amdhsa_kernel
	.section	.text._ZN9rocsparseL21csr2bsr_65_inf_kernelILj32EdilEEv20rocsparse_direction_T2_S2_S2_S2_S2_S2_21rocsparse_index_base_PKT0_PKT1_PKS2_S3_PS4_PS7_PS2_SD_SE_SC_,"axG",@progbits,_ZN9rocsparseL21csr2bsr_65_inf_kernelILj32EdilEEv20rocsparse_direction_T2_S2_S2_S2_S2_S2_21rocsparse_index_base_PKT0_PKT1_PKS2_S3_PS4_PS7_PS2_SD_SE_SC_,comdat
.Lfunc_end134:
	.size	_ZN9rocsparseL21csr2bsr_65_inf_kernelILj32EdilEEv20rocsparse_direction_T2_S2_S2_S2_S2_S2_21rocsparse_index_base_PKT0_PKT1_PKS2_S3_PS4_PS7_PS2_SD_SE_SC_, .Lfunc_end134-_ZN9rocsparseL21csr2bsr_65_inf_kernelILj32EdilEEv20rocsparse_direction_T2_S2_S2_S2_S2_S2_21rocsparse_index_base_PKT0_PKT1_PKS2_S3_PS4_PS7_PS2_SD_SE_SC_
                                        ; -- End function
	.section	.AMDGPU.csdata,"",@progbits
; Kernel info:
; codeLenInByte = 5528
; NumSgprs: 58
; NumVgprs: 46
; NumAgprs: 0
; TotalNumVgprs: 46
; ScratchSize: 0
; MemoryBound: 0
; FloatMode: 240
; IeeeMode: 1
; LDSByteSize: 0 bytes/workgroup (compile time only)
; SGPRBlocks: 7
; VGPRBlocks: 5
; NumSGPRsForWavesPerEU: 58
; NumVGPRsForWavesPerEU: 46
; AccumOffset: 48
; Occupancy: 8
; WaveLimiterHint : 1
; COMPUTE_PGM_RSRC2:SCRATCH_EN: 0
; COMPUTE_PGM_RSRC2:USER_SGPR: 2
; COMPUTE_PGM_RSRC2:TRAP_HANDLER: 0
; COMPUTE_PGM_RSRC2:TGID_X_EN: 1
; COMPUTE_PGM_RSRC2:TGID_Y_EN: 0
; COMPUTE_PGM_RSRC2:TGID_Z_EN: 0
; COMPUTE_PGM_RSRC2:TIDIG_COMP_CNT: 0
; COMPUTE_PGM_RSRC3_GFX90A:ACCUM_OFFSET: 11
; COMPUTE_PGM_RSRC3_GFX90A:TG_SPLIT: 0
	.section	.text._ZN9rocsparseL35csr2bsr_block_dim_equals_one_kernelILj256EdllEEvT2_S1_S1_S1_21rocsparse_index_base_PKT0_PKT1_PKS1_S2_PS3_PS6_PS1_,"axG",@progbits,_ZN9rocsparseL35csr2bsr_block_dim_equals_one_kernelILj256EdllEEvT2_S1_S1_S1_21rocsparse_index_base_PKT0_PKT1_PKS1_S2_PS3_PS6_PS1_,comdat
	.globl	_ZN9rocsparseL35csr2bsr_block_dim_equals_one_kernelILj256EdllEEvT2_S1_S1_S1_21rocsparse_index_base_PKT0_PKT1_PKS1_S2_PS3_PS6_PS1_ ; -- Begin function _ZN9rocsparseL35csr2bsr_block_dim_equals_one_kernelILj256EdllEEvT2_S1_S1_S1_21rocsparse_index_base_PKT0_PKT1_PKS1_S2_PS3_PS6_PS1_
	.p2align	8
	.type	_ZN9rocsparseL35csr2bsr_block_dim_equals_one_kernelILj256EdllEEvT2_S1_S1_S1_21rocsparse_index_base_PKT0_PKT1_PKS1_S2_PS3_PS6_PS1_,@function
_ZN9rocsparseL35csr2bsr_block_dim_equals_one_kernelILj256EdllEEvT2_S1_S1_S1_21rocsparse_index_base_PKT0_PKT1_PKS1_S2_PS3_PS6_PS1_: ; @_ZN9rocsparseL35csr2bsr_block_dim_equals_one_kernelILj256EdllEEvT2_S1_S1_S1_21rocsparse_index_base_PKT0_PKT1_PKS1_S2_PS3_PS6_PS1_
; %bb.0:
	s_load_dwordx2 s[8:9], s[0:1], 0x0
	s_load_dwordx4 s[4:7], s[0:1], 0x28
	v_lshl_or_b32 v0, s2, 8, v0
	v_mov_b32_e32 v1, 0
	s_waitcnt lgkmcnt(0)
	s_lshl_b64 s[8:9], s[8:9], 3
	s_add_u32 s8, s6, s8
	s_addc_u32 s9, s7, s9
	s_load_dwordx2 s[10:11], s[8:9], 0x0
	s_load_dwordx2 s[12:13], s[6:7], 0x0
	s_waitcnt lgkmcnt(0)
	s_sub_u32 s2, s10, s12
	s_subb_u32 s3, s11, s13
	v_cmp_gt_i64_e32 vcc, s[2:3], v[0:1]
	s_and_saveexec_b64 s[6:7], vcc
	s_cbranch_execz .LBB135_3
; %bb.1:
	s_load_dword s12, s[0:1], 0x40
	s_load_dwordx2 s[6:7], s[0:1], 0x48
	s_load_dword s13, s[0:1], 0x20
	s_load_dwordx2 s[8:9], s[0:1], 0x38
	;; [unrolled: 2-line block ×3, first 2 shown]
	s_mov_b32 s1, 0
	s_waitcnt lgkmcnt(0)
	s_sub_u32 s12, s12, s13
	s_subb_u32 s13, 0, 0
	s_lshl_b32 s0, s14, 8
	v_lshlrev_b64 v[2:3], 3, v[0:1]
	s_lshl_b64 s[14:15], s[0:1], 3
	s_mov_b64 s[16:17], 0
.LBB135_2:                              ; =>This Inner Loop Header: Depth=1
	v_lshl_add_u64 v[4:5], s[8:9], 0, v[2:3]
	v_lshl_add_u64 v[6:7], s[4:5], 0, v[2:3]
	global_load_dwordx2 v[8:9], v[4:5], off
	global_load_dwordx2 v[10:11], v[6:7], off
	v_lshl_add_u64 v[0:1], v[0:1], 0, s[0:1]
	v_cmp_le_i64_e32 vcc, s[2:3], v[0:1]
	v_lshl_add_u64 v[4:5], s[10:11], 0, v[2:3]
	v_lshl_add_u64 v[6:7], s[6:7], 0, v[2:3]
	;; [unrolled: 1-line block ×3, first 2 shown]
	s_or_b64 s[16:17], vcc, s[16:17]
	s_waitcnt vmcnt(1)
	v_lshl_add_u64 v[8:9], s[12:13], 0, v[8:9]
	s_waitcnt vmcnt(0)
	global_store_dwordx2 v[6:7], v[10:11], off
	global_store_dwordx2 v[4:5], v[8:9], off
	s_andn2_b64 exec, exec, s[16:17]
	s_cbranch_execnz .LBB135_2
.LBB135_3:
	s_endpgm
	.section	.rodata,"a",@progbits
	.p2align	6, 0x0
	.amdhsa_kernel _ZN9rocsparseL35csr2bsr_block_dim_equals_one_kernelILj256EdllEEvT2_S1_S1_S1_21rocsparse_index_base_PKT0_PKT1_PKS1_S2_PS3_PS6_PS1_
		.amdhsa_group_segment_fixed_size 0
		.amdhsa_private_segment_fixed_size 0
		.amdhsa_kernarg_size 352
		.amdhsa_user_sgpr_count 2
		.amdhsa_user_sgpr_dispatch_ptr 0
		.amdhsa_user_sgpr_queue_ptr 0
		.amdhsa_user_sgpr_kernarg_segment_ptr 1
		.amdhsa_user_sgpr_dispatch_id 0
		.amdhsa_user_sgpr_kernarg_preload_length 0
		.amdhsa_user_sgpr_kernarg_preload_offset 0
		.amdhsa_user_sgpr_private_segment_size 0
		.amdhsa_uses_dynamic_stack 0
		.amdhsa_enable_private_segment 0
		.amdhsa_system_sgpr_workgroup_id_x 1
		.amdhsa_system_sgpr_workgroup_id_y 0
		.amdhsa_system_sgpr_workgroup_id_z 0
		.amdhsa_system_sgpr_workgroup_info 0
		.amdhsa_system_vgpr_workitem_id 0
		.amdhsa_next_free_vgpr 12
		.amdhsa_next_free_sgpr 18
		.amdhsa_accum_offset 12
		.amdhsa_reserve_vcc 1
		.amdhsa_float_round_mode_32 0
		.amdhsa_float_round_mode_16_64 0
		.amdhsa_float_denorm_mode_32 3
		.amdhsa_float_denorm_mode_16_64 3
		.amdhsa_dx10_clamp 1
		.amdhsa_ieee_mode 1
		.amdhsa_fp16_overflow 0
		.amdhsa_tg_split 0
		.amdhsa_exception_fp_ieee_invalid_op 0
		.amdhsa_exception_fp_denorm_src 0
		.amdhsa_exception_fp_ieee_div_zero 0
		.amdhsa_exception_fp_ieee_overflow 0
		.amdhsa_exception_fp_ieee_underflow 0
		.amdhsa_exception_fp_ieee_inexact 0
		.amdhsa_exception_int_div_zero 0
	.end_amdhsa_kernel
	.section	.text._ZN9rocsparseL35csr2bsr_block_dim_equals_one_kernelILj256EdllEEvT2_S1_S1_S1_21rocsparse_index_base_PKT0_PKT1_PKS1_S2_PS3_PS6_PS1_,"axG",@progbits,_ZN9rocsparseL35csr2bsr_block_dim_equals_one_kernelILj256EdllEEvT2_S1_S1_S1_21rocsparse_index_base_PKT0_PKT1_PKS1_S2_PS3_PS6_PS1_,comdat
.Lfunc_end135:
	.size	_ZN9rocsparseL35csr2bsr_block_dim_equals_one_kernelILj256EdllEEvT2_S1_S1_S1_21rocsparse_index_base_PKT0_PKT1_PKS1_S2_PS3_PS6_PS1_, .Lfunc_end135-_ZN9rocsparseL35csr2bsr_block_dim_equals_one_kernelILj256EdllEEvT2_S1_S1_S1_21rocsparse_index_base_PKT0_PKT1_PKS1_S2_PS3_PS6_PS1_
                                        ; -- End function
	.section	.AMDGPU.csdata,"",@progbits
; Kernel info:
; codeLenInByte = 284
; NumSgprs: 24
; NumVgprs: 12
; NumAgprs: 0
; TotalNumVgprs: 12
; ScratchSize: 0
; MemoryBound: 0
; FloatMode: 240
; IeeeMode: 1
; LDSByteSize: 0 bytes/workgroup (compile time only)
; SGPRBlocks: 2
; VGPRBlocks: 1
; NumSGPRsForWavesPerEU: 24
; NumVGPRsForWavesPerEU: 12
; AccumOffset: 12
; Occupancy: 8
; WaveLimiterHint : 0
; COMPUTE_PGM_RSRC2:SCRATCH_EN: 0
; COMPUTE_PGM_RSRC2:USER_SGPR: 2
; COMPUTE_PGM_RSRC2:TRAP_HANDLER: 0
; COMPUTE_PGM_RSRC2:TGID_X_EN: 1
; COMPUTE_PGM_RSRC2:TGID_Y_EN: 0
; COMPUTE_PGM_RSRC2:TGID_Z_EN: 0
; COMPUTE_PGM_RSRC2:TIDIG_COMP_CNT: 0
; COMPUTE_PGM_RSRC3_GFX90A:ACCUM_OFFSET: 2
; COMPUTE_PGM_RSRC3_GFX90A:TG_SPLIT: 0
	.section	.text._ZN9rocsparseL42csr2bsr_wavefront_per_row_multipass_kernelILj256ELj16ELj4EdllEEv20rocsparse_direction_T4_S2_S2_S2_S2_21rocsparse_index_base_PKT2_PKT3_PKS2_S3_PS4_PS7_PS2_,"axG",@progbits,_ZN9rocsparseL42csr2bsr_wavefront_per_row_multipass_kernelILj256ELj16ELj4EdllEEv20rocsparse_direction_T4_S2_S2_S2_S2_21rocsparse_index_base_PKT2_PKT3_PKS2_S3_PS4_PS7_PS2_,comdat
	.globl	_ZN9rocsparseL42csr2bsr_wavefront_per_row_multipass_kernelILj256ELj16ELj4EdllEEv20rocsparse_direction_T4_S2_S2_S2_S2_21rocsparse_index_base_PKT2_PKT3_PKS2_S3_PS4_PS7_PS2_ ; -- Begin function _ZN9rocsparseL42csr2bsr_wavefront_per_row_multipass_kernelILj256ELj16ELj4EdllEEv20rocsparse_direction_T4_S2_S2_S2_S2_21rocsparse_index_base_PKT2_PKT3_PKS2_S3_PS4_PS7_PS2_
	.p2align	8
	.type	_ZN9rocsparseL42csr2bsr_wavefront_per_row_multipass_kernelILj256ELj16ELj4EdllEEv20rocsparse_direction_T4_S2_S2_S2_S2_21rocsparse_index_base_PKT2_PKT3_PKS2_S3_PS4_PS7_PS2_,@function
_ZN9rocsparseL42csr2bsr_wavefront_per_row_multipass_kernelILj256ELj16ELj4EdllEEv20rocsparse_direction_T4_S2_S2_S2_S2_21rocsparse_index_base_PKT2_PKT3_PKS2_S3_PS4_PS7_PS2_: ; @_ZN9rocsparseL42csr2bsr_wavefront_per_row_multipass_kernelILj256ELj16ELj4EdllEEv20rocsparse_direction_T4_S2_S2_S2_S2_21rocsparse_index_base_PKT2_PKT3_PKS2_S3_PS4_PS7_PS2_
; %bb.0:
	s_load_dwordx2 s[4:5], s[0:1], 0x8
	s_load_dwordx4 s[8:11], s[0:1], 0x18
	s_load_dwordx2 s[6:7], s[0:1], 0x28
	s_load_dword s28, s[0:1], 0x30
	s_load_dwordx2 s[12:13], s[0:1], 0x40
	s_ashr_i32 s3, s2, 31
	v_lshrrev_b32_e32 v30, 4, v0
	s_lshl_b64 s[14:15], s[2:3], 4
	v_bfe_u32 v8, v0, 2, 2
	v_mov_b32_e32 v9, 0
	v_or_b32_e32 v1, s14, v30
	s_waitcnt lgkmcnt(0)
	v_mul_lo_u32 v2, v1, s7
	v_mad_u64_u32 v[4:5], s[16:17], v1, s6, v[8:9]
	s_mul_i32 s3, s15, s6
	v_add3_u32 v5, s3, v5, v2
	v_cmp_gt_i64_e32 vcc, s[4:5], v[4:5]
	v_cmp_gt_i64_e64 s[4:5], s[6:7], v[8:9]
	v_mov_b64_e32 v[2:3], 0
	s_and_b64 s[14:15], s[4:5], vcc
	v_mov_b64_e32 v[16:17], v[2:3]
	s_and_saveexec_b64 s[16:17], s[14:15]
	s_cbranch_execz .LBB136_2
; %bb.1:
	v_lshl_add_u64 v[6:7], v[4:5], 3, s[12:13]
	global_load_dwordx2 v[6:7], v[6:7], off
	s_waitcnt vmcnt(0)
	v_subrev_co_u32_e32 v16, vcc, s28, v6
	s_nop 1
	v_subbrev_co_u32_e32 v17, vcc, 0, v7, vcc
.LBB136_2:
	s_or_b64 exec, exec, s[16:17]
	s_and_saveexec_b64 s[16:17], s[14:15]
	s_cbranch_execz .LBB136_4
; %bb.3:
	v_lshl_add_u64 v[2:3], v[4:5], 3, s[12:13]
	global_load_dwordx2 v[2:3], v[2:3], off offset:8
	s_waitcnt vmcnt(0)
	v_subrev_co_u32_e32 v2, vcc, s28, v2
	s_nop 1
	v_subbrev_co_u32_e32 v3, vcc, 0, v3, vcc
.LBB136_4:
	s_or_b64 exec, exec, s[16:17]
	s_load_dword s12, s[0:1], 0x50
	v_lshl_or_b32 v6, s2, 4, v30
	v_mov_b32_e32 v7, 0
	v_cmp_gt_i64_e32 vcc, s[8:9], v[6:7]
	v_mov_b64_e32 v[4:5], 0
	s_and_saveexec_b64 s[2:3], vcc
	s_cbranch_execz .LBB136_6
; %bb.5:
	s_load_dwordx2 s[8:9], s[0:1], 0x60
	s_waitcnt lgkmcnt(0)
	v_lshl_add_u64 v[4:5], v[6:7], 3, s[8:9]
	global_load_dwordx2 v[4:5], v[4:5], off
	s_waitcnt vmcnt(0)
	v_subrev_co_u32_e32 v4, vcc, s12, v4
	s_nop 1
	v_subbrev_co_u32_e32 v5, vcc, 0, v5, vcc
.LBB136_6:
	s_or_b64 exec, exec, s[2:3]
	v_cmp_lt_i64_e64 s[2:3], s[10:11], 1
	s_and_b64 vcc, exec, s[2:3]
	s_cbranch_vccnz .LBB136_25
; %bb.7:
	v_and_b32_e32 v6, 3, v0
	s_load_dwordx2 s[2:3], s[0:1], 0x68
	s_load_dwordx2 s[16:17], s[0:1], 0x58
	;; [unrolled: 1-line block ×4, first 2 shown]
	s_load_dword s18, s[0:1], 0x0
	v_and_b32_e32 v0, 0xf0, v0
	v_mad_u64_u32 v[10:11], s[0:1], v6, s6, 0
	v_lshl_or_b32 v31, v8, 2, v0
	v_mov_b32_e32 v12, v11
	v_or_b32_e32 v0, v31, v6
	v_mad_u64_u32 v[12:13], s[0:1], v6, s7, v[12:13]
	v_lshlrev_b32_e32 v32, 3, v0
	v_mov_b32_e32 v0, 0
	v_mov_b32_e32 v11, v12
	s_waitcnt lgkmcnt(0)
	v_lshl_add_u64 v[10:11], v[10:11], 3, s[16:17]
	v_lshlrev_b32_e32 v12, 3, v8
	v_mov_b32_e32 v13, v0
	v_lshl_add_u64 v[10:11], v[10:11], 0, v[12:13]
	v_mad_u64_u32 v[12:13], s[0:1], v8, s6, 0
	v_mov_b32_e32 v7, v0
	v_mov_b32_e32 v14, v13
	v_cmp_gt_i64_e32 vcc, s[6:7], v[6:7]
	v_mad_u64_u32 v[8:9], s[0:1], v8, s7, v[14:15]
	v_mbcnt_lo_u32_b32 v1, -1, 0
	s_and_b64 s[4:5], s[4:5], vcc
	v_mov_b32_e32 v13, v8
	v_mbcnt_hi_u32_b32 v1, -1, v1
	s_cmp_eq_u32 s18, 0
	s_mul_i32 s18, s6, s7
	s_mul_hi_u32 s19, s6, s6
	v_lshl_add_u64 v[8:9], v[12:13], 3, s[16:17]
	v_lshlrev_b32_e32 v12, 3, v6
	v_mov_b32_e32 v13, v0
	s_mov_b32 s29, 0
	v_lshlrev_b32_e32 v1, 2, v1
	v_lshl_add_u64 v[8:9], v[8:9], 0, v[12:13]
	s_cselect_b64 vcc, -1, 0
	s_add_i32 s0, s19, s18
	v_or_b32_e32 v33, 12, v1
	s_mov_b32 s13, s29
	s_add_i32 s30, s0, s18
	s_mul_i32 s31, s6, s6
	v_or_b32_e32 v34, 60, v1
	v_cndmask_b32_e32 v9, v11, v9, vcc
	v_cndmask_b32_e32 v8, v10, v8, vcc
	s_mov_b64 s[16:17], 0
	v_mov_b64_e32 v[12:13], 0
	v_mov_b32_e32 v10, 0
	v_mov_b32_e32 v11, v0
	s_ashr_i32 s18, s7, 31
	v_mov_b32_e32 v35, 1
	s_branch .LBB136_10
.LBB136_8:                              ;   in Loop: Header=BB136_10 Depth=1
	s_or_b64 exec, exec, s[20:21]
	v_mov_b64_e32 v[18:19], 1
.LBB136_9:                              ;   in Loop: Header=BB136_10 Depth=1
	s_or_b64 exec, exec, s[0:1]
	v_mov_b32_dpp v12, v14 row_shr:1 row_mask:0xf bank_mask:0xf
	v_mov_b32_dpp v13, v15 row_shr:1 row_mask:0xf bank_mask:0xf
	v_cmp_lt_i64_e32 vcc, v[12:13], v[14:15]
	v_lshl_add_u64 v[4:5], v[18:19], 0, v[4:5]
	s_waitcnt lgkmcnt(0)
	v_cndmask_b32_e32 v13, v15, v13, vcc
	v_cndmask_b32_e32 v12, v14, v12, vcc
	s_nop 0
	v_mov_b32_dpp v15, v13 row_shr:2 row_mask:0xf bank_mask:0xf
	v_mov_b32_dpp v14, v12 row_shr:2 row_mask:0xf bank_mask:0xf
	v_cmp_lt_i64_e32 vcc, v[14:15], v[12:13]
	s_nop 1
	v_cndmask_b32_e32 v13, v13, v15, vcc
	v_cndmask_b32_e32 v12, v12, v14, vcc
	s_nop 0
	v_mov_b32_dpp v15, v13 row_shr:4 row_mask:0xf bank_mask:0xe
	v_mov_b32_dpp v14, v12 row_shr:4 row_mask:0xf bank_mask:0xe
	v_cmp_lt_i64_e32 vcc, v[14:15], v[12:13]
	s_nop 1
	;; [unrolled: 7-line block ×3, first 2 shown]
	v_cndmask_b32_e32 v1, v13, v15, vcc
	v_cndmask_b32_e32 v12, v12, v14, vcc
	ds_bpermute_b32 v12, v34, v12
	ds_bpermute_b32 v13, v34, v1
	s_waitcnt lgkmcnt(0)
	v_cmp_le_i64_e32 vcc, s[10:11], v[12:13]
	s_or_b64 s[16:17], vcc, s[16:17]
	s_andn2_b64 exec, exec, s[16:17]
	s_cbranch_execz .LBB136_25
.LBB136_10:                             ; =>This Loop Header: Depth=1
                                        ;     Child Loop BB136_13 Depth 2
	v_lshl_add_u64 v[16:17], v[16:17], 0, v[6:7]
	v_cmp_lt_i64_e32 vcc, v[16:17], v[2:3]
	v_mov_b64_e32 v[14:15], s[10:11]
	v_mov_b64_e32 v[28:29], v[2:3]
	ds_write_b8 v30, v0 offset:2048
	ds_write_b64 v32, v[10:11]
	s_waitcnt lgkmcnt(0)
	s_and_saveexec_b64 s[20:21], vcc
	s_cbranch_execz .LBB136_22
; %bb.11:                               ;   in Loop: Header=BB136_10 Depth=1
	v_lshlrev_b64 v[14:15], 3, v[16:17]
	v_mad_u64_u32 v[18:19], s[0:1], v12, s6, 0
	v_lshl_add_u64 v[20:21], s[14:15], 0, v[14:15]
	v_lshl_add_u64 v[22:23], s[8:9], 0, v[14:15]
	s_mov_b64 s[22:23], 0
	v_mov_b64_e32 v[14:15], s[10:11]
	v_mov_b64_e32 v[24:25], v[2:3]
	s_branch .LBB136_13
.LBB136_12:                             ;   in Loop: Header=BB136_13 Depth=2
	s_or_b64 exec, exec, s[0:1]
	v_lshl_add_u64 v[16:17], v[16:17], 0, 4
	v_cmp_ge_i64_e64 s[0:1], v[16:17], v[2:3]
	s_xor_b64 s[24:25], vcc, -1
	s_or_b64 s[0:1], s[24:25], s[0:1]
	s_and_b64 s[0:1], exec, s[0:1]
	v_lshl_add_u64 v[20:21], v[20:21], 0, 32
	v_lshl_add_u64 v[22:23], v[22:23], 0, 32
	s_or_b64 s[22:23], s[0:1], s[22:23]
	v_mov_b64_e32 v[24:25], v[28:29]
	s_andn2_b64 exec, exec, s[22:23]
	s_cbranch_execz .LBB136_21
.LBB136_13:                             ;   Parent Loop BB136_10 Depth=1
                                        ; =>  This Inner Loop Header: Depth=2
	global_load_dwordx2 v[26:27], v[22:23], off
	v_mov_b32_e32 v1, s29
                                        ; implicit-def: $vgpr28_vgpr29
	s_waitcnt vmcnt(0)
	v_subrev_co_u32_e32 v26, vcc, s28, v26
	s_nop 1
	v_subb_co_u32_e32 v27, vcc, v27, v1, vcc
	v_or_b32_e32 v1, s7, v27
	v_cmp_ne_u64_e32 vcc, 0, v[0:1]
	s_and_saveexec_b64 s[0:1], vcc
	s_xor_b64 s[24:25], exec, s[0:1]
	s_cbranch_execz .LBB136_15
; %bb.14:                               ;   in Loop: Header=BB136_13 Depth=2
	s_add_u32 s0, s6, s18
	s_mov_b32 s19, s18
	s_addc_u32 s1, s7, s18
	s_xor_b64 s[26:27], s[0:1], s[18:19]
	v_cvt_f32_u32_e32 v1, s26
	v_cvt_f32_u32_e32 v19, s27
	s_sub_u32 s0, 0, s26
	s_subb_u32 s1, 0, s27
	v_mov_b32_e32 v37, v0
	v_fmac_f32_e32 v1, 0x4f800000, v19
	v_rcp_f32_e32 v1, v1
	s_nop 0
	v_mul_f32_e32 v1, 0x5f7ffffc, v1
	v_mul_f32_e32 v19, 0x2f800000, v1
	v_trunc_f32_e32 v19, v19
	v_fmac_f32_e32 v1, 0xcf800000, v19
	v_cvt_u32_f32_e32 v19, v19
	v_cvt_u32_f32_e32 v1, v1
	v_mul_lo_u32 v28, s0, v19
	v_mul_hi_u32 v36, s0, v1
	v_mul_lo_u32 v29, s1, v1
	v_add_u32_e32 v28, v36, v28
	v_mul_lo_u32 v38, s0, v1
	v_add_u32_e32 v39, v28, v29
	v_mul_hi_u32 v29, v1, v39
	v_mul_lo_u32 v28, v1, v39
	v_mul_hi_u32 v36, v1, v38
	v_lshl_add_u64 v[28:29], v[36:37], 0, v[28:29]
	v_mul_hi_u32 v37, v19, v38
	v_mul_lo_u32 v38, v19, v38
	v_add_co_u32_e32 v28, vcc, v28, v38
	v_mul_hi_u32 v36, v19, v39
	s_nop 0
	v_addc_co_u32_e32 v28, vcc, v29, v37, vcc
	v_mov_b32_e32 v29, v0
	s_nop 0
	v_addc_co_u32_e32 v37, vcc, 0, v36, vcc
	v_mul_lo_u32 v36, v19, v39
	v_lshl_add_u64 v[28:29], v[28:29], 0, v[36:37]
	v_add_co_u32_e32 v1, vcc, v1, v28
	v_mul_lo_u32 v36, s0, v1
	s_nop 0
	v_addc_co_u32_e32 v19, vcc, v19, v29, vcc
	v_mul_lo_u32 v28, s0, v19
	v_mul_hi_u32 v29, s0, v1
	v_add_u32_e32 v28, v29, v28
	v_mul_lo_u32 v29, s1, v1
	v_add_u32_e32 v38, v28, v29
	v_mul_hi_u32 v40, v19, v36
	v_mul_lo_u32 v41, v19, v36
	v_mul_hi_u32 v29, v1, v38
	v_mul_lo_u32 v28, v1, v38
	v_mul_hi_u32 v36, v1, v36
	v_mov_b32_e32 v37, v0
	v_lshl_add_u64 v[28:29], v[36:37], 0, v[28:29]
	v_add_co_u32_e32 v28, vcc, v28, v41
	v_mul_hi_u32 v39, v19, v38
	s_nop 0
	v_addc_co_u32_e32 v28, vcc, v29, v40, vcc
	v_mul_lo_u32 v36, v19, v38
	s_nop 0
	v_addc_co_u32_e32 v37, vcc, 0, v39, vcc
	v_mov_b32_e32 v29, v0
	v_lshl_add_u64 v[28:29], v[28:29], 0, v[36:37]
	v_add_co_u32_e32 v1, vcc, v1, v28
	v_ashrrev_i32_e32 v28, 31, v27
	s_nop 0
	v_addc_co_u32_e32 v19, vcc, v19, v29, vcc
	v_mov_b32_e32 v29, v28
	v_lshl_add_u64 v[36:37], v[26:27], 0, v[28:29]
	v_xor_b32_e32 v29, v36, v28
	v_xor_b32_e32 v27, v37, v28
	v_mad_u64_u32 v[36:37], s[0:1], v29, v19, 0
	v_mul_hi_u32 v38, v29, v1
	v_mov_b32_e32 v39, v0
	v_lshl_add_u64 v[36:37], v[38:39], 0, v[36:37]
	v_mad_u64_u32 v[40:41], s[0:1], v27, v1, 0
	v_add_co_u32_e32 v1, vcc, v36, v40
	v_mad_u64_u32 v[38:39], s[0:1], v27, v19, 0
	s_nop 0
	v_addc_co_u32_e32 v36, vcc, v37, v41, vcc
	v_mov_b32_e32 v37, v0
	s_nop 0
	v_addc_co_u32_e32 v39, vcc, 0, v39, vcc
	v_lshl_add_u64 v[36:37], v[36:37], 0, v[38:39]
	v_mul_lo_u32 v1, s27, v36
	v_mul_lo_u32 v19, s26, v37
	v_mad_u64_u32 v[38:39], s[0:1], s26, v36, 0
	v_add3_u32 v1, v39, v19, v1
	v_sub_u32_e32 v19, v27, v1
	v_mov_b32_e32 v39, s27
	v_sub_co_u32_e32 v29, vcc, v29, v38
	v_lshl_add_u64 v[40:41], v[36:37], 0, 1
	s_nop 0
	v_subb_co_u32_e64 v19, s[0:1], v19, v39, vcc
	v_subrev_co_u32_e64 v38, s[0:1], s26, v29
	v_subb_co_u32_e32 v1, vcc, v27, v1, vcc
	s_nop 0
	v_subbrev_co_u32_e64 v19, s[0:1], 0, v19, s[0:1]
	v_cmp_le_u32_e64 s[0:1], s27, v19
	v_cmp_le_u32_e32 vcc, s27, v1
	s_nop 0
	v_cndmask_b32_e64 v39, 0, -1, s[0:1]
	v_cmp_le_u32_e64 s[0:1], s26, v38
	v_cndmask_b32_e64 v27, 0, -1, vcc
	v_cmp_le_u32_e32 vcc, s26, v29
	v_cndmask_b32_e64 v38, 0, -1, s[0:1]
	v_cmp_eq_u32_e64 s[0:1], s27, v19
	v_cndmask_b32_e64 v29, 0, -1, vcc
	v_cmp_eq_u32_e32 vcc, s27, v1
	v_cndmask_b32_e64 v19, v39, v38, s[0:1]
	v_lshl_add_u64 v[38:39], v[36:37], 0, 2
	v_cmp_ne_u32_e64 s[0:1], 0, v19
	v_cndmask_b32_e32 v1, v27, v29, vcc
	v_cmp_ne_u32_e32 vcc, 0, v1
	v_cndmask_b32_e64 v19, v41, v39, s[0:1]
	v_xor_b32_e32 v27, s18, v28
	v_cndmask_b32_e32 v1, v37, v19, vcc
	v_cndmask_b32_e64 v19, v40, v38, s[0:1]
	v_cndmask_b32_e32 v19, v36, v19, vcc
	v_xor_b32_e32 v19, v19, v27
	v_xor_b32_e32 v1, v1, v27
	v_sub_co_u32_e32 v28, vcc, v19, v27
	s_nop 1
	v_subb_co_u32_e32 v29, vcc, v1, v27, vcc
.LBB136_15:                             ;   in Loop: Header=BB136_13 Depth=2
	s_andn2_saveexec_b64 s[0:1], s[24:25]
	s_cbranch_execz .LBB136_17
; %bb.16:                               ;   in Loop: Header=BB136_13 Depth=2
	v_cvt_f32_u32_e32 v1, s6
	s_sub_i32 s19, 0, s6
	v_mov_b32_e32 v29, v0
	v_rcp_iflag_f32_e32 v1, v1
	s_nop 0
	v_mul_f32_e32 v1, 0x4f7ffffe, v1
	v_cvt_u32_f32_e32 v1, v1
	v_mul_lo_u32 v19, s19, v1
	v_mul_hi_u32 v19, v1, v19
	v_add_u32_e32 v1, v1, v19
	v_mul_hi_u32 v1, v26, v1
	v_mul_lo_u32 v19, v1, s6
	v_sub_u32_e32 v19, v26, v19
	v_add_u32_e32 v27, 1, v1
	v_subrev_u32_e32 v28, s6, v19
	v_cmp_le_u32_e32 vcc, s6, v19
	s_nop 1
	v_cndmask_b32_e32 v19, v19, v28, vcc
	v_cndmask_b32_e32 v1, v1, v27, vcc
	v_add_u32_e32 v27, 1, v1
	v_cmp_le_u32_e32 vcc, s6, v19
	s_nop 1
	v_cndmask_b32_e32 v28, v1, v27, vcc
.LBB136_17:                             ;   in Loop: Header=BB136_13 Depth=2
	s_or_b64 exec, exec, s[0:1]
	v_cmp_eq_u64_e32 vcc, v[28:29], v[12:13]
	v_cmp_ne_u64_e64 s[0:1], v[28:29], v[12:13]
	s_and_saveexec_b64 s[24:25], s[0:1]
	s_xor_b64 s[24:25], exec, s[24:25]
; %bb.18:                               ;   in Loop: Header=BB136_13 Depth=2
	v_cmp_lt_i64_e64 s[0:1], v[28:29], v[14:15]
                                        ; implicit-def: $vgpr26_vgpr27
                                        ; implicit-def: $vgpr24_vgpr25
	s_nop 1
	v_cndmask_b32_e64 v15, v15, v29, s[0:1]
	v_cndmask_b32_e64 v14, v14, v28, s[0:1]
; %bb.19:                               ;   in Loop: Header=BB136_13 Depth=2
	s_or_saveexec_b64 s[0:1], s[24:25]
	v_mov_b64_e32 v[28:29], v[16:17]
	s_xor_b64 exec, exec, s[0:1]
	s_cbranch_execz .LBB136_12
; %bb.20:                               ;   in Loop: Header=BB136_13 Depth=2
	global_load_dwordx2 v[28:29], v[20:21], off
	v_sub_u32_e32 v1, v26, v18
	v_add_lshl_u32 v1, v31, v1, 3
	ds_write_b8 v30, v35 offset:2048
	s_waitcnt vmcnt(0)
	ds_write_b64 v1, v[28:29]
	v_mov_b64_e32 v[28:29], v[24:25]
	s_branch .LBB136_12
.LBB136_21:                             ;   in Loop: Header=BB136_10 Depth=1
	s_or_b64 exec, exec, s[22:23]
.LBB136_22:                             ;   in Loop: Header=BB136_10 Depth=1
	s_or_b64 exec, exec, s[20:21]
	v_mov_b32_dpp v16, v28 row_shr:1 row_mask:0xf bank_mask:0xf
	v_mov_b32_dpp v17, v29 row_shr:1 row_mask:0xf bank_mask:0xf
	v_cmp_lt_i64_e32 vcc, v[16:17], v[28:29]
	s_waitcnt lgkmcnt(0)
	s_nop 0
	v_cndmask_b32_e32 v17, v29, v17, vcc
	v_cndmask_b32_e32 v16, v28, v16, vcc
	s_nop 0
	v_mov_b32_dpp v19, v17 row_shr:2 row_mask:0xf bank_mask:0xf
	v_mov_b32_dpp v18, v16 row_shr:2 row_mask:0xf bank_mask:0xf
	v_cmp_lt_i64_e32 vcc, v[18:19], v[16:17]
	s_nop 1
	v_cndmask_b32_e32 v1, v17, v19, vcc
	ds_read_u8 v19, v30 offset:2048
	v_cndmask_b32_e32 v16, v16, v18, vcc
	ds_bpermute_b32 v16, v33, v16
	ds_bpermute_b32 v17, v33, v1
	s_waitcnt lgkmcnt(2)
	v_and_b32_e32 v1, 1, v19
	v_cmp_eq_u32_e32 vcc, 1, v1
	v_mov_b64_e32 v[18:19], 0
	s_and_saveexec_b64 s[0:1], vcc
	s_cbranch_execz .LBB136_9
; %bb.23:                               ;   in Loop: Header=BB136_10 Depth=1
	v_lshl_add_u64 v[12:13], v[12:13], 0, s[12:13]
	v_lshl_add_u64 v[18:19], v[4:5], 3, s[2:3]
	global_store_dwordx2 v[18:19], v[12:13], off
	s_and_saveexec_b64 s[20:21], s[4:5]
	s_cbranch_execz .LBB136_8
; %bb.24:                               ;   in Loop: Header=BB136_10 Depth=1
	ds_read_b64 v[12:13], v32
	v_mul_lo_u32 v1, s30, v4
	v_mul_lo_u32 v20, s31, v5
	v_mad_u64_u32 v[18:19], s[22:23], s31, v4, 0
	v_add3_u32 v19, v19, v20, v1
	v_lshl_add_u64 v[18:19], v[18:19], 3, v[8:9]
	s_waitcnt lgkmcnt(0)
	global_store_dwordx2 v[18:19], v[12:13], off
	s_branch .LBB136_8
.LBB136_25:
	s_endpgm
	.section	.rodata,"a",@progbits
	.p2align	6, 0x0
	.amdhsa_kernel _ZN9rocsparseL42csr2bsr_wavefront_per_row_multipass_kernelILj256ELj16ELj4EdllEEv20rocsparse_direction_T4_S2_S2_S2_S2_21rocsparse_index_base_PKT2_PKT3_PKS2_S3_PS4_PS7_PS2_
		.amdhsa_group_segment_fixed_size 2064
		.amdhsa_private_segment_fixed_size 0
		.amdhsa_kernarg_size 112
		.amdhsa_user_sgpr_count 2
		.amdhsa_user_sgpr_dispatch_ptr 0
		.amdhsa_user_sgpr_queue_ptr 0
		.amdhsa_user_sgpr_kernarg_segment_ptr 1
		.amdhsa_user_sgpr_dispatch_id 0
		.amdhsa_user_sgpr_kernarg_preload_length 0
		.amdhsa_user_sgpr_kernarg_preload_offset 0
		.amdhsa_user_sgpr_private_segment_size 0
		.amdhsa_uses_dynamic_stack 0
		.amdhsa_enable_private_segment 0
		.amdhsa_system_sgpr_workgroup_id_x 1
		.amdhsa_system_sgpr_workgroup_id_y 0
		.amdhsa_system_sgpr_workgroup_id_z 0
		.amdhsa_system_sgpr_workgroup_info 0
		.amdhsa_system_vgpr_workitem_id 0
		.amdhsa_next_free_vgpr 42
		.amdhsa_next_free_sgpr 32
		.amdhsa_accum_offset 44
		.amdhsa_reserve_vcc 1
		.amdhsa_float_round_mode_32 0
		.amdhsa_float_round_mode_16_64 0
		.amdhsa_float_denorm_mode_32 3
		.amdhsa_float_denorm_mode_16_64 3
		.amdhsa_dx10_clamp 1
		.amdhsa_ieee_mode 1
		.amdhsa_fp16_overflow 0
		.amdhsa_tg_split 0
		.amdhsa_exception_fp_ieee_invalid_op 0
		.amdhsa_exception_fp_denorm_src 0
		.amdhsa_exception_fp_ieee_div_zero 0
		.amdhsa_exception_fp_ieee_overflow 0
		.amdhsa_exception_fp_ieee_underflow 0
		.amdhsa_exception_fp_ieee_inexact 0
		.amdhsa_exception_int_div_zero 0
	.end_amdhsa_kernel
	.section	.text._ZN9rocsparseL42csr2bsr_wavefront_per_row_multipass_kernelILj256ELj16ELj4EdllEEv20rocsparse_direction_T4_S2_S2_S2_S2_21rocsparse_index_base_PKT2_PKT3_PKS2_S3_PS4_PS7_PS2_,"axG",@progbits,_ZN9rocsparseL42csr2bsr_wavefront_per_row_multipass_kernelILj256ELj16ELj4EdllEEv20rocsparse_direction_T4_S2_S2_S2_S2_21rocsparse_index_base_PKT2_PKT3_PKS2_S3_PS4_PS7_PS2_,comdat
.Lfunc_end136:
	.size	_ZN9rocsparseL42csr2bsr_wavefront_per_row_multipass_kernelILj256ELj16ELj4EdllEEv20rocsparse_direction_T4_S2_S2_S2_S2_21rocsparse_index_base_PKT2_PKT3_PKS2_S3_PS4_PS7_PS2_, .Lfunc_end136-_ZN9rocsparseL42csr2bsr_wavefront_per_row_multipass_kernelILj256ELj16ELj4EdllEEv20rocsparse_direction_T4_S2_S2_S2_S2_21rocsparse_index_base_PKT2_PKT3_PKS2_S3_PS4_PS7_PS2_
                                        ; -- End function
	.section	.AMDGPU.csdata,"",@progbits
; Kernel info:
; codeLenInByte = 2192
; NumSgprs: 38
; NumVgprs: 42
; NumAgprs: 0
; TotalNumVgprs: 42
; ScratchSize: 0
; MemoryBound: 0
; FloatMode: 240
; IeeeMode: 1
; LDSByteSize: 2064 bytes/workgroup (compile time only)
; SGPRBlocks: 4
; VGPRBlocks: 5
; NumSGPRsForWavesPerEU: 38
; NumVGPRsForWavesPerEU: 42
; AccumOffset: 44
; Occupancy: 8
; WaveLimiterHint : 0
; COMPUTE_PGM_RSRC2:SCRATCH_EN: 0
; COMPUTE_PGM_RSRC2:USER_SGPR: 2
; COMPUTE_PGM_RSRC2:TRAP_HANDLER: 0
; COMPUTE_PGM_RSRC2:TGID_X_EN: 1
; COMPUTE_PGM_RSRC2:TGID_Y_EN: 0
; COMPUTE_PGM_RSRC2:TGID_Z_EN: 0
; COMPUTE_PGM_RSRC2:TIDIG_COMP_CNT: 0
; COMPUTE_PGM_RSRC3_GFX90A:ACCUM_OFFSET: 10
; COMPUTE_PGM_RSRC3_GFX90A:TG_SPLIT: 0
	.section	.text._ZN9rocsparseL42csr2bsr_wavefront_per_row_multipass_kernelILj256ELj64ELj8EdllEEv20rocsparse_direction_T4_S2_S2_S2_S2_21rocsparse_index_base_PKT2_PKT3_PKS2_S3_PS4_PS7_PS2_,"axG",@progbits,_ZN9rocsparseL42csr2bsr_wavefront_per_row_multipass_kernelILj256ELj64ELj8EdllEEv20rocsparse_direction_T4_S2_S2_S2_S2_21rocsparse_index_base_PKT2_PKT3_PKS2_S3_PS4_PS7_PS2_,comdat
	.globl	_ZN9rocsparseL42csr2bsr_wavefront_per_row_multipass_kernelILj256ELj64ELj8EdllEEv20rocsparse_direction_T4_S2_S2_S2_S2_21rocsparse_index_base_PKT2_PKT3_PKS2_S3_PS4_PS7_PS2_ ; -- Begin function _ZN9rocsparseL42csr2bsr_wavefront_per_row_multipass_kernelILj256ELj64ELj8EdllEEv20rocsparse_direction_T4_S2_S2_S2_S2_21rocsparse_index_base_PKT2_PKT3_PKS2_S3_PS4_PS7_PS2_
	.p2align	8
	.type	_ZN9rocsparseL42csr2bsr_wavefront_per_row_multipass_kernelILj256ELj64ELj8EdllEEv20rocsparse_direction_T4_S2_S2_S2_S2_21rocsparse_index_base_PKT2_PKT3_PKS2_S3_PS4_PS7_PS2_,@function
_ZN9rocsparseL42csr2bsr_wavefront_per_row_multipass_kernelILj256ELj64ELj8EdllEEv20rocsparse_direction_T4_S2_S2_S2_S2_21rocsparse_index_base_PKT2_PKT3_PKS2_S3_PS4_PS7_PS2_: ; @_ZN9rocsparseL42csr2bsr_wavefront_per_row_multipass_kernelILj256ELj64ELj8EdllEEv20rocsparse_direction_T4_S2_S2_S2_S2_21rocsparse_index_base_PKT2_PKT3_PKS2_S3_PS4_PS7_PS2_
; %bb.0:
	s_load_dwordx2 s[4:5], s[0:1], 0x8
	s_load_dwordx4 s[8:11], s[0:1], 0x18
	s_load_dwordx2 s[6:7], s[0:1], 0x28
	s_load_dword s28, s[0:1], 0x30
	s_load_dwordx2 s[12:13], s[0:1], 0x40
	s_ashr_i32 s3, s2, 31
	v_lshrrev_b32_e32 v30, 6, v0
	s_lshl_b64 s[14:15], s[2:3], 2
	v_bfe_u32 v8, v0, 3, 3
	v_mov_b32_e32 v9, 0
	v_or_b32_e32 v1, s14, v30
	s_waitcnt lgkmcnt(0)
	v_mul_lo_u32 v2, v1, s7
	v_mad_u64_u32 v[4:5], s[16:17], v1, s6, v[8:9]
	s_mul_i32 s3, s15, s6
	v_add3_u32 v5, s3, v5, v2
	v_cmp_gt_i64_e32 vcc, s[4:5], v[4:5]
	v_cmp_gt_i64_e64 s[4:5], s[6:7], v[8:9]
	v_mov_b64_e32 v[2:3], 0
	s_and_b64 s[14:15], s[4:5], vcc
	v_mov_b64_e32 v[16:17], v[2:3]
	s_and_saveexec_b64 s[16:17], s[14:15]
	s_cbranch_execz .LBB137_2
; %bb.1:
	v_lshl_add_u64 v[6:7], v[4:5], 3, s[12:13]
	global_load_dwordx2 v[6:7], v[6:7], off
	s_waitcnt vmcnt(0)
	v_subrev_co_u32_e32 v16, vcc, s28, v6
	s_nop 1
	v_subbrev_co_u32_e32 v17, vcc, 0, v7, vcc
.LBB137_2:
	s_or_b64 exec, exec, s[16:17]
	s_and_saveexec_b64 s[16:17], s[14:15]
	s_cbranch_execz .LBB137_4
; %bb.3:
	v_lshl_add_u64 v[2:3], v[4:5], 3, s[12:13]
	global_load_dwordx2 v[2:3], v[2:3], off offset:8
	s_waitcnt vmcnt(0)
	v_subrev_co_u32_e32 v2, vcc, s28, v2
	s_nop 1
	v_subbrev_co_u32_e32 v3, vcc, 0, v3, vcc
.LBB137_4:
	s_or_b64 exec, exec, s[16:17]
	s_load_dword s12, s[0:1], 0x50
	v_lshl_or_b32 v6, s2, 2, v30
	v_mov_b32_e32 v7, 0
	v_cmp_gt_i64_e32 vcc, s[8:9], v[6:7]
	v_mov_b64_e32 v[4:5], 0
	s_and_saveexec_b64 s[2:3], vcc
	s_cbranch_execz .LBB137_6
; %bb.5:
	s_load_dwordx2 s[8:9], s[0:1], 0x60
	s_waitcnt lgkmcnt(0)
	v_lshl_add_u64 v[4:5], v[6:7], 3, s[8:9]
	global_load_dwordx2 v[4:5], v[4:5], off
	s_waitcnt vmcnt(0)
	v_subrev_co_u32_e32 v4, vcc, s12, v4
	s_nop 1
	v_subbrev_co_u32_e32 v5, vcc, 0, v5, vcc
.LBB137_6:
	s_or_b64 exec, exec, s[2:3]
	v_cmp_lt_i64_e64 s[2:3], s[10:11], 1
	s_and_b64 vcc, exec, s[2:3]
	s_cbranch_vccnz .LBB137_25
; %bb.7:
	s_load_dwordx2 s[2:3], s[0:1], 0x68
	s_load_dwordx2 s[16:17], s[0:1], 0x58
	;; [unrolled: 1-line block ×4, first 2 shown]
	s_load_dword s18, s[0:1], 0x0
	v_and_b32_e32 v6, 7, v0
	v_lshlrev_b32_e32 v10, 3, v8
	s_movk_i32 s0, 0xc0
	v_and_or_b32 v31, v0, s0, v10
	v_mad_u64_u32 v[12:13], s[0:1], v6, s6, 0
	v_mov_b32_e32 v14, v13
	v_or_b32_e32 v0, v31, v6
	v_mad_u64_u32 v[14:15], s[0:1], v6, s7, v[14:15]
	v_lshlrev_b32_e32 v32, 3, v0
	v_mov_b32_e32 v0, 0
	v_mov_b32_e32 v13, v14
	s_waitcnt lgkmcnt(0)
	v_lshl_add_u64 v[12:13], v[12:13], 3, s[16:17]
	v_mov_b32_e32 v11, v0
	v_lshl_add_u64 v[10:11], v[12:13], 0, v[10:11]
	v_mad_u64_u32 v[12:13], s[0:1], v8, s6, 0
	v_mov_b32_e32 v7, v0
	v_mov_b32_e32 v14, v13
	v_cmp_gt_i64_e32 vcc, s[6:7], v[6:7]
	v_mad_u64_u32 v[8:9], s[0:1], v8, s7, v[14:15]
	v_mbcnt_lo_u32_b32 v1, -1, 0
	s_and_b64 s[4:5], s[4:5], vcc
	v_mov_b32_e32 v13, v8
	v_mbcnt_hi_u32_b32 v1, -1, v1
	s_cmp_eq_u32 s18, 0
	s_mul_i32 s18, s6, s7
	s_mul_hi_u32 s19, s6, s6
	v_lshl_add_u64 v[8:9], v[12:13], 3, s[16:17]
	v_lshlrev_b32_e32 v12, 3, v6
	v_mov_b32_e32 v13, v0
	s_mov_b32 s29, 0
	v_lshlrev_b32_e32 v1, 2, v1
	v_lshl_add_u64 v[8:9], v[8:9], 0, v[12:13]
	s_cselect_b64 vcc, -1, 0
	s_add_i32 s0, s19, s18
	v_or_b32_e32 v33, 28, v1
	s_mov_b32 s13, s29
	s_add_i32 s30, s0, s18
	s_mul_i32 s31, s6, s6
	v_or_b32_e32 v34, 0xfc, v1
	v_cndmask_b32_e32 v9, v11, v9, vcc
	v_cndmask_b32_e32 v8, v10, v8, vcc
	s_mov_b64 s[16:17], 0
	v_mov_b64_e32 v[12:13], 0
	v_mov_b32_e32 v10, 0
	v_mov_b32_e32 v11, v0
	s_ashr_i32 s18, s7, 31
	v_mov_b32_e32 v35, 1
	s_branch .LBB137_10
.LBB137_8:                              ;   in Loop: Header=BB137_10 Depth=1
	s_or_b64 exec, exec, s[20:21]
	v_mov_b64_e32 v[18:19], 1
.LBB137_9:                              ;   in Loop: Header=BB137_10 Depth=1
	s_or_b64 exec, exec, s[0:1]
	v_mov_b32_dpp v12, v14 row_shr:1 row_mask:0xf bank_mask:0xf
	v_mov_b32_dpp v13, v15 row_shr:1 row_mask:0xf bank_mask:0xf
	v_cmp_lt_i64_e32 vcc, v[12:13], v[14:15]
	v_lshl_add_u64 v[4:5], v[18:19], 0, v[4:5]
	s_waitcnt lgkmcnt(0)
	v_cndmask_b32_e32 v13, v15, v13, vcc
	v_cndmask_b32_e32 v12, v14, v12, vcc
	s_nop 0
	v_mov_b32_dpp v15, v13 row_shr:2 row_mask:0xf bank_mask:0xf
	v_mov_b32_dpp v14, v12 row_shr:2 row_mask:0xf bank_mask:0xf
	v_cmp_lt_i64_e32 vcc, v[14:15], v[12:13]
	s_nop 1
	v_cndmask_b32_e32 v13, v13, v15, vcc
	v_cndmask_b32_e32 v12, v12, v14, vcc
	s_nop 0
	v_mov_b32_dpp v15, v13 row_shr:4 row_mask:0xf bank_mask:0xe
	v_mov_b32_dpp v14, v12 row_shr:4 row_mask:0xf bank_mask:0xe
	v_cmp_lt_i64_e32 vcc, v[14:15], v[12:13]
	s_nop 1
	;; [unrolled: 7-line block ×3, first 2 shown]
	v_cndmask_b32_e32 v13, v13, v15, vcc
	v_cndmask_b32_e32 v12, v12, v14, vcc
	s_nop 0
	v_mov_b32_dpp v15, v13 row_bcast:15 row_mask:0xa bank_mask:0xf
	v_mov_b32_dpp v14, v12 row_bcast:15 row_mask:0xa bank_mask:0xf
	v_cmp_lt_i64_e32 vcc, v[14:15], v[12:13]
	s_nop 1
	v_cndmask_b32_e32 v13, v13, v15, vcc
	v_cndmask_b32_e32 v12, v12, v14, vcc
	s_nop 0
	v_mov_b32_dpp v15, v13 row_bcast:31 row_mask:0xc bank_mask:0xf
	v_mov_b32_dpp v14, v12 row_bcast:31 row_mask:0xc bank_mask:0xf
	v_cmp_lt_i64_e32 vcc, v[14:15], v[12:13]
	s_nop 1
	v_cndmask_b32_e32 v1, v13, v15, vcc
	v_cndmask_b32_e32 v12, v12, v14, vcc
	ds_bpermute_b32 v12, v34, v12
	ds_bpermute_b32 v13, v34, v1
	s_waitcnt lgkmcnt(0)
	v_cmp_le_i64_e32 vcc, s[10:11], v[12:13]
	s_or_b64 s[16:17], vcc, s[16:17]
	s_andn2_b64 exec, exec, s[16:17]
	s_cbranch_execz .LBB137_25
.LBB137_10:                             ; =>This Loop Header: Depth=1
                                        ;     Child Loop BB137_13 Depth 2
	v_lshl_add_u64 v[16:17], v[16:17], 0, v[6:7]
	v_cmp_lt_i64_e32 vcc, v[16:17], v[2:3]
	v_mov_b64_e32 v[14:15], s[10:11]
	v_mov_b64_e32 v[28:29], v[2:3]
	ds_write_b8 v30, v0 offset:2048
	ds_write_b64 v32, v[10:11]
	s_waitcnt lgkmcnt(0)
	s_and_saveexec_b64 s[20:21], vcc
	s_cbranch_execz .LBB137_22
; %bb.11:                               ;   in Loop: Header=BB137_10 Depth=1
	v_lshlrev_b64 v[14:15], 3, v[16:17]
	v_mad_u64_u32 v[18:19], s[0:1], v12, s6, 0
	v_lshl_add_u64 v[20:21], s[14:15], 0, v[14:15]
	v_lshl_add_u64 v[22:23], s[8:9], 0, v[14:15]
	s_mov_b64 s[22:23], 0
	v_mov_b64_e32 v[14:15], s[10:11]
	v_mov_b64_e32 v[24:25], v[2:3]
	s_branch .LBB137_13
.LBB137_12:                             ;   in Loop: Header=BB137_13 Depth=2
	s_or_b64 exec, exec, s[0:1]
	v_lshl_add_u64 v[16:17], v[16:17], 0, 8
	v_cmp_ge_i64_e64 s[0:1], v[16:17], v[2:3]
	s_xor_b64 s[24:25], vcc, -1
	s_or_b64 s[0:1], s[24:25], s[0:1]
	s_and_b64 s[0:1], exec, s[0:1]
	v_lshl_add_u64 v[20:21], v[20:21], 0, 64
	v_lshl_add_u64 v[22:23], v[22:23], 0, 64
	s_or_b64 s[22:23], s[0:1], s[22:23]
	v_mov_b64_e32 v[24:25], v[28:29]
	s_andn2_b64 exec, exec, s[22:23]
	s_cbranch_execz .LBB137_21
.LBB137_13:                             ;   Parent Loop BB137_10 Depth=1
                                        ; =>  This Inner Loop Header: Depth=2
	global_load_dwordx2 v[26:27], v[22:23], off
	v_mov_b32_e32 v1, s29
                                        ; implicit-def: $vgpr28_vgpr29
	s_waitcnt vmcnt(0)
	v_subrev_co_u32_e32 v26, vcc, s28, v26
	s_nop 1
	v_subb_co_u32_e32 v27, vcc, v27, v1, vcc
	v_or_b32_e32 v1, s7, v27
	v_cmp_ne_u64_e32 vcc, 0, v[0:1]
	s_and_saveexec_b64 s[0:1], vcc
	s_xor_b64 s[24:25], exec, s[0:1]
	s_cbranch_execz .LBB137_15
; %bb.14:                               ;   in Loop: Header=BB137_13 Depth=2
	s_add_u32 s0, s6, s18
	s_mov_b32 s19, s18
	s_addc_u32 s1, s7, s18
	s_xor_b64 s[26:27], s[0:1], s[18:19]
	v_cvt_f32_u32_e32 v1, s26
	v_cvt_f32_u32_e32 v19, s27
	s_sub_u32 s0, 0, s26
	s_subb_u32 s1, 0, s27
	v_mov_b32_e32 v37, v0
	v_fmac_f32_e32 v1, 0x4f800000, v19
	v_rcp_f32_e32 v1, v1
	s_nop 0
	v_mul_f32_e32 v1, 0x5f7ffffc, v1
	v_mul_f32_e32 v19, 0x2f800000, v1
	v_trunc_f32_e32 v19, v19
	v_fmac_f32_e32 v1, 0xcf800000, v19
	v_cvt_u32_f32_e32 v19, v19
	v_cvt_u32_f32_e32 v1, v1
	v_mul_lo_u32 v28, s0, v19
	v_mul_hi_u32 v36, s0, v1
	v_mul_lo_u32 v29, s1, v1
	v_add_u32_e32 v28, v36, v28
	v_mul_lo_u32 v38, s0, v1
	v_add_u32_e32 v39, v28, v29
	v_mul_hi_u32 v29, v1, v39
	v_mul_lo_u32 v28, v1, v39
	v_mul_hi_u32 v36, v1, v38
	v_lshl_add_u64 v[28:29], v[36:37], 0, v[28:29]
	v_mul_hi_u32 v37, v19, v38
	v_mul_lo_u32 v38, v19, v38
	v_add_co_u32_e32 v28, vcc, v28, v38
	v_mul_hi_u32 v36, v19, v39
	s_nop 0
	v_addc_co_u32_e32 v28, vcc, v29, v37, vcc
	v_mov_b32_e32 v29, v0
	s_nop 0
	v_addc_co_u32_e32 v37, vcc, 0, v36, vcc
	v_mul_lo_u32 v36, v19, v39
	v_lshl_add_u64 v[28:29], v[28:29], 0, v[36:37]
	v_add_co_u32_e32 v1, vcc, v1, v28
	v_mul_lo_u32 v36, s0, v1
	s_nop 0
	v_addc_co_u32_e32 v19, vcc, v19, v29, vcc
	v_mul_lo_u32 v28, s0, v19
	v_mul_hi_u32 v29, s0, v1
	v_add_u32_e32 v28, v29, v28
	v_mul_lo_u32 v29, s1, v1
	v_add_u32_e32 v38, v28, v29
	v_mul_hi_u32 v40, v19, v36
	v_mul_lo_u32 v41, v19, v36
	v_mul_hi_u32 v29, v1, v38
	v_mul_lo_u32 v28, v1, v38
	v_mul_hi_u32 v36, v1, v36
	v_mov_b32_e32 v37, v0
	v_lshl_add_u64 v[28:29], v[36:37], 0, v[28:29]
	v_add_co_u32_e32 v28, vcc, v28, v41
	v_mul_hi_u32 v39, v19, v38
	s_nop 0
	v_addc_co_u32_e32 v28, vcc, v29, v40, vcc
	v_mul_lo_u32 v36, v19, v38
	s_nop 0
	v_addc_co_u32_e32 v37, vcc, 0, v39, vcc
	v_mov_b32_e32 v29, v0
	v_lshl_add_u64 v[28:29], v[28:29], 0, v[36:37]
	v_add_co_u32_e32 v1, vcc, v1, v28
	v_ashrrev_i32_e32 v28, 31, v27
	s_nop 0
	v_addc_co_u32_e32 v19, vcc, v19, v29, vcc
	v_mov_b32_e32 v29, v28
	v_lshl_add_u64 v[36:37], v[26:27], 0, v[28:29]
	v_xor_b32_e32 v29, v36, v28
	v_xor_b32_e32 v27, v37, v28
	v_mad_u64_u32 v[36:37], s[0:1], v29, v19, 0
	v_mul_hi_u32 v38, v29, v1
	v_mov_b32_e32 v39, v0
	v_lshl_add_u64 v[36:37], v[38:39], 0, v[36:37]
	v_mad_u64_u32 v[40:41], s[0:1], v27, v1, 0
	v_add_co_u32_e32 v1, vcc, v36, v40
	v_mad_u64_u32 v[38:39], s[0:1], v27, v19, 0
	s_nop 0
	v_addc_co_u32_e32 v36, vcc, v37, v41, vcc
	v_mov_b32_e32 v37, v0
	s_nop 0
	v_addc_co_u32_e32 v39, vcc, 0, v39, vcc
	v_lshl_add_u64 v[36:37], v[36:37], 0, v[38:39]
	v_mul_lo_u32 v1, s27, v36
	v_mul_lo_u32 v19, s26, v37
	v_mad_u64_u32 v[38:39], s[0:1], s26, v36, 0
	v_add3_u32 v1, v39, v19, v1
	v_sub_u32_e32 v19, v27, v1
	v_mov_b32_e32 v39, s27
	v_sub_co_u32_e32 v29, vcc, v29, v38
	v_lshl_add_u64 v[40:41], v[36:37], 0, 1
	s_nop 0
	v_subb_co_u32_e64 v19, s[0:1], v19, v39, vcc
	v_subrev_co_u32_e64 v38, s[0:1], s26, v29
	v_subb_co_u32_e32 v1, vcc, v27, v1, vcc
	s_nop 0
	v_subbrev_co_u32_e64 v19, s[0:1], 0, v19, s[0:1]
	v_cmp_le_u32_e64 s[0:1], s27, v19
	v_cmp_le_u32_e32 vcc, s27, v1
	s_nop 0
	v_cndmask_b32_e64 v39, 0, -1, s[0:1]
	v_cmp_le_u32_e64 s[0:1], s26, v38
	v_cndmask_b32_e64 v27, 0, -1, vcc
	v_cmp_le_u32_e32 vcc, s26, v29
	v_cndmask_b32_e64 v38, 0, -1, s[0:1]
	v_cmp_eq_u32_e64 s[0:1], s27, v19
	v_cndmask_b32_e64 v29, 0, -1, vcc
	v_cmp_eq_u32_e32 vcc, s27, v1
	v_cndmask_b32_e64 v19, v39, v38, s[0:1]
	v_lshl_add_u64 v[38:39], v[36:37], 0, 2
	v_cmp_ne_u32_e64 s[0:1], 0, v19
	v_cndmask_b32_e32 v1, v27, v29, vcc
	v_cmp_ne_u32_e32 vcc, 0, v1
	v_cndmask_b32_e64 v19, v41, v39, s[0:1]
	v_xor_b32_e32 v27, s18, v28
	v_cndmask_b32_e32 v1, v37, v19, vcc
	v_cndmask_b32_e64 v19, v40, v38, s[0:1]
	v_cndmask_b32_e32 v19, v36, v19, vcc
	v_xor_b32_e32 v19, v19, v27
	v_xor_b32_e32 v1, v1, v27
	v_sub_co_u32_e32 v28, vcc, v19, v27
	s_nop 1
	v_subb_co_u32_e32 v29, vcc, v1, v27, vcc
.LBB137_15:                             ;   in Loop: Header=BB137_13 Depth=2
	s_andn2_saveexec_b64 s[0:1], s[24:25]
	s_cbranch_execz .LBB137_17
; %bb.16:                               ;   in Loop: Header=BB137_13 Depth=2
	v_cvt_f32_u32_e32 v1, s6
	s_sub_i32 s19, 0, s6
	v_mov_b32_e32 v29, v0
	v_rcp_iflag_f32_e32 v1, v1
	s_nop 0
	v_mul_f32_e32 v1, 0x4f7ffffe, v1
	v_cvt_u32_f32_e32 v1, v1
	v_mul_lo_u32 v19, s19, v1
	v_mul_hi_u32 v19, v1, v19
	v_add_u32_e32 v1, v1, v19
	v_mul_hi_u32 v1, v26, v1
	v_mul_lo_u32 v19, v1, s6
	v_sub_u32_e32 v19, v26, v19
	v_add_u32_e32 v27, 1, v1
	v_subrev_u32_e32 v28, s6, v19
	v_cmp_le_u32_e32 vcc, s6, v19
	s_nop 1
	v_cndmask_b32_e32 v19, v19, v28, vcc
	v_cndmask_b32_e32 v1, v1, v27, vcc
	v_add_u32_e32 v27, 1, v1
	v_cmp_le_u32_e32 vcc, s6, v19
	s_nop 1
	v_cndmask_b32_e32 v28, v1, v27, vcc
.LBB137_17:                             ;   in Loop: Header=BB137_13 Depth=2
	s_or_b64 exec, exec, s[0:1]
	v_cmp_eq_u64_e32 vcc, v[28:29], v[12:13]
	v_cmp_ne_u64_e64 s[0:1], v[28:29], v[12:13]
	s_and_saveexec_b64 s[24:25], s[0:1]
	s_xor_b64 s[24:25], exec, s[24:25]
; %bb.18:                               ;   in Loop: Header=BB137_13 Depth=2
	v_cmp_lt_i64_e64 s[0:1], v[28:29], v[14:15]
                                        ; implicit-def: $vgpr26_vgpr27
                                        ; implicit-def: $vgpr24_vgpr25
	s_nop 1
	v_cndmask_b32_e64 v15, v15, v29, s[0:1]
	v_cndmask_b32_e64 v14, v14, v28, s[0:1]
; %bb.19:                               ;   in Loop: Header=BB137_13 Depth=2
	s_or_saveexec_b64 s[0:1], s[24:25]
	v_mov_b64_e32 v[28:29], v[16:17]
	s_xor_b64 exec, exec, s[0:1]
	s_cbranch_execz .LBB137_12
; %bb.20:                               ;   in Loop: Header=BB137_13 Depth=2
	global_load_dwordx2 v[28:29], v[20:21], off
	v_sub_u32_e32 v1, v26, v18
	v_add_lshl_u32 v1, v31, v1, 3
	ds_write_b8 v30, v35 offset:2048
	s_waitcnt vmcnt(0)
	ds_write_b64 v1, v[28:29]
	v_mov_b64_e32 v[28:29], v[24:25]
	s_branch .LBB137_12
.LBB137_21:                             ;   in Loop: Header=BB137_10 Depth=1
	s_or_b64 exec, exec, s[22:23]
.LBB137_22:                             ;   in Loop: Header=BB137_10 Depth=1
	s_or_b64 exec, exec, s[20:21]
	v_mov_b32_dpp v16, v28 row_shr:1 row_mask:0xf bank_mask:0xf
	v_mov_b32_dpp v17, v29 row_shr:1 row_mask:0xf bank_mask:0xf
	v_cmp_lt_i64_e32 vcc, v[16:17], v[28:29]
	s_waitcnt lgkmcnt(0)
	s_nop 0
	v_cndmask_b32_e32 v17, v29, v17, vcc
	v_cndmask_b32_e32 v16, v28, v16, vcc
	s_nop 0
	v_mov_b32_dpp v19, v17 row_shr:2 row_mask:0xf bank_mask:0xf
	v_mov_b32_dpp v18, v16 row_shr:2 row_mask:0xf bank_mask:0xf
	v_cmp_lt_i64_e32 vcc, v[18:19], v[16:17]
	s_nop 1
	v_cndmask_b32_e32 v17, v17, v19, vcc
	v_cndmask_b32_e32 v16, v16, v18, vcc
	s_nop 0
	v_mov_b32_dpp v19, v17 row_shr:4 row_mask:0xf bank_mask:0xe
	v_mov_b32_dpp v18, v16 row_shr:4 row_mask:0xf bank_mask:0xe
	v_cmp_lt_i64_e32 vcc, v[18:19], v[16:17]
	s_nop 1
	v_cndmask_b32_e32 v1, v17, v19, vcc
	ds_read_u8 v19, v30 offset:2048
	v_cndmask_b32_e32 v16, v16, v18, vcc
	ds_bpermute_b32 v16, v33, v16
	ds_bpermute_b32 v17, v33, v1
	s_waitcnt lgkmcnt(2)
	v_and_b32_e32 v1, 1, v19
	v_cmp_eq_u32_e32 vcc, 1, v1
	v_mov_b64_e32 v[18:19], 0
	s_and_saveexec_b64 s[0:1], vcc
	s_cbranch_execz .LBB137_9
; %bb.23:                               ;   in Loop: Header=BB137_10 Depth=1
	v_lshl_add_u64 v[12:13], v[12:13], 0, s[12:13]
	v_lshl_add_u64 v[18:19], v[4:5], 3, s[2:3]
	global_store_dwordx2 v[18:19], v[12:13], off
	s_and_saveexec_b64 s[20:21], s[4:5]
	s_cbranch_execz .LBB137_8
; %bb.24:                               ;   in Loop: Header=BB137_10 Depth=1
	ds_read_b64 v[12:13], v32
	v_mul_lo_u32 v1, s30, v4
	v_mul_lo_u32 v20, s31, v5
	v_mad_u64_u32 v[18:19], s[22:23], s31, v4, 0
	v_add3_u32 v19, v19, v20, v1
	v_lshl_add_u64 v[18:19], v[18:19], 3, v[8:9]
	s_waitcnt lgkmcnt(0)
	global_store_dwordx2 v[18:19], v[12:13], off
	s_branch .LBB137_8
.LBB137_25:
	s_endpgm
	.section	.rodata,"a",@progbits
	.p2align	6, 0x0
	.amdhsa_kernel _ZN9rocsparseL42csr2bsr_wavefront_per_row_multipass_kernelILj256ELj64ELj8EdllEEv20rocsparse_direction_T4_S2_S2_S2_S2_21rocsparse_index_base_PKT2_PKT3_PKS2_S3_PS4_PS7_PS2_
		.amdhsa_group_segment_fixed_size 2056
		.amdhsa_private_segment_fixed_size 0
		.amdhsa_kernarg_size 112
		.amdhsa_user_sgpr_count 2
		.amdhsa_user_sgpr_dispatch_ptr 0
		.amdhsa_user_sgpr_queue_ptr 0
		.amdhsa_user_sgpr_kernarg_segment_ptr 1
		.amdhsa_user_sgpr_dispatch_id 0
		.amdhsa_user_sgpr_kernarg_preload_length 0
		.amdhsa_user_sgpr_kernarg_preload_offset 0
		.amdhsa_user_sgpr_private_segment_size 0
		.amdhsa_uses_dynamic_stack 0
		.amdhsa_enable_private_segment 0
		.amdhsa_system_sgpr_workgroup_id_x 1
		.amdhsa_system_sgpr_workgroup_id_y 0
		.amdhsa_system_sgpr_workgroup_id_z 0
		.amdhsa_system_sgpr_workgroup_info 0
		.amdhsa_system_vgpr_workitem_id 0
		.amdhsa_next_free_vgpr 42
		.amdhsa_next_free_sgpr 32
		.amdhsa_accum_offset 44
		.amdhsa_reserve_vcc 1
		.amdhsa_float_round_mode_32 0
		.amdhsa_float_round_mode_16_64 0
		.amdhsa_float_denorm_mode_32 3
		.amdhsa_float_denorm_mode_16_64 3
		.amdhsa_dx10_clamp 1
		.amdhsa_ieee_mode 1
		.amdhsa_fp16_overflow 0
		.amdhsa_tg_split 0
		.amdhsa_exception_fp_ieee_invalid_op 0
		.amdhsa_exception_fp_denorm_src 0
		.amdhsa_exception_fp_ieee_div_zero 0
		.amdhsa_exception_fp_ieee_overflow 0
		.amdhsa_exception_fp_ieee_underflow 0
		.amdhsa_exception_fp_ieee_inexact 0
		.amdhsa_exception_int_div_zero 0
	.end_amdhsa_kernel
	.section	.text._ZN9rocsparseL42csr2bsr_wavefront_per_row_multipass_kernelILj256ELj64ELj8EdllEEv20rocsparse_direction_T4_S2_S2_S2_S2_21rocsparse_index_base_PKT2_PKT3_PKS2_S3_PS4_PS7_PS2_,"axG",@progbits,_ZN9rocsparseL42csr2bsr_wavefront_per_row_multipass_kernelILj256ELj64ELj8EdllEEv20rocsparse_direction_T4_S2_S2_S2_S2_21rocsparse_index_base_PKT2_PKT3_PKS2_S3_PS4_PS7_PS2_,comdat
.Lfunc_end137:
	.size	_ZN9rocsparseL42csr2bsr_wavefront_per_row_multipass_kernelILj256ELj64ELj8EdllEEv20rocsparse_direction_T4_S2_S2_S2_S2_21rocsparse_index_base_PKT2_PKT3_PKS2_S3_PS4_PS7_PS2_, .Lfunc_end137-_ZN9rocsparseL42csr2bsr_wavefront_per_row_multipass_kernelILj256ELj64ELj8EdllEEv20rocsparse_direction_T4_S2_S2_S2_S2_21rocsparse_index_base_PKT2_PKT3_PKS2_S3_PS4_PS7_PS2_
                                        ; -- End function
	.section	.AMDGPU.csdata,"",@progbits
; Kernel info:
; codeLenInByte = 2300
; NumSgprs: 38
; NumVgprs: 42
; NumAgprs: 0
; TotalNumVgprs: 42
; ScratchSize: 0
; MemoryBound: 0
; FloatMode: 240
; IeeeMode: 1
; LDSByteSize: 2056 bytes/workgroup (compile time only)
; SGPRBlocks: 4
; VGPRBlocks: 5
; NumSGPRsForWavesPerEU: 38
; NumVGPRsForWavesPerEU: 42
; AccumOffset: 44
; Occupancy: 8
; WaveLimiterHint : 0
; COMPUTE_PGM_RSRC2:SCRATCH_EN: 0
; COMPUTE_PGM_RSRC2:USER_SGPR: 2
; COMPUTE_PGM_RSRC2:TRAP_HANDLER: 0
; COMPUTE_PGM_RSRC2:TGID_X_EN: 1
; COMPUTE_PGM_RSRC2:TGID_Y_EN: 0
; COMPUTE_PGM_RSRC2:TGID_Z_EN: 0
; COMPUTE_PGM_RSRC2:TIDIG_COMP_CNT: 0
; COMPUTE_PGM_RSRC3_GFX90A:ACCUM_OFFSET: 10
; COMPUTE_PGM_RSRC3_GFX90A:TG_SPLIT: 0
	.section	.text._ZN9rocsparseL42csr2bsr_wavefront_per_row_multipass_kernelILj256ELj32ELj8EdllEEv20rocsparse_direction_T4_S2_S2_S2_S2_21rocsparse_index_base_PKT2_PKT3_PKS2_S3_PS4_PS7_PS2_,"axG",@progbits,_ZN9rocsparseL42csr2bsr_wavefront_per_row_multipass_kernelILj256ELj32ELj8EdllEEv20rocsparse_direction_T4_S2_S2_S2_S2_21rocsparse_index_base_PKT2_PKT3_PKS2_S3_PS4_PS7_PS2_,comdat
	.globl	_ZN9rocsparseL42csr2bsr_wavefront_per_row_multipass_kernelILj256ELj32ELj8EdllEEv20rocsparse_direction_T4_S2_S2_S2_S2_21rocsparse_index_base_PKT2_PKT3_PKS2_S3_PS4_PS7_PS2_ ; -- Begin function _ZN9rocsparseL42csr2bsr_wavefront_per_row_multipass_kernelILj256ELj32ELj8EdllEEv20rocsparse_direction_T4_S2_S2_S2_S2_21rocsparse_index_base_PKT2_PKT3_PKS2_S3_PS4_PS7_PS2_
	.p2align	8
	.type	_ZN9rocsparseL42csr2bsr_wavefront_per_row_multipass_kernelILj256ELj32ELj8EdllEEv20rocsparse_direction_T4_S2_S2_S2_S2_21rocsparse_index_base_PKT2_PKT3_PKS2_S3_PS4_PS7_PS2_,@function
_ZN9rocsparseL42csr2bsr_wavefront_per_row_multipass_kernelILj256ELj32ELj8EdllEEv20rocsparse_direction_T4_S2_S2_S2_S2_21rocsparse_index_base_PKT2_PKT3_PKS2_S3_PS4_PS7_PS2_: ; @_ZN9rocsparseL42csr2bsr_wavefront_per_row_multipass_kernelILj256ELj32ELj8EdllEEv20rocsparse_direction_T4_S2_S2_S2_S2_21rocsparse_index_base_PKT2_PKT3_PKS2_S3_PS4_PS7_PS2_
; %bb.0:
	s_load_dwordx2 s[4:5], s[0:1], 0x8
	s_load_dwordx4 s[8:11], s[0:1], 0x18
	s_load_dwordx2 s[6:7], s[0:1], 0x28
	s_load_dword s33, s[0:1], 0x30
	s_load_dwordx2 s[12:13], s[0:1], 0x40
	s_ashr_i32 s3, s2, 31
	v_lshrrev_b32_e32 v36, 5, v0
	s_lshl_b64 s[14:15], s[2:3], 3
	v_bfe_u32 v10, v0, 2, 3
	v_mov_b32_e32 v11, 0
	v_or_b32_e32 v1, s14, v36
	s_waitcnt lgkmcnt(0)
	v_mul_lo_u32 v2, v1, s7
	v_mad_u64_u32 v[4:5], s[16:17], v1, s6, v[10:11]
	s_mul_i32 s3, s15, s6
	v_add3_u32 v5, s3, v5, v2
	v_cmp_gt_i64_e32 vcc, s[4:5], v[4:5]
	v_cmp_gt_i64_e64 s[4:5], s[6:7], v[10:11]
	v_mov_b64_e32 v[2:3], 0
	s_and_b64 s[14:15], s[4:5], vcc
	v_mov_b64_e32 v[22:23], v[2:3]
	s_and_saveexec_b64 s[16:17], s[14:15]
	s_cbranch_execz .LBB138_2
; %bb.1:
	v_lshl_add_u64 v[6:7], v[4:5], 3, s[12:13]
	global_load_dwordx2 v[6:7], v[6:7], off
	s_waitcnt vmcnt(0)
	v_subrev_co_u32_e32 v22, vcc, s33, v6
	s_nop 1
	v_subbrev_co_u32_e32 v23, vcc, 0, v7, vcc
.LBB138_2:
	s_or_b64 exec, exec, s[16:17]
	s_and_saveexec_b64 s[16:17], s[14:15]
	s_cbranch_execz .LBB138_4
; %bb.3:
	v_lshl_add_u64 v[2:3], v[4:5], 3, s[12:13]
	global_load_dwordx2 v[2:3], v[2:3], off offset:8
	s_waitcnt vmcnt(0)
	v_subrev_co_u32_e32 v2, vcc, s33, v2
	s_nop 1
	v_subbrev_co_u32_e32 v3, vcc, 0, v3, vcc
.LBB138_4:
	s_or_b64 exec, exec, s[16:17]
	s_load_dword s12, s[0:1], 0x50
	v_lshl_or_b32 v6, s2, 3, v36
	v_mov_b32_e32 v7, 0
	v_cmp_gt_i64_e32 vcc, s[8:9], v[6:7]
	v_mov_b64_e32 v[4:5], 0
	s_and_saveexec_b64 s[2:3], vcc
	s_cbranch_execz .LBB138_6
; %bb.5:
	s_load_dwordx2 s[8:9], s[0:1], 0x60
	s_waitcnt lgkmcnt(0)
	v_lshl_add_u64 v[4:5], v[6:7], 3, s[8:9]
	global_load_dwordx2 v[4:5], v[4:5], off
	s_waitcnt vmcnt(0)
	v_subrev_co_u32_e32 v4, vcc, s12, v4
	s_nop 1
	v_subbrev_co_u32_e32 v5, vcc, 0, v5, vcc
.LBB138_6:
	s_or_b64 exec, exec, s[2:3]
	v_cmp_lt_i64_e64 s[2:3], s[10:11], 1
	s_and_b64 vcc, exec, s[2:3]
	s_cbranch_vccnz .LBB138_34
; %bb.7:
	s_load_dwordx2 s[2:3], s[0:1], 0x68
	s_load_dwordx2 s[18:19], s[0:1], 0x58
	s_mul_i32 s8, s6, s7
	s_mul_hi_u32 s9, s6, s6
	v_mov_b32_e32 v6, 0
	s_add_i32 s9, s9, s8
	v_lshlrev_b32_e32 v12, 3, v10
	v_mov_b32_e32 v13, v6
	s_add_i32 s34, s9, s8
	s_load_dwordx2 s[8:9], s[0:1], 0x48
	s_waitcnt lgkmcnt(0)
	v_lshl_add_u64 v[8:9], s[18:19], 0, v[12:13]
	s_load_dwordx2 s[14:15], s[0:1], 0x38
	s_load_dword s16, s[0:1], 0x0
	v_lshl_or_b32 v37, v36, 6, v12
	v_mad_u64_u32 v[12:13], s[0:1], v10, s6, 0
	v_mov_b32_e32 v14, v13
	v_mad_u64_u32 v[10:11], s[0:1], v10, s7, v[14:15]
	v_and_b32_e32 v0, 3, v0
	v_mov_b32_e32 v13, v10
	v_lshl_add_u64 v[10:11], v[12:13], 3, s[18:19]
	v_mad_u64_u32 v[12:13], s[0:1], v0, s6, 0
	v_mov_b32_e32 v14, v13
	v_mad_u64_u32 v[14:15], s[0:1], v0, s7, v[14:15]
	v_or_b32_e32 v16, 4, v0
	v_mbcnt_lo_u32_b32 v7, -1, 0
	v_mov_b32_e32 v13, v14
	v_mad_u64_u32 v[14:15], s[18:19], v16, s6, 0
	v_mov_b32_e32 v1, v6
	v_mbcnt_hi_u32_b32 v7, -1, v7
	v_mov_b32_e32 v17, v6
	v_mov_b32_e32 v18, v15
	s_mov_b32 s36, 0
	v_lshlrev_b32_e32 v7, 2, v7
	s_waitcnt lgkmcnt(0)
	s_cmp_lg_u32 s16, 0
	v_cmp_gt_u64_e32 vcc, s[6:7], v[0:1]
	v_cmp_gt_u64_e64 s[0:1], s[6:7], v[16:17]
	v_mad_u64_u32 v[16:17], s[18:19], v16, s7, v[18:19]
	v_or_b32_e32 v38, 12, v7
	s_cselect_b64 s[16:17], -1, 0
	v_or_b32_e32 v39, 0x7c, v7
	v_or_b32_e32 v7, v37, v0
	s_and_b64 s[18:19], s[4:5], vcc
	s_and_b64 s[4:5], s[4:5], s[0:1]
	s_mov_b32 s0, s36
	s_mov_b32 s1, s36
	s_mul_i32 s35, s6, s6
	s_mov_b32 s13, s36
	v_lshlrev_b32_e32 v40, 3, v7
	v_mov_b32_e32 v15, v16
	s_mov_b64 s[20:21], 0
	v_mov_b64_e32 v[20:21], 0
	v_mov_b64_e32 v[16:17], s[0:1]
	s_ashr_i32 s22, s7, 31
	v_mov_b32_e32 v41, 1
	s_branch .LBB138_11
.LBB138_8:                              ;   in Loop: Header=BB138_11 Depth=1
	v_mov_b64_e32 v[24:25], s[26:27]
.LBB138_9:                              ;   in Loop: Header=BB138_11 Depth=1
	s_or_b64 exec, exec, s[24:25]
.LBB138_10:                             ;   in Loop: Header=BB138_11 Depth=1
	s_or_b64 exec, exec, s[0:1]
	v_mov_b32_dpp v20, v18 row_shr:1 row_mask:0xf bank_mask:0xf
	v_mov_b32_dpp v21, v19 row_shr:1 row_mask:0xf bank_mask:0xf
	v_cmp_lt_i64_e32 vcc, v[20:21], v[18:19]
	v_lshl_add_u64 v[4:5], v[24:25], 0, v[4:5]
	s_waitcnt lgkmcnt(0)
	v_cndmask_b32_e32 v19, v19, v21, vcc
	v_cndmask_b32_e32 v18, v18, v20, vcc
	s_nop 0
	v_mov_b32_dpp v21, v19 row_shr:2 row_mask:0xf bank_mask:0xf
	v_mov_b32_dpp v20, v18 row_shr:2 row_mask:0xf bank_mask:0xf
	v_cmp_lt_i64_e32 vcc, v[20:21], v[18:19]
	s_nop 1
	v_cndmask_b32_e32 v19, v19, v21, vcc
	v_cndmask_b32_e32 v18, v18, v20, vcc
	s_nop 0
	v_mov_b32_dpp v21, v19 row_shr:4 row_mask:0xf bank_mask:0xe
	v_mov_b32_dpp v20, v18 row_shr:4 row_mask:0xf bank_mask:0xe
	v_cmp_lt_i64_e32 vcc, v[20:21], v[18:19]
	s_nop 1
	;; [unrolled: 7-line block ×3, first 2 shown]
	v_cndmask_b32_e32 v19, v19, v21, vcc
	v_cndmask_b32_e32 v18, v18, v20, vcc
	s_nop 0
	v_mov_b32_dpp v21, v19 row_bcast:15 row_mask:0xa bank_mask:0xf
	v_mov_b32_dpp v20, v18 row_bcast:15 row_mask:0xa bank_mask:0xf
	v_cmp_lt_i64_e32 vcc, v[20:21], v[18:19]
	s_nop 1
	v_cndmask_b32_e32 v7, v19, v21, vcc
	v_cndmask_b32_e32 v18, v18, v20, vcc
	ds_bpermute_b32 v20, v39, v18
	ds_bpermute_b32 v21, v39, v7
	s_waitcnt lgkmcnt(0)
	v_cmp_le_i64_e32 vcc, s[10:11], v[20:21]
	s_or_b64 s[20:21], vcc, s[20:21]
	s_andn2_b64 exec, exec, s[20:21]
	s_cbranch_execz .LBB138_34
.LBB138_11:                             ; =>This Loop Header: Depth=1
                                        ;     Child Loop BB138_14 Depth 2
	v_lshl_add_u64 v[22:23], v[22:23], 0, v[0:1]
	v_cmp_lt_i64_e32 vcc, v[22:23], v[2:3]
	v_mov_b64_e32 v[18:19], s[10:11]
	v_mov_b64_e32 v[34:35], v[2:3]
	ds_write_b8 v36, v6 offset:4096
	ds_write2_b64 v40, v[16:17], v[16:17] offset1:4
	s_waitcnt lgkmcnt(0)
	s_and_saveexec_b64 s[24:25], vcc
	s_cbranch_execz .LBB138_23
; %bb.12:                               ;   in Loop: Header=BB138_11 Depth=1
	v_lshlrev_b64 v[18:19], 3, v[22:23]
	v_mad_u64_u32 v[24:25], s[0:1], v20, s6, 0
	v_lshl_add_u64 v[26:27], s[14:15], 0, v[18:19]
	v_lshl_add_u64 v[28:29], s[8:9], 0, v[18:19]
	s_mov_b64 s[26:27], 0
	v_mov_b64_e32 v[18:19], s[10:11]
	v_mov_b64_e32 v[30:31], v[2:3]
	s_branch .LBB138_14
.LBB138_13:                             ;   in Loop: Header=BB138_14 Depth=2
	s_or_b64 exec, exec, s[0:1]
	v_lshl_add_u64 v[22:23], v[22:23], 0, 4
	v_cmp_ge_i64_e64 s[0:1], v[22:23], v[2:3]
	s_xor_b64 s[28:29], vcc, -1
	s_or_b64 s[0:1], s[28:29], s[0:1]
	s_and_b64 s[0:1], exec, s[0:1]
	v_lshl_add_u64 v[26:27], v[26:27], 0, 32
	v_lshl_add_u64 v[28:29], v[28:29], 0, 32
	s_or_b64 s[26:27], s[0:1], s[26:27]
	v_mov_b64_e32 v[30:31], v[34:35]
	s_andn2_b64 exec, exec, s[26:27]
	s_cbranch_execz .LBB138_22
.LBB138_14:                             ;   Parent Loop BB138_11 Depth=1
                                        ; =>  This Inner Loop Header: Depth=2
	global_load_dwordx2 v[32:33], v[28:29], off
	v_mov_b32_e32 v7, s36
                                        ; implicit-def: $vgpr34_vgpr35
	s_waitcnt vmcnt(0)
	v_subrev_co_u32_e32 v32, vcc, s33, v32
	s_nop 1
	v_subb_co_u32_e32 v33, vcc, v33, v7, vcc
	v_or_b32_e32 v7, s7, v33
	v_cmp_ne_u64_e32 vcc, 0, v[6:7]
	s_and_saveexec_b64 s[0:1], vcc
	s_xor_b64 s[28:29], exec, s[0:1]
	s_cbranch_execz .LBB138_16
; %bb.15:                               ;   in Loop: Header=BB138_14 Depth=2
	s_add_u32 s0, s6, s22
	s_mov_b32 s23, s22
	s_addc_u32 s1, s7, s22
	s_xor_b64 s[30:31], s[0:1], s[22:23]
	v_cvt_f32_u32_e32 v7, s30
	v_cvt_f32_u32_e32 v25, s31
	s_sub_u32 s0, 0, s30
	s_subb_u32 s1, 0, s31
	v_mov_b32_e32 v43, v6
	v_fmac_f32_e32 v7, 0x4f800000, v25
	v_rcp_f32_e32 v7, v7
	s_nop 0
	v_mul_f32_e32 v7, 0x5f7ffffc, v7
	v_mul_f32_e32 v25, 0x2f800000, v7
	v_trunc_f32_e32 v25, v25
	v_fmac_f32_e32 v7, 0xcf800000, v25
	v_cvt_u32_f32_e32 v25, v25
	v_cvt_u32_f32_e32 v7, v7
	v_mul_lo_u32 v34, s0, v25
	v_mul_hi_u32 v42, s0, v7
	v_mul_lo_u32 v35, s1, v7
	v_add_u32_e32 v34, v42, v34
	v_mul_lo_u32 v44, s0, v7
	v_add_u32_e32 v45, v34, v35
	v_mul_hi_u32 v35, v7, v45
	v_mul_lo_u32 v34, v7, v45
	v_mul_hi_u32 v42, v7, v44
	v_lshl_add_u64 v[34:35], v[42:43], 0, v[34:35]
	v_mul_hi_u32 v43, v25, v44
	v_mul_lo_u32 v44, v25, v44
	v_add_co_u32_e32 v34, vcc, v34, v44
	v_mul_hi_u32 v42, v25, v45
	s_nop 0
	v_addc_co_u32_e32 v34, vcc, v35, v43, vcc
	v_mov_b32_e32 v35, v6
	s_nop 0
	v_addc_co_u32_e32 v43, vcc, 0, v42, vcc
	v_mul_lo_u32 v42, v25, v45
	v_lshl_add_u64 v[34:35], v[34:35], 0, v[42:43]
	v_add_co_u32_e32 v7, vcc, v7, v34
	v_mul_lo_u32 v42, s0, v7
	s_nop 0
	v_addc_co_u32_e32 v25, vcc, v25, v35, vcc
	v_mul_lo_u32 v34, s0, v25
	v_mul_hi_u32 v35, s0, v7
	v_add_u32_e32 v34, v35, v34
	v_mul_lo_u32 v35, s1, v7
	v_add_u32_e32 v44, v34, v35
	v_mul_hi_u32 v46, v25, v42
	v_mul_lo_u32 v47, v25, v42
	v_mul_hi_u32 v35, v7, v44
	v_mul_lo_u32 v34, v7, v44
	v_mul_hi_u32 v42, v7, v42
	v_mov_b32_e32 v43, v6
	v_lshl_add_u64 v[34:35], v[42:43], 0, v[34:35]
	v_add_co_u32_e32 v34, vcc, v34, v47
	v_mul_hi_u32 v45, v25, v44
	s_nop 0
	v_addc_co_u32_e32 v34, vcc, v35, v46, vcc
	v_mul_lo_u32 v42, v25, v44
	s_nop 0
	v_addc_co_u32_e32 v43, vcc, 0, v45, vcc
	v_mov_b32_e32 v35, v6
	v_lshl_add_u64 v[34:35], v[34:35], 0, v[42:43]
	v_add_co_u32_e32 v7, vcc, v7, v34
	v_ashrrev_i32_e32 v34, 31, v33
	s_nop 0
	v_addc_co_u32_e32 v25, vcc, v25, v35, vcc
	v_mov_b32_e32 v35, v34
	v_lshl_add_u64 v[42:43], v[32:33], 0, v[34:35]
	v_xor_b32_e32 v35, v42, v34
	v_xor_b32_e32 v33, v43, v34
	v_mad_u64_u32 v[42:43], s[0:1], v35, v25, 0
	v_mul_hi_u32 v44, v35, v7
	v_mov_b32_e32 v45, v6
	v_lshl_add_u64 v[42:43], v[44:45], 0, v[42:43]
	v_mad_u64_u32 v[46:47], s[0:1], v33, v7, 0
	v_add_co_u32_e32 v7, vcc, v42, v46
	v_mad_u64_u32 v[44:45], s[0:1], v33, v25, 0
	s_nop 0
	v_addc_co_u32_e32 v42, vcc, v43, v47, vcc
	v_mov_b32_e32 v43, v6
	s_nop 0
	v_addc_co_u32_e32 v45, vcc, 0, v45, vcc
	v_lshl_add_u64 v[42:43], v[42:43], 0, v[44:45]
	v_mul_lo_u32 v7, s31, v42
	v_mul_lo_u32 v25, s30, v43
	v_mad_u64_u32 v[44:45], s[0:1], s30, v42, 0
	v_add3_u32 v7, v45, v25, v7
	v_sub_u32_e32 v25, v33, v7
	v_mov_b32_e32 v45, s31
	v_sub_co_u32_e32 v35, vcc, v35, v44
	v_lshl_add_u64 v[46:47], v[42:43], 0, 1
	s_nop 0
	v_subb_co_u32_e64 v25, s[0:1], v25, v45, vcc
	v_subrev_co_u32_e64 v44, s[0:1], s30, v35
	v_subb_co_u32_e32 v7, vcc, v33, v7, vcc
	s_nop 0
	v_subbrev_co_u32_e64 v25, s[0:1], 0, v25, s[0:1]
	v_cmp_le_u32_e64 s[0:1], s31, v25
	v_cmp_le_u32_e32 vcc, s31, v7
	s_nop 0
	v_cndmask_b32_e64 v45, 0, -1, s[0:1]
	v_cmp_le_u32_e64 s[0:1], s30, v44
	v_cndmask_b32_e64 v33, 0, -1, vcc
	v_cmp_le_u32_e32 vcc, s30, v35
	v_cndmask_b32_e64 v44, 0, -1, s[0:1]
	v_cmp_eq_u32_e64 s[0:1], s31, v25
	v_cndmask_b32_e64 v35, 0, -1, vcc
	v_cmp_eq_u32_e32 vcc, s31, v7
	v_cndmask_b32_e64 v25, v45, v44, s[0:1]
	v_lshl_add_u64 v[44:45], v[42:43], 0, 2
	v_cmp_ne_u32_e64 s[0:1], 0, v25
	v_cndmask_b32_e32 v7, v33, v35, vcc
	v_cmp_ne_u32_e32 vcc, 0, v7
	v_cndmask_b32_e64 v25, v47, v45, s[0:1]
	v_xor_b32_e32 v33, s22, v34
	v_cndmask_b32_e32 v7, v43, v25, vcc
	v_cndmask_b32_e64 v25, v46, v44, s[0:1]
	v_cndmask_b32_e32 v25, v42, v25, vcc
	v_xor_b32_e32 v25, v25, v33
	v_xor_b32_e32 v7, v7, v33
	v_sub_co_u32_e32 v34, vcc, v25, v33
	s_nop 1
	v_subb_co_u32_e32 v35, vcc, v7, v33, vcc
.LBB138_16:                             ;   in Loop: Header=BB138_14 Depth=2
	s_andn2_saveexec_b64 s[0:1], s[28:29]
	s_cbranch_execz .LBB138_18
; %bb.17:                               ;   in Loop: Header=BB138_14 Depth=2
	v_cvt_f32_u32_e32 v7, s6
	s_sub_i32 s23, 0, s6
	v_mov_b32_e32 v35, v6
	v_rcp_iflag_f32_e32 v7, v7
	s_nop 0
	v_mul_f32_e32 v7, 0x4f7ffffe, v7
	v_cvt_u32_f32_e32 v7, v7
	v_mul_lo_u32 v25, s23, v7
	v_mul_hi_u32 v25, v7, v25
	v_add_u32_e32 v7, v7, v25
	v_mul_hi_u32 v7, v32, v7
	v_mul_lo_u32 v25, v7, s6
	v_sub_u32_e32 v25, v32, v25
	v_add_u32_e32 v33, 1, v7
	v_subrev_u32_e32 v34, s6, v25
	v_cmp_le_u32_e32 vcc, s6, v25
	s_nop 1
	v_cndmask_b32_e32 v25, v25, v34, vcc
	v_cndmask_b32_e32 v7, v7, v33, vcc
	v_add_u32_e32 v33, 1, v7
	v_cmp_le_u32_e32 vcc, s6, v25
	s_nop 1
	v_cndmask_b32_e32 v34, v7, v33, vcc
.LBB138_18:                             ;   in Loop: Header=BB138_14 Depth=2
	s_or_b64 exec, exec, s[0:1]
	v_cmp_eq_u64_e32 vcc, v[34:35], v[20:21]
	v_cmp_ne_u64_e64 s[0:1], v[34:35], v[20:21]
	s_and_saveexec_b64 s[28:29], s[0:1]
	s_xor_b64 s[28:29], exec, s[28:29]
; %bb.19:                               ;   in Loop: Header=BB138_14 Depth=2
	v_cmp_lt_i64_e64 s[0:1], v[34:35], v[18:19]
                                        ; implicit-def: $vgpr32_vgpr33
                                        ; implicit-def: $vgpr30_vgpr31
	s_nop 1
	v_cndmask_b32_e64 v19, v19, v35, s[0:1]
	v_cndmask_b32_e64 v18, v18, v34, s[0:1]
; %bb.20:                               ;   in Loop: Header=BB138_14 Depth=2
	s_or_saveexec_b64 s[0:1], s[28:29]
	v_mov_b64_e32 v[34:35], v[22:23]
	s_xor_b64 exec, exec, s[0:1]
	s_cbranch_execz .LBB138_13
; %bb.21:                               ;   in Loop: Header=BB138_14 Depth=2
	global_load_dwordx2 v[34:35], v[26:27], off
	v_sub_u32_e32 v7, v32, v24
	v_add_lshl_u32 v7, v37, v7, 3
	ds_write_b8 v36, v41 offset:4096
	s_waitcnt vmcnt(0)
	ds_write_b64 v7, v[34:35]
	v_mov_b64_e32 v[34:35], v[30:31]
	s_branch .LBB138_13
.LBB138_22:                             ;   in Loop: Header=BB138_11 Depth=1
	s_or_b64 exec, exec, s[26:27]
.LBB138_23:                             ;   in Loop: Header=BB138_11 Depth=1
	s_or_b64 exec, exec, s[24:25]
	v_mov_b32_dpp v22, v34 row_shr:1 row_mask:0xf bank_mask:0xf
	v_mov_b32_dpp v23, v35 row_shr:1 row_mask:0xf bank_mask:0xf
	v_cmp_lt_i64_e32 vcc, v[22:23], v[34:35]
	s_waitcnt lgkmcnt(0)
	s_nop 0
	v_cndmask_b32_e32 v23, v35, v23, vcc
	v_cndmask_b32_e32 v22, v34, v22, vcc
	s_nop 0
	v_mov_b32_dpp v25, v23 row_shr:2 row_mask:0xf bank_mask:0xf
	v_mov_b32_dpp v24, v22 row_shr:2 row_mask:0xf bank_mask:0xf
	v_cmp_lt_i64_e32 vcc, v[24:25], v[22:23]
	s_nop 1
	v_cndmask_b32_e32 v7, v23, v25, vcc
	ds_read_u8 v25, v36 offset:4096
	v_cndmask_b32_e32 v22, v22, v24, vcc
	ds_bpermute_b32 v22, v38, v22
	ds_bpermute_b32 v23, v38, v7
	s_waitcnt lgkmcnt(2)
	v_and_b32_e32 v7, 1, v25
	v_cmp_eq_u32_e32 vcc, 1, v7
	v_mov_b64_e32 v[24:25], 0
	s_and_saveexec_b64 s[0:1], vcc
	s_cbranch_execz .LBB138_10
; %bb.24:                               ;   in Loop: Header=BB138_11 Depth=1
	v_lshl_add_u64 v[20:21], v[20:21], 0, s[12:13]
	v_lshl_add_u64 v[24:25], v[4:5], 3, s[2:3]
	global_store_dwordx2 v[24:25], v[20:21], off
	v_mul_lo_u32 v7, s34, v4
	v_mul_lo_u32 v24, s35, v5
	v_mad_u64_u32 v[20:21], s[24:25], s35, v4, 0
	v_add3_u32 v21, v21, v24, v7
	v_lshlrev_b64 v[20:21], 3, v[20:21]
	v_lshl_add_u64 v[26:27], v[8:9], 0, v[20:21]
	v_lshl_add_u64 v[20:21], v[10:11], 0, v[20:21]
	s_and_saveexec_b64 s[24:25], s[18:19]
	s_cbranch_execz .LBB138_28
; %bb.25:                               ;   in Loop: Header=BB138_11 Depth=1
	s_and_b64 vcc, exec, s[16:17]
	s_cbranch_vccz .LBB138_31
; %bb.26:                               ;   in Loop: Header=BB138_11 Depth=1
	ds_read_b64 v[24:25], v40
	v_lshl_add_u64 v[28:29], v[12:13], 3, v[26:27]
	s_waitcnt lgkmcnt(0)
	global_store_dwordx2 v[28:29], v[24:25], off
	s_cbranch_execnz .LBB138_28
.LBB138_27:                             ;   in Loop: Header=BB138_11 Depth=1
	ds_read_b64 v[24:25], v40
	v_lshlrev_b32_e32 v28, 3, v0
	v_mov_b32_e32 v29, v6
	v_lshl_add_u64 v[28:29], v[20:21], 0, v[28:29]
	s_waitcnt lgkmcnt(0)
	global_store_dwordx2 v[28:29], v[24:25], off
.LBB138_28:                             ;   in Loop: Header=BB138_11 Depth=1
	s_or_b64 exec, exec, s[24:25]
	v_mov_b64_e32 v[24:25], 1
	s_and_saveexec_b64 s[24:25], s[4:5]
	s_cbranch_execz .LBB138_9
; %bb.29:                               ;   in Loop: Header=BB138_11 Depth=1
	s_andn2_b64 vcc, exec, s[16:17]
	s_cbranch_vccnz .LBB138_32
; %bb.30:                               ;   in Loop: Header=BB138_11 Depth=1
	ds_read_b64 v[24:25], v40 offset:32
	v_lshl_add_u64 v[26:27], v[14:15], 3, v[26:27]
	s_mov_b64 s[26:27], 1
	s_waitcnt lgkmcnt(0)
	global_store_dwordx2 v[26:27], v[24:25], off
	s_cbranch_execnz .LBB138_8
	s_branch .LBB138_33
.LBB138_31:                             ;   in Loop: Header=BB138_11 Depth=1
	s_branch .LBB138_27
.LBB138_32:                             ;   in Loop: Header=BB138_11 Depth=1
                                        ; implicit-def: $sgpr26_sgpr27
.LBB138_33:                             ;   in Loop: Header=BB138_11 Depth=1
	ds_read_b64 v[24:25], v40 offset:32
	v_lshlrev_b32_e32 v26, 3, v0
	v_mov_b32_e32 v27, v6
	v_lshl_add_u64 v[20:21], v[20:21], 0, v[26:27]
	s_mov_b64 s[26:27], 1
	s_waitcnt lgkmcnt(0)
	global_store_dwordx2 v[20:21], v[24:25], off offset:32
	s_branch .LBB138_8
.LBB138_34:
	s_endpgm
	.section	.rodata,"a",@progbits
	.p2align	6, 0x0
	.amdhsa_kernel _ZN9rocsparseL42csr2bsr_wavefront_per_row_multipass_kernelILj256ELj32ELj8EdllEEv20rocsparse_direction_T4_S2_S2_S2_S2_21rocsparse_index_base_PKT2_PKT3_PKS2_S3_PS4_PS7_PS2_
		.amdhsa_group_segment_fixed_size 4104
		.amdhsa_private_segment_fixed_size 0
		.amdhsa_kernarg_size 112
		.amdhsa_user_sgpr_count 2
		.amdhsa_user_sgpr_dispatch_ptr 0
		.amdhsa_user_sgpr_queue_ptr 0
		.amdhsa_user_sgpr_kernarg_segment_ptr 1
		.amdhsa_user_sgpr_dispatch_id 0
		.amdhsa_user_sgpr_kernarg_preload_length 0
		.amdhsa_user_sgpr_kernarg_preload_offset 0
		.amdhsa_user_sgpr_private_segment_size 0
		.amdhsa_uses_dynamic_stack 0
		.amdhsa_enable_private_segment 0
		.amdhsa_system_sgpr_workgroup_id_x 1
		.amdhsa_system_sgpr_workgroup_id_y 0
		.amdhsa_system_sgpr_workgroup_id_z 0
		.amdhsa_system_sgpr_workgroup_info 0
		.amdhsa_system_vgpr_workitem_id 0
		.amdhsa_next_free_vgpr 48
		.amdhsa_next_free_sgpr 37
		.amdhsa_accum_offset 48
		.amdhsa_reserve_vcc 1
		.amdhsa_float_round_mode_32 0
		.amdhsa_float_round_mode_16_64 0
		.amdhsa_float_denorm_mode_32 3
		.amdhsa_float_denorm_mode_16_64 3
		.amdhsa_dx10_clamp 1
		.amdhsa_ieee_mode 1
		.amdhsa_fp16_overflow 0
		.amdhsa_tg_split 0
		.amdhsa_exception_fp_ieee_invalid_op 0
		.amdhsa_exception_fp_denorm_src 0
		.amdhsa_exception_fp_ieee_div_zero 0
		.amdhsa_exception_fp_ieee_overflow 0
		.amdhsa_exception_fp_ieee_underflow 0
		.amdhsa_exception_fp_ieee_inexact 0
		.amdhsa_exception_int_div_zero 0
	.end_amdhsa_kernel
	.section	.text._ZN9rocsparseL42csr2bsr_wavefront_per_row_multipass_kernelILj256ELj32ELj8EdllEEv20rocsparse_direction_T4_S2_S2_S2_S2_21rocsparse_index_base_PKT2_PKT3_PKS2_S3_PS4_PS7_PS2_,"axG",@progbits,_ZN9rocsparseL42csr2bsr_wavefront_per_row_multipass_kernelILj256ELj32ELj8EdllEEv20rocsparse_direction_T4_S2_S2_S2_S2_21rocsparse_index_base_PKT2_PKT3_PKS2_S3_PS4_PS7_PS2_,comdat
.Lfunc_end138:
	.size	_ZN9rocsparseL42csr2bsr_wavefront_per_row_multipass_kernelILj256ELj32ELj8EdllEEv20rocsparse_direction_T4_S2_S2_S2_S2_21rocsparse_index_base_PKT2_PKT3_PKS2_S3_PS4_PS7_PS2_, .Lfunc_end138-_ZN9rocsparseL42csr2bsr_wavefront_per_row_multipass_kernelILj256ELj32ELj8EdllEEv20rocsparse_direction_T4_S2_S2_S2_S2_21rocsparse_index_base_PKT2_PKT3_PKS2_S3_PS4_PS7_PS2_
                                        ; -- End function
	.section	.AMDGPU.csdata,"",@progbits
; Kernel info:
; codeLenInByte = 2424
; NumSgprs: 43
; NumVgprs: 48
; NumAgprs: 0
; TotalNumVgprs: 48
; ScratchSize: 0
; MemoryBound: 0
; FloatMode: 240
; IeeeMode: 1
; LDSByteSize: 4104 bytes/workgroup (compile time only)
; SGPRBlocks: 5
; VGPRBlocks: 5
; NumSGPRsForWavesPerEU: 43
; NumVGPRsForWavesPerEU: 48
; AccumOffset: 48
; Occupancy: 8
; WaveLimiterHint : 0
; COMPUTE_PGM_RSRC2:SCRATCH_EN: 0
; COMPUTE_PGM_RSRC2:USER_SGPR: 2
; COMPUTE_PGM_RSRC2:TRAP_HANDLER: 0
; COMPUTE_PGM_RSRC2:TGID_X_EN: 1
; COMPUTE_PGM_RSRC2:TGID_Y_EN: 0
; COMPUTE_PGM_RSRC2:TGID_Z_EN: 0
; COMPUTE_PGM_RSRC2:TIDIG_COMP_CNT: 0
; COMPUTE_PGM_RSRC3_GFX90A:ACCUM_OFFSET: 11
; COMPUTE_PGM_RSRC3_GFX90A:TG_SPLIT: 0
	.section	.text._ZN9rocsparseL42csr2bsr_wavefront_per_row_multipass_kernelILj256ELj64ELj16EdllEEv20rocsparse_direction_T4_S2_S2_S2_S2_21rocsparse_index_base_PKT2_PKT3_PKS2_S3_PS4_PS7_PS2_,"axG",@progbits,_ZN9rocsparseL42csr2bsr_wavefront_per_row_multipass_kernelILj256ELj64ELj16EdllEEv20rocsparse_direction_T4_S2_S2_S2_S2_21rocsparse_index_base_PKT2_PKT3_PKS2_S3_PS4_PS7_PS2_,comdat
	.globl	_ZN9rocsparseL42csr2bsr_wavefront_per_row_multipass_kernelILj256ELj64ELj16EdllEEv20rocsparse_direction_T4_S2_S2_S2_S2_21rocsparse_index_base_PKT2_PKT3_PKS2_S3_PS4_PS7_PS2_ ; -- Begin function _ZN9rocsparseL42csr2bsr_wavefront_per_row_multipass_kernelILj256ELj64ELj16EdllEEv20rocsparse_direction_T4_S2_S2_S2_S2_21rocsparse_index_base_PKT2_PKT3_PKS2_S3_PS4_PS7_PS2_
	.p2align	8
	.type	_ZN9rocsparseL42csr2bsr_wavefront_per_row_multipass_kernelILj256ELj64ELj16EdllEEv20rocsparse_direction_T4_S2_S2_S2_S2_21rocsparse_index_base_PKT2_PKT3_PKS2_S3_PS4_PS7_PS2_,@function
_ZN9rocsparseL42csr2bsr_wavefront_per_row_multipass_kernelILj256ELj64ELj16EdllEEv20rocsparse_direction_T4_S2_S2_S2_S2_21rocsparse_index_base_PKT2_PKT3_PKS2_S3_PS4_PS7_PS2_: ; @_ZN9rocsparseL42csr2bsr_wavefront_per_row_multipass_kernelILj256ELj64ELj16EdllEEv20rocsparse_direction_T4_S2_S2_S2_S2_21rocsparse_index_base_PKT2_PKT3_PKS2_S3_PS4_PS7_PS2_
; %bb.0:
	s_load_dwordx2 s[4:5], s[0:1], 0x8
	s_load_dwordx4 s[8:11], s[0:1], 0x18
	s_load_dwordx2 s[12:13], s[0:1], 0x28
	s_load_dword s33, s[0:1], 0x30
	s_load_dwordx2 s[6:7], s[0:1], 0x40
	s_ashr_i32 s3, s2, 31
	v_lshrrev_b32_e32 v40, 6, v0
	s_lshl_b64 s[14:15], s[2:3], 2
	v_bfe_u32 v10, v0, 2, 4
	v_mov_b32_e32 v11, 0
	v_or_b32_e32 v1, s14, v40
	s_waitcnt lgkmcnt(0)
	v_mul_lo_u32 v2, v1, s13
	v_mad_u64_u32 v[4:5], s[16:17], v1, s12, v[10:11]
	s_mul_i32 s3, s15, s12
	v_add3_u32 v5, s3, v5, v2
	v_cmp_gt_i64_e32 vcc, s[4:5], v[4:5]
	v_cmp_gt_i64_e64 s[4:5], s[12:13], v[10:11]
	v_mov_b64_e32 v[2:3], 0
	s_and_b64 s[14:15], s[4:5], vcc
	v_mov_b64_e32 v[24:25], v[2:3]
	s_and_saveexec_b64 s[16:17], s[14:15]
	s_cbranch_execz .LBB139_2
; %bb.1:
	v_lshl_add_u64 v[6:7], v[4:5], 3, s[6:7]
	global_load_dwordx2 v[6:7], v[6:7], off
	s_waitcnt vmcnt(0)
	v_subrev_co_u32_e32 v24, vcc, s33, v6
	s_nop 1
	v_subbrev_co_u32_e32 v25, vcc, 0, v7, vcc
.LBB139_2:
	s_or_b64 exec, exec, s[16:17]
	s_and_saveexec_b64 s[16:17], s[14:15]
	s_cbranch_execz .LBB139_4
; %bb.3:
	v_lshl_add_u64 v[2:3], v[4:5], 3, s[6:7]
	global_load_dwordx2 v[2:3], v[2:3], off offset:8
	s_waitcnt vmcnt(0)
	v_subrev_co_u32_e32 v2, vcc, s33, v2
	s_nop 1
	v_subbrev_co_u32_e32 v3, vcc, 0, v3, vcc
.LBB139_4:
	s_or_b64 exec, exec, s[16:17]
	s_load_dword s14, s[0:1], 0x50
	v_lshl_or_b32 v6, s2, 2, v40
	v_mov_b32_e32 v7, 0
	v_cmp_gt_i64_e32 vcc, s[8:9], v[6:7]
	v_mov_b64_e32 v[4:5], 0
	s_and_saveexec_b64 s[2:3], vcc
	s_cbranch_execz .LBB139_6
; %bb.5:
	s_load_dwordx2 s[6:7], s[0:1], 0x60
	s_waitcnt lgkmcnt(0)
	v_lshl_add_u64 v[4:5], v[6:7], 3, s[6:7]
	global_load_dwordx2 v[4:5], v[4:5], off
	s_waitcnt vmcnt(0)
	v_subrev_co_u32_e32 v4, vcc, s14, v4
	s_nop 1
	v_subbrev_co_u32_e32 v5, vcc, 0, v5, vcc
.LBB139_6:
	s_or_b64 exec, exec, s[2:3]
	v_cmp_lt_i64_e64 s[2:3], s[10:11], 1
	s_and_b64 vcc, exec, s[2:3]
	s_cbranch_vccnz .LBB139_44
; %bb.7:
	s_mul_i32 s2, s12, s13
	s_mul_hi_u32 s3, s12, s12
	s_add_i32 s3, s3, s2
	s_load_dwordx2 s[8:9], s[0:1], 0x68
	s_add_i32 s38, s3, s2
	s_load_dwordx2 s[2:3], s[0:1], 0x58
	s_load_dwordx2 s[16:17], s[0:1], 0x48
	s_load_dwordx2 s[18:19], s[0:1], 0x38
	s_load_dword s6, s[0:1], 0x0
	v_mad_u64_u32 v[12:13], s[0:1], v10, s12, 0
	v_lshlrev_b32_e32 v1, 8, v40
	v_mov_b32_e32 v14, v13
	v_lshlrev_b32_e32 v8, 3, v10
	v_lshl_or_b32 v41, v10, 4, v1
	v_mad_u64_u32 v[10:11], s[0:1], v10, s13, v[14:15]
	v_and_b32_e32 v0, 3, v0
	v_mov_b32_e32 v13, v10
	s_waitcnt lgkmcnt(0)
	v_lshl_add_u64 v[10:11], v[12:13], 3, s[2:3]
	v_mad_u64_u32 v[12:13], s[0:1], v0, s12, 0
	v_mov_b32_e32 v6, 0
	v_mov_b32_e32 v14, v13
	;; [unrolled: 1-line block ×3, first 2 shown]
	v_mad_u64_u32 v[14:15], s[0:1], v0, s13, v[14:15]
	v_or_b32_e32 v16, 4, v0
	v_lshl_add_u64 v[8:9], s[2:3], 0, v[8:9]
	v_mov_b32_e32 v13, v14
	v_mad_u64_u32 v[14:15], s[2:3], v16, s12, 0
	v_mov_b32_e32 v17, v6
	v_mov_b32_e32 v18, v15
	v_cmp_gt_u64_e64 s[0:1], s[12:13], v[16:17]
	v_mad_u64_u32 v[16:17], s[2:3], v16, s13, v[18:19]
	v_or_b32_e32 v18, 8, v0
	s_cmp_lg_u32 s6, 0
	v_mov_b32_e32 v15, v16
	v_mad_u64_u32 v[16:17], s[6:7], v18, s12, 0
	v_mov_b32_e32 v19, v6
	v_mov_b32_e32 v20, v17
	v_mbcnt_lo_u32_b32 v7, -1, 0
	v_cmp_gt_u64_e64 s[2:3], s[12:13], v[18:19]
	v_mad_u64_u32 v[18:19], s[6:7], v18, s13, v[20:21]
	v_or_b32_e32 v20, 12, v0
	v_mbcnt_hi_u32_b32 v7, -1, v7
	v_mov_b32_e32 v17, v18
	v_mad_u64_u32 v[18:19], s[22:23], v20, s12, 0
	s_mov_b32 s40, 0
	v_mov_b32_e32 v1, v6
	v_lshlrev_b32_e32 v7, 2, v7
	v_mov_b32_e32 v21, v6
	v_mov_b32_e32 v22, v19
	v_or_b32_e32 v42, 12, v7
	s_cselect_b64 s[20:21], -1, 0
	v_or_b32_e32 v43, 0xfc, v7
	v_or_b32_e32 v7, v41, v0
	v_cmp_gt_u64_e32 vcc, s[12:13], v[0:1]
	v_cmp_gt_u64_e64 s[6:7], s[12:13], v[20:21]
	v_mad_u64_u32 v[20:21], s[22:23], v20, s13, v[22:23]
	s_and_b64 s[24:25], s[4:5], s[0:1]
	s_mov_b32 s0, s40
	s_mov_b32 s1, s40
	s_mul_i32 s39, s12, s12
	s_mov_b32 s15, s40
	v_lshlrev_b32_e32 v44, 3, v7
	v_mov_b32_e32 v19, v20
	s_and_b64 s[22:23], s[4:5], vcc
	s_and_b64 s[2:3], s[4:5], s[2:3]
	s_and_b64 s[4:5], s[4:5], s[6:7]
	s_mov_b64 s[6:7], 0
	v_mov_b64_e32 v[26:27], 0
	v_mov_b64_e32 v[20:21], s[0:1]
	s_ashr_i32 s26, s13, 31
	v_mov_b32_e32 v45, 1
	s_branch .LBB139_11
.LBB139_8:                              ;   in Loop: Header=BB139_11 Depth=1
	v_mov_b64_e32 v[30:31], s[0:1]
.LBB139_9:                              ;   in Loop: Header=BB139_11 Depth=1
	s_or_b64 exec, exec, s[30:31]
.LBB139_10:                             ;   in Loop: Header=BB139_11 Depth=1
	s_or_b64 exec, exec, s[28:29]
	v_mov_b32_dpp v26, v22 row_shr:1 row_mask:0xf bank_mask:0xf
	v_mov_b32_dpp v27, v23 row_shr:1 row_mask:0xf bank_mask:0xf
	v_cmp_lt_i64_e32 vcc, v[26:27], v[22:23]
	v_lshl_add_u64 v[4:5], v[30:31], 0, v[4:5]
	s_waitcnt lgkmcnt(0)
	v_cndmask_b32_e32 v23, v23, v27, vcc
	v_cndmask_b32_e32 v22, v22, v26, vcc
	s_nop 0
	v_mov_b32_dpp v27, v23 row_shr:2 row_mask:0xf bank_mask:0xf
	v_mov_b32_dpp v26, v22 row_shr:2 row_mask:0xf bank_mask:0xf
	v_cmp_lt_i64_e32 vcc, v[26:27], v[22:23]
	s_nop 1
	v_cndmask_b32_e32 v23, v23, v27, vcc
	v_cndmask_b32_e32 v22, v22, v26, vcc
	s_nop 0
	v_mov_b32_dpp v27, v23 row_shr:4 row_mask:0xf bank_mask:0xe
	v_mov_b32_dpp v26, v22 row_shr:4 row_mask:0xf bank_mask:0xe
	v_cmp_lt_i64_e32 vcc, v[26:27], v[22:23]
	s_nop 1
	;; [unrolled: 7-line block ×3, first 2 shown]
	v_cndmask_b32_e32 v23, v23, v27, vcc
	v_cndmask_b32_e32 v22, v22, v26, vcc
	s_nop 0
	v_mov_b32_dpp v27, v23 row_bcast:15 row_mask:0xa bank_mask:0xf
	v_mov_b32_dpp v26, v22 row_bcast:15 row_mask:0xa bank_mask:0xf
	v_cmp_lt_i64_e32 vcc, v[26:27], v[22:23]
	s_nop 1
	v_cndmask_b32_e32 v23, v23, v27, vcc
	v_cndmask_b32_e32 v22, v22, v26, vcc
	s_nop 0
	v_mov_b32_dpp v27, v23 row_bcast:31 row_mask:0xc bank_mask:0xf
	v_mov_b32_dpp v26, v22 row_bcast:31 row_mask:0xc bank_mask:0xf
	v_cmp_lt_i64_e32 vcc, v[26:27], v[22:23]
	s_nop 1
	v_cndmask_b32_e32 v7, v23, v27, vcc
	v_cndmask_b32_e32 v22, v22, v26, vcc
	ds_bpermute_b32 v26, v43, v22
	ds_bpermute_b32 v27, v43, v7
	s_waitcnt lgkmcnt(0)
	v_cmp_le_i64_e32 vcc, s[10:11], v[26:27]
	s_or_b64 s[6:7], vcc, s[6:7]
	s_andn2_b64 exec, exec, s[6:7]
	s_cbranch_execz .LBB139_44
.LBB139_11:                             ; =>This Loop Header: Depth=1
                                        ;     Child Loop BB139_14 Depth 2
	v_lshl_add_u64 v[24:25], v[24:25], 0, v[0:1]
	v_cmp_lt_i64_e32 vcc, v[24:25], v[2:3]
	v_mov_b64_e32 v[22:23], s[10:11]
	v_mov_b64_e32 v[38:39], v[2:3]
	ds_write_b8 v40, v6 offset:8192
	ds_write2_b64 v44, v[20:21], v[20:21] offset1:4
	ds_write2_b64 v44, v[20:21], v[20:21] offset0:8 offset1:12
	s_waitcnt lgkmcnt(0)
	s_and_saveexec_b64 s[28:29], vcc
	s_cbranch_execz .LBB139_23
; %bb.12:                               ;   in Loop: Header=BB139_11 Depth=1
	v_lshlrev_b64 v[22:23], 3, v[24:25]
	v_mad_u64_u32 v[28:29], s[0:1], v26, s12, 0
	v_lshl_add_u64 v[30:31], s[18:19], 0, v[22:23]
	v_lshl_add_u64 v[32:33], s[16:17], 0, v[22:23]
	s_mov_b64 s[30:31], 0
	v_mov_b64_e32 v[22:23], s[10:11]
	v_mov_b64_e32 v[34:35], v[2:3]
	s_branch .LBB139_14
.LBB139_13:                             ;   in Loop: Header=BB139_14 Depth=2
	s_or_b64 exec, exec, s[0:1]
	v_lshl_add_u64 v[24:25], v[24:25], 0, 4
	v_cmp_ge_i64_e64 s[0:1], v[24:25], v[2:3]
	s_xor_b64 s[34:35], vcc, -1
	s_or_b64 s[0:1], s[34:35], s[0:1]
	s_and_b64 s[0:1], exec, s[0:1]
	v_lshl_add_u64 v[30:31], v[30:31], 0, 32
	v_lshl_add_u64 v[32:33], v[32:33], 0, 32
	s_or_b64 s[30:31], s[0:1], s[30:31]
	v_mov_b64_e32 v[34:35], v[38:39]
	s_andn2_b64 exec, exec, s[30:31]
	s_cbranch_execz .LBB139_22
.LBB139_14:                             ;   Parent Loop BB139_11 Depth=1
                                        ; =>  This Inner Loop Header: Depth=2
	global_load_dwordx2 v[36:37], v[32:33], off
	v_mov_b32_e32 v7, s40
                                        ; implicit-def: $vgpr38_vgpr39
	s_waitcnt vmcnt(0)
	v_subrev_co_u32_e32 v36, vcc, s33, v36
	s_nop 1
	v_subb_co_u32_e32 v37, vcc, v37, v7, vcc
	v_or_b32_e32 v7, s13, v37
	v_cmp_ne_u64_e32 vcc, 0, v[6:7]
	s_and_saveexec_b64 s[0:1], vcc
	s_xor_b64 s[34:35], exec, s[0:1]
	s_cbranch_execz .LBB139_16
; %bb.15:                               ;   in Loop: Header=BB139_14 Depth=2
	s_add_u32 s0, s12, s26
	s_mov_b32 s27, s26
	s_addc_u32 s1, s13, s26
	s_xor_b64 s[36:37], s[0:1], s[26:27]
	v_cvt_f32_u32_e32 v7, s36
	v_cvt_f32_u32_e32 v29, s37
	s_sub_u32 s0, 0, s36
	s_subb_u32 s1, 0, s37
	v_mov_b32_e32 v47, v6
	v_fmac_f32_e32 v7, 0x4f800000, v29
	v_rcp_f32_e32 v7, v7
	s_nop 0
	v_mul_f32_e32 v7, 0x5f7ffffc, v7
	v_mul_f32_e32 v29, 0x2f800000, v7
	v_trunc_f32_e32 v29, v29
	v_fmac_f32_e32 v7, 0xcf800000, v29
	v_cvt_u32_f32_e32 v29, v29
	v_cvt_u32_f32_e32 v7, v7
	v_mul_lo_u32 v38, s0, v29
	v_mul_hi_u32 v46, s0, v7
	v_mul_lo_u32 v39, s1, v7
	v_add_u32_e32 v38, v46, v38
	v_mul_lo_u32 v48, s0, v7
	v_add_u32_e32 v49, v38, v39
	v_mul_hi_u32 v39, v7, v49
	v_mul_lo_u32 v38, v7, v49
	v_mul_hi_u32 v46, v7, v48
	v_lshl_add_u64 v[38:39], v[46:47], 0, v[38:39]
	v_mul_hi_u32 v47, v29, v48
	v_mul_lo_u32 v48, v29, v48
	v_add_co_u32_e32 v38, vcc, v38, v48
	v_mul_hi_u32 v46, v29, v49
	s_nop 0
	v_addc_co_u32_e32 v38, vcc, v39, v47, vcc
	v_mov_b32_e32 v39, v6
	s_nop 0
	v_addc_co_u32_e32 v47, vcc, 0, v46, vcc
	v_mul_lo_u32 v46, v29, v49
	v_lshl_add_u64 v[38:39], v[38:39], 0, v[46:47]
	v_add_co_u32_e32 v7, vcc, v7, v38
	v_mul_lo_u32 v46, s0, v7
	s_nop 0
	v_addc_co_u32_e32 v29, vcc, v29, v39, vcc
	v_mul_lo_u32 v38, s0, v29
	v_mul_hi_u32 v39, s0, v7
	v_add_u32_e32 v38, v39, v38
	v_mul_lo_u32 v39, s1, v7
	v_add_u32_e32 v48, v38, v39
	v_mul_hi_u32 v50, v29, v46
	v_mul_lo_u32 v51, v29, v46
	v_mul_hi_u32 v39, v7, v48
	v_mul_lo_u32 v38, v7, v48
	v_mul_hi_u32 v46, v7, v46
	v_mov_b32_e32 v47, v6
	v_lshl_add_u64 v[38:39], v[46:47], 0, v[38:39]
	v_add_co_u32_e32 v38, vcc, v38, v51
	v_mul_hi_u32 v49, v29, v48
	s_nop 0
	v_addc_co_u32_e32 v38, vcc, v39, v50, vcc
	v_mul_lo_u32 v46, v29, v48
	s_nop 0
	v_addc_co_u32_e32 v47, vcc, 0, v49, vcc
	v_mov_b32_e32 v39, v6
	v_lshl_add_u64 v[38:39], v[38:39], 0, v[46:47]
	v_add_co_u32_e32 v7, vcc, v7, v38
	v_ashrrev_i32_e32 v38, 31, v37
	s_nop 0
	v_addc_co_u32_e32 v29, vcc, v29, v39, vcc
	v_mov_b32_e32 v39, v38
	v_lshl_add_u64 v[46:47], v[36:37], 0, v[38:39]
	v_xor_b32_e32 v39, v46, v38
	v_xor_b32_e32 v37, v47, v38
	v_mad_u64_u32 v[46:47], s[0:1], v39, v29, 0
	v_mul_hi_u32 v48, v39, v7
	v_mov_b32_e32 v49, v6
	v_lshl_add_u64 v[46:47], v[48:49], 0, v[46:47]
	v_mad_u64_u32 v[50:51], s[0:1], v37, v7, 0
	v_add_co_u32_e32 v7, vcc, v46, v50
	v_mad_u64_u32 v[48:49], s[0:1], v37, v29, 0
	s_nop 0
	v_addc_co_u32_e32 v46, vcc, v47, v51, vcc
	v_mov_b32_e32 v47, v6
	s_nop 0
	v_addc_co_u32_e32 v49, vcc, 0, v49, vcc
	v_lshl_add_u64 v[46:47], v[46:47], 0, v[48:49]
	v_mul_lo_u32 v7, s37, v46
	v_mul_lo_u32 v29, s36, v47
	v_mad_u64_u32 v[48:49], s[0:1], s36, v46, 0
	v_add3_u32 v7, v49, v29, v7
	v_sub_u32_e32 v29, v37, v7
	v_mov_b32_e32 v49, s37
	v_sub_co_u32_e32 v39, vcc, v39, v48
	v_lshl_add_u64 v[50:51], v[46:47], 0, 1
	s_nop 0
	v_subb_co_u32_e64 v29, s[0:1], v29, v49, vcc
	v_subrev_co_u32_e64 v48, s[0:1], s36, v39
	v_subb_co_u32_e32 v7, vcc, v37, v7, vcc
	s_nop 0
	v_subbrev_co_u32_e64 v29, s[0:1], 0, v29, s[0:1]
	v_cmp_le_u32_e64 s[0:1], s37, v29
	v_cmp_le_u32_e32 vcc, s37, v7
	s_nop 0
	v_cndmask_b32_e64 v49, 0, -1, s[0:1]
	v_cmp_le_u32_e64 s[0:1], s36, v48
	v_cndmask_b32_e64 v37, 0, -1, vcc
	v_cmp_le_u32_e32 vcc, s36, v39
	v_cndmask_b32_e64 v48, 0, -1, s[0:1]
	v_cmp_eq_u32_e64 s[0:1], s37, v29
	v_cndmask_b32_e64 v39, 0, -1, vcc
	v_cmp_eq_u32_e32 vcc, s37, v7
	v_cndmask_b32_e64 v29, v49, v48, s[0:1]
	v_lshl_add_u64 v[48:49], v[46:47], 0, 2
	v_cmp_ne_u32_e64 s[0:1], 0, v29
	v_cndmask_b32_e32 v7, v37, v39, vcc
	v_cmp_ne_u32_e32 vcc, 0, v7
	v_cndmask_b32_e64 v29, v51, v49, s[0:1]
	v_xor_b32_e32 v37, s26, v38
	v_cndmask_b32_e32 v7, v47, v29, vcc
	v_cndmask_b32_e64 v29, v50, v48, s[0:1]
	v_cndmask_b32_e32 v29, v46, v29, vcc
	v_xor_b32_e32 v29, v29, v37
	v_xor_b32_e32 v7, v7, v37
	v_sub_co_u32_e32 v38, vcc, v29, v37
	s_nop 1
	v_subb_co_u32_e32 v39, vcc, v7, v37, vcc
.LBB139_16:                             ;   in Loop: Header=BB139_14 Depth=2
	s_andn2_saveexec_b64 s[0:1], s[34:35]
	s_cbranch_execz .LBB139_18
; %bb.17:                               ;   in Loop: Header=BB139_14 Depth=2
	v_cvt_f32_u32_e32 v7, s12
	s_sub_i32 s27, 0, s12
	v_mov_b32_e32 v39, v6
	v_rcp_iflag_f32_e32 v7, v7
	s_nop 0
	v_mul_f32_e32 v7, 0x4f7ffffe, v7
	v_cvt_u32_f32_e32 v7, v7
	v_mul_lo_u32 v29, s27, v7
	v_mul_hi_u32 v29, v7, v29
	v_add_u32_e32 v7, v7, v29
	v_mul_hi_u32 v7, v36, v7
	v_mul_lo_u32 v29, v7, s12
	v_sub_u32_e32 v29, v36, v29
	v_add_u32_e32 v37, 1, v7
	v_subrev_u32_e32 v38, s12, v29
	v_cmp_le_u32_e32 vcc, s12, v29
	s_nop 1
	v_cndmask_b32_e32 v29, v29, v38, vcc
	v_cndmask_b32_e32 v7, v7, v37, vcc
	v_add_u32_e32 v37, 1, v7
	v_cmp_le_u32_e32 vcc, s12, v29
	s_nop 1
	v_cndmask_b32_e32 v38, v7, v37, vcc
.LBB139_18:                             ;   in Loop: Header=BB139_14 Depth=2
	s_or_b64 exec, exec, s[0:1]
	v_cmp_eq_u64_e32 vcc, v[38:39], v[26:27]
	v_cmp_ne_u64_e64 s[0:1], v[38:39], v[26:27]
	s_and_saveexec_b64 s[34:35], s[0:1]
	s_xor_b64 s[34:35], exec, s[34:35]
; %bb.19:                               ;   in Loop: Header=BB139_14 Depth=2
	v_cmp_lt_i64_e64 s[0:1], v[38:39], v[22:23]
                                        ; implicit-def: $vgpr36_vgpr37
                                        ; implicit-def: $vgpr34_vgpr35
	s_nop 1
	v_cndmask_b32_e64 v23, v23, v39, s[0:1]
	v_cndmask_b32_e64 v22, v22, v38, s[0:1]
; %bb.20:                               ;   in Loop: Header=BB139_14 Depth=2
	s_or_saveexec_b64 s[0:1], s[34:35]
	v_mov_b64_e32 v[38:39], v[24:25]
	s_xor_b64 exec, exec, s[0:1]
	s_cbranch_execz .LBB139_13
; %bb.21:                               ;   in Loop: Header=BB139_14 Depth=2
	global_load_dwordx2 v[38:39], v[30:31], off
	v_sub_u32_e32 v7, v36, v28
	v_add_lshl_u32 v7, v41, v7, 3
	ds_write_b8 v40, v45 offset:8192
	s_waitcnt vmcnt(0)
	ds_write_b64 v7, v[38:39]
	v_mov_b64_e32 v[38:39], v[34:35]
	s_branch .LBB139_13
.LBB139_22:                             ;   in Loop: Header=BB139_11 Depth=1
	s_or_b64 exec, exec, s[30:31]
.LBB139_23:                             ;   in Loop: Header=BB139_11 Depth=1
	s_or_b64 exec, exec, s[28:29]
	v_mov_b32_dpp v24, v38 row_shr:1 row_mask:0xf bank_mask:0xf
	v_mov_b32_dpp v25, v39 row_shr:1 row_mask:0xf bank_mask:0xf
	v_cmp_lt_i64_e32 vcc, v[24:25], v[38:39]
	s_waitcnt lgkmcnt(0)
	v_mov_b64_e32 v[30:31], 0
	v_cndmask_b32_e32 v25, v39, v25, vcc
	v_cndmask_b32_e32 v24, v38, v24, vcc
	s_nop 0
	v_mov_b32_dpp v29, v25 row_shr:2 row_mask:0xf bank_mask:0xf
	v_mov_b32_dpp v28, v24 row_shr:2 row_mask:0xf bank_mask:0xf
	v_cmp_lt_i64_e32 vcc, v[28:29], v[24:25]
	s_nop 1
	v_cndmask_b32_e32 v7, v25, v29, vcc
	ds_read_u8 v29, v40 offset:8192
	v_cndmask_b32_e32 v24, v24, v28, vcc
	ds_bpermute_b32 v24, v42, v24
	ds_bpermute_b32 v25, v42, v7
	s_waitcnt lgkmcnt(2)
	v_and_b32_e32 v7, 1, v29
	v_cmp_eq_u32_e32 vcc, 1, v7
	s_and_saveexec_b64 s[28:29], vcc
	s_cbranch_execz .LBB139_10
; %bb.24:                               ;   in Loop: Header=BB139_11 Depth=1
	v_lshl_add_u64 v[26:27], v[26:27], 0, s[14:15]
	v_lshl_add_u64 v[28:29], v[4:5], 3, s[8:9]
	global_store_dwordx2 v[28:29], v[26:27], off
	v_mul_lo_u32 v7, s38, v4
	v_mul_lo_u32 v28, s39, v5
	v_mad_u64_u32 v[26:27], s[0:1], s39, v4, 0
	v_add3_u32 v27, v27, v28, v7
	v_lshlrev_b64 v[26:27], 3, v[26:27]
	v_lshl_add_u64 v[28:29], v[8:9], 0, v[26:27]
	v_lshl_add_u64 v[26:27], v[10:11], 0, v[26:27]
	s_and_saveexec_b64 s[0:1], s[22:23]
	s_cbranch_execz .LBB139_28
; %bb.25:                               ;   in Loop: Header=BB139_11 Depth=1
	s_and_b64 vcc, exec, s[20:21]
	s_cbranch_vccz .LBB139_39
; %bb.26:                               ;   in Loop: Header=BB139_11 Depth=1
	ds_read_b64 v[30:31], v44
	v_lshl_add_u64 v[32:33], v[12:13], 3, v[28:29]
	s_waitcnt lgkmcnt(0)
	global_store_dwordx2 v[32:33], v[30:31], off
	s_cbranch_execnz .LBB139_28
.LBB139_27:                             ;   in Loop: Header=BB139_11 Depth=1
	ds_read_b64 v[30:31], v44
	v_lshlrev_b32_e32 v32, 3, v0
	v_mov_b32_e32 v33, v6
	v_lshl_add_u64 v[32:33], v[26:27], 0, v[32:33]
	s_waitcnt lgkmcnt(0)
	global_store_dwordx2 v[32:33], v[30:31], off
.LBB139_28:                             ;   in Loop: Header=BB139_11 Depth=1
	s_or_b64 exec, exec, s[0:1]
	v_cndmask_b32_e64 v7, 0, 1, s[20:21]
	v_cmp_ne_u32_e64 s[0:1], 1, v7
	s_and_saveexec_b64 s[30:31], s[24:25]
	s_cbranch_execz .LBB139_32
; %bb.29:                               ;   in Loop: Header=BB139_11 Depth=1
	s_and_b64 vcc, exec, s[0:1]
	s_cbranch_vccnz .LBB139_40
; %bb.30:                               ;   in Loop: Header=BB139_11 Depth=1
	ds_read_b64 v[30:31], v44 offset:32
	v_lshl_add_u64 v[32:33], v[14:15], 3, v[28:29]
	s_waitcnt lgkmcnt(0)
	global_store_dwordx2 v[32:33], v[30:31], off
	s_cbranch_execnz .LBB139_32
.LBB139_31:                             ;   in Loop: Header=BB139_11 Depth=1
	ds_read_b64 v[30:31], v44 offset:32
	v_lshlrev_b32_e32 v32, 3, v0
	v_mov_b32_e32 v33, v6
	v_lshl_add_u64 v[32:33], v[26:27], 0, v[32:33]
	s_waitcnt lgkmcnt(0)
	global_store_dwordx2 v[32:33], v[30:31], off offset:32
.LBB139_32:                             ;   in Loop: Header=BB139_11 Depth=1
	s_or_b64 exec, exec, s[30:31]
	s_and_saveexec_b64 s[30:31], s[2:3]
	s_cbranch_execz .LBB139_36
; %bb.33:                               ;   in Loop: Header=BB139_11 Depth=1
	s_and_b64 vcc, exec, s[0:1]
	s_cbranch_vccnz .LBB139_41
; %bb.34:                               ;   in Loop: Header=BB139_11 Depth=1
	ds_read_b64 v[30:31], v44 offset:64
	v_lshl_add_u64 v[32:33], v[16:17], 3, v[28:29]
	s_waitcnt lgkmcnt(0)
	global_store_dwordx2 v[32:33], v[30:31], off
	s_cbranch_execnz .LBB139_36
.LBB139_35:                             ;   in Loop: Header=BB139_11 Depth=1
	ds_read_b64 v[30:31], v44 offset:64
	v_lshlrev_b32_e32 v32, 3, v0
	v_mov_b32_e32 v33, v6
	v_lshl_add_u64 v[32:33], v[26:27], 0, v[32:33]
	s_waitcnt lgkmcnt(0)
	global_store_dwordx2 v[32:33], v[30:31], off offset:64
.LBB139_36:                             ;   in Loop: Header=BB139_11 Depth=1
	s_or_b64 exec, exec, s[30:31]
	v_mov_b64_e32 v[30:31], 1
	s_and_saveexec_b64 s[30:31], s[4:5]
	s_cbranch_execz .LBB139_9
; %bb.37:                               ;   in Loop: Header=BB139_11 Depth=1
	s_and_b64 vcc, exec, s[0:1]
	s_cbranch_vccnz .LBB139_42
; %bb.38:                               ;   in Loop: Header=BB139_11 Depth=1
	ds_read_b64 v[30:31], v44 offset:96
	v_lshl_add_u64 v[28:29], v[18:19], 3, v[28:29]
	s_mov_b64 s[0:1], 1
	s_waitcnt lgkmcnt(0)
	global_store_dwordx2 v[28:29], v[30:31], off
	s_cbranch_execnz .LBB139_8
	s_branch .LBB139_43
.LBB139_39:                             ;   in Loop: Header=BB139_11 Depth=1
	s_branch .LBB139_27
.LBB139_40:                             ;   in Loop: Header=BB139_11 Depth=1
	s_branch .LBB139_31
.LBB139_41:                             ;   in Loop: Header=BB139_11 Depth=1
	s_branch .LBB139_35
.LBB139_42:                             ;   in Loop: Header=BB139_11 Depth=1
                                        ; implicit-def: $sgpr0_sgpr1
.LBB139_43:                             ;   in Loop: Header=BB139_11 Depth=1
	ds_read_b64 v[28:29], v44 offset:96
	v_lshlrev_b32_e32 v30, 3, v0
	v_mov_b32_e32 v31, v6
	v_lshl_add_u64 v[26:27], v[26:27], 0, v[30:31]
	s_mov_b64 s[0:1], 1
	s_waitcnt lgkmcnt(0)
	global_store_dwordx2 v[26:27], v[28:29], off offset:96
	s_branch .LBB139_8
.LBB139_44:
	s_endpgm
	.section	.rodata,"a",@progbits
	.p2align	6, 0x0
	.amdhsa_kernel _ZN9rocsparseL42csr2bsr_wavefront_per_row_multipass_kernelILj256ELj64ELj16EdllEEv20rocsparse_direction_T4_S2_S2_S2_S2_21rocsparse_index_base_PKT2_PKT3_PKS2_S3_PS4_PS7_PS2_
		.amdhsa_group_segment_fixed_size 8200
		.amdhsa_private_segment_fixed_size 0
		.amdhsa_kernarg_size 112
		.amdhsa_user_sgpr_count 2
		.amdhsa_user_sgpr_dispatch_ptr 0
		.amdhsa_user_sgpr_queue_ptr 0
		.amdhsa_user_sgpr_kernarg_segment_ptr 1
		.amdhsa_user_sgpr_dispatch_id 0
		.amdhsa_user_sgpr_kernarg_preload_length 0
		.amdhsa_user_sgpr_kernarg_preload_offset 0
		.amdhsa_user_sgpr_private_segment_size 0
		.amdhsa_uses_dynamic_stack 0
		.amdhsa_enable_private_segment 0
		.amdhsa_system_sgpr_workgroup_id_x 1
		.amdhsa_system_sgpr_workgroup_id_y 0
		.amdhsa_system_sgpr_workgroup_id_z 0
		.amdhsa_system_sgpr_workgroup_info 0
		.amdhsa_system_vgpr_workitem_id 0
		.amdhsa_next_free_vgpr 52
		.amdhsa_next_free_sgpr 41
		.amdhsa_accum_offset 52
		.amdhsa_reserve_vcc 1
		.amdhsa_float_round_mode_32 0
		.amdhsa_float_round_mode_16_64 0
		.amdhsa_float_denorm_mode_32 3
		.amdhsa_float_denorm_mode_16_64 3
		.amdhsa_dx10_clamp 1
		.amdhsa_ieee_mode 1
		.amdhsa_fp16_overflow 0
		.amdhsa_tg_split 0
		.amdhsa_exception_fp_ieee_invalid_op 0
		.amdhsa_exception_fp_denorm_src 0
		.amdhsa_exception_fp_ieee_div_zero 0
		.amdhsa_exception_fp_ieee_overflow 0
		.amdhsa_exception_fp_ieee_underflow 0
		.amdhsa_exception_fp_ieee_inexact 0
		.amdhsa_exception_int_div_zero 0
	.end_amdhsa_kernel
	.section	.text._ZN9rocsparseL42csr2bsr_wavefront_per_row_multipass_kernelILj256ELj64ELj16EdllEEv20rocsparse_direction_T4_S2_S2_S2_S2_21rocsparse_index_base_PKT2_PKT3_PKS2_S3_PS4_PS7_PS2_,"axG",@progbits,_ZN9rocsparseL42csr2bsr_wavefront_per_row_multipass_kernelILj256ELj64ELj16EdllEEv20rocsparse_direction_T4_S2_S2_S2_S2_21rocsparse_index_base_PKT2_PKT3_PKS2_S3_PS4_PS7_PS2_,comdat
.Lfunc_end139:
	.size	_ZN9rocsparseL42csr2bsr_wavefront_per_row_multipass_kernelILj256ELj64ELj16EdllEEv20rocsparse_direction_T4_S2_S2_S2_S2_21rocsparse_index_base_PKT2_PKT3_PKS2_S3_PS4_PS7_PS2_, .Lfunc_end139-_ZN9rocsparseL42csr2bsr_wavefront_per_row_multipass_kernelILj256ELj64ELj16EdllEEv20rocsparse_direction_T4_S2_S2_S2_S2_21rocsparse_index_base_PKT2_PKT3_PKS2_S3_PS4_PS7_PS2_
                                        ; -- End function
	.section	.AMDGPU.csdata,"",@progbits
; Kernel info:
; codeLenInByte = 2752
; NumSgprs: 47
; NumVgprs: 52
; NumAgprs: 0
; TotalNumVgprs: 52
; ScratchSize: 0
; MemoryBound: 0
; FloatMode: 240
; IeeeMode: 1
; LDSByteSize: 8200 bytes/workgroup (compile time only)
; SGPRBlocks: 5
; VGPRBlocks: 6
; NumSGPRsForWavesPerEU: 47
; NumVGPRsForWavesPerEU: 52
; AccumOffset: 52
; Occupancy: 7
; WaveLimiterHint : 0
; COMPUTE_PGM_RSRC2:SCRATCH_EN: 0
; COMPUTE_PGM_RSRC2:USER_SGPR: 2
; COMPUTE_PGM_RSRC2:TRAP_HANDLER: 0
; COMPUTE_PGM_RSRC2:TGID_X_EN: 1
; COMPUTE_PGM_RSRC2:TGID_Y_EN: 0
; COMPUTE_PGM_RSRC2:TGID_Z_EN: 0
; COMPUTE_PGM_RSRC2:TIDIG_COMP_CNT: 0
; COMPUTE_PGM_RSRC3_GFX90A:ACCUM_OFFSET: 12
; COMPUTE_PGM_RSRC3_GFX90A:TG_SPLIT: 0
	.section	.text._ZN9rocsparseL42csr2bsr_wavefront_per_row_multipass_kernelILj256ELj32ELj16EdllEEv20rocsparse_direction_T4_S2_S2_S2_S2_21rocsparse_index_base_PKT2_PKT3_PKS2_S3_PS4_PS7_PS2_,"axG",@progbits,_ZN9rocsparseL42csr2bsr_wavefront_per_row_multipass_kernelILj256ELj32ELj16EdllEEv20rocsparse_direction_T4_S2_S2_S2_S2_21rocsparse_index_base_PKT2_PKT3_PKS2_S3_PS4_PS7_PS2_,comdat
	.globl	_ZN9rocsparseL42csr2bsr_wavefront_per_row_multipass_kernelILj256ELj32ELj16EdllEEv20rocsparse_direction_T4_S2_S2_S2_S2_21rocsparse_index_base_PKT2_PKT3_PKS2_S3_PS4_PS7_PS2_ ; -- Begin function _ZN9rocsparseL42csr2bsr_wavefront_per_row_multipass_kernelILj256ELj32ELj16EdllEEv20rocsparse_direction_T4_S2_S2_S2_S2_21rocsparse_index_base_PKT2_PKT3_PKS2_S3_PS4_PS7_PS2_
	.p2align	8
	.type	_ZN9rocsparseL42csr2bsr_wavefront_per_row_multipass_kernelILj256ELj32ELj16EdllEEv20rocsparse_direction_T4_S2_S2_S2_S2_21rocsparse_index_base_PKT2_PKT3_PKS2_S3_PS4_PS7_PS2_,@function
_ZN9rocsparseL42csr2bsr_wavefront_per_row_multipass_kernelILj256ELj32ELj16EdllEEv20rocsparse_direction_T4_S2_S2_S2_S2_21rocsparse_index_base_PKT2_PKT3_PKS2_S3_PS4_PS7_PS2_: ; @_ZN9rocsparseL42csr2bsr_wavefront_per_row_multipass_kernelILj256ELj32ELj16EdllEEv20rocsparse_direction_T4_S2_S2_S2_S2_21rocsparse_index_base_PKT2_PKT3_PKS2_S3_PS4_PS7_PS2_
; %bb.0:
	s_load_dwordx2 s[4:5], s[0:1], 0x8
	s_load_dwordx4 s[16:19], s[0:1], 0x18
	s_load_dwordx2 s[20:21], s[0:1], 0x28
	s_load_dword s33, s[0:1], 0x30
	s_load_dwordx2 s[6:7], s[0:1], 0x40
	s_ashr_i32 s3, s2, 31
	v_lshrrev_b32_e32 v48, 5, v0
	s_lshl_b64 s[8:9], s[2:3], 3
	v_bfe_u32 v10, v0, 1, 4
	v_mov_b32_e32 v11, 0
	v_or_b32_e32 v1, s8, v48
	s_waitcnt lgkmcnt(0)
	v_mul_lo_u32 v2, v1, s21
	v_mad_u64_u32 v[4:5], s[10:11], v1, s20, v[10:11]
	s_mul_i32 s3, s9, s20
	v_add3_u32 v5, s3, v5, v2
	v_cmp_gt_i64_e32 vcc, s[4:5], v[4:5]
	v_cmp_gt_i64_e64 s[4:5], s[20:21], v[10:11]
	v_mov_b64_e32 v[2:3], 0
	s_and_b64 s[8:9], s[4:5], vcc
	v_mov_b64_e32 v[32:33], v[2:3]
	s_and_saveexec_b64 s[10:11], s[8:9]
	s_cbranch_execz .LBB140_2
; %bb.1:
	v_lshl_add_u64 v[6:7], v[4:5], 3, s[6:7]
	global_load_dwordx2 v[6:7], v[6:7], off
	s_waitcnt vmcnt(0)
	v_subrev_co_u32_e32 v32, vcc, s33, v6
	s_nop 1
	v_subbrev_co_u32_e32 v33, vcc, 0, v7, vcc
.LBB140_2:
	s_or_b64 exec, exec, s[10:11]
	s_and_saveexec_b64 s[10:11], s[8:9]
	s_cbranch_execz .LBB140_4
; %bb.3:
	v_lshl_add_u64 v[2:3], v[4:5], 3, s[6:7]
	global_load_dwordx2 v[2:3], v[2:3], off offset:8
	s_waitcnt vmcnt(0)
	v_subrev_co_u32_e32 v2, vcc, s33, v2
	s_nop 1
	v_subbrev_co_u32_e32 v3, vcc, 0, v3, vcc
.LBB140_4:
	s_or_b64 exec, exec, s[10:11]
	s_load_dword s22, s[0:1], 0x50
	v_lshl_or_b32 v6, s2, 3, v48
	v_mov_b32_e32 v7, 0
	v_cmp_gt_i64_e32 vcc, s[16:17], v[6:7]
	v_mov_b64_e32 v[4:5], 0
	s_and_saveexec_b64 s[2:3], vcc
	s_cbranch_execz .LBB140_6
; %bb.5:
	s_load_dwordx2 s[6:7], s[0:1], 0x60
	s_waitcnt lgkmcnt(0)
	v_lshl_add_u64 v[4:5], v[6:7], 3, s[6:7]
	global_load_dwordx2 v[4:5], v[4:5], off
	s_waitcnt vmcnt(0)
	v_subrev_co_u32_e32 v4, vcc, s22, v4
	s_nop 1
	v_subbrev_co_u32_e32 v5, vcc, 0, v5, vcc
.LBB140_6:
	s_or_b64 exec, exec, s[2:3]
	v_cmp_lt_i64_e64 s[2:3], s[18:19], 1
	s_and_b64 vcc, exec, s[2:3]
	s_cbranch_vccnz .LBB140_64
; %bb.7:
	s_mul_i32 s2, s20, s21
	s_mul_hi_u32 s3, s20, s20
	s_add_i32 s3, s3, s2
	s_load_dwordx2 s[16:17], s[0:1], 0x68
	s_add_i32 s46, s3, s2
	s_load_dwordx2 s[2:3], s[0:1], 0x58
	s_load_dwordx2 s[24:25], s[0:1], 0x48
	;; [unrolled: 1-line block ×3, first 2 shown]
	s_load_dword s6, s[0:1], 0x0
	v_mad_u64_u32 v[12:13], s[0:1], v10, s20, 0
	v_lshlrev_b32_e32 v1, 8, v48
	v_mov_b32_e32 v14, v13
	v_lshlrev_b32_e32 v8, 3, v10
	v_mov_b32_e32 v6, 0
	v_and_b32_e32 v0, 1, v0
	v_lshl_or_b32 v49, v10, 4, v1
	v_mad_u64_u32 v[10:11], s[0:1], v10, s21, v[14:15]
	v_mov_b32_e32 v9, v6
	v_mov_b32_e32 v13, v10
	v_or_b32_e32 v16, 2, v0
	s_waitcnt lgkmcnt(0)
	v_lshl_add_u64 v[8:9], s[2:3], 0, v[8:9]
	v_lshl_add_u64 v[10:11], v[12:13], 3, s[2:3]
	v_mad_u64_u32 v[14:15], s[2:3], v16, s20, 0
	v_mov_b32_e32 v17, v6
	v_mov_b32_e32 v18, v15
	v_cmp_gt_u64_e64 s[0:1], s[20:21], v[16:17]
	v_mad_u64_u32 v[16:17], s[2:3], v16, s21, v[18:19]
	v_or_b32_e32 v18, 4, v0
	s_cmp_lg_u32 s6, 0
	v_mov_b32_e32 v15, v16
	v_mad_u64_u32 v[16:17], s[6:7], v18, s20, 0
	v_mov_b32_e32 v19, v6
	v_mov_b32_e32 v20, v17
	v_cmp_gt_u64_e64 s[2:3], s[20:21], v[18:19]
	v_mad_u64_u32 v[18:19], s[6:7], v18, s21, v[20:21]
	v_or_b32_e32 v20, 6, v0
	v_mov_b32_e32 v17, v18
	v_mad_u64_u32 v[18:19], s[8:9], v20, s20, 0
	v_mov_b32_e32 v21, v6
	v_mov_b32_e32 v22, v19
	v_cmp_gt_u64_e64 s[6:7], s[20:21], v[20:21]
	v_mad_u64_u32 v[20:21], s[8:9], v20, s21, v[22:23]
	v_or_b32_e32 v22, 8, v0
	;; [unrolled: 7-line block ×4, first 2 shown]
	v_mov_b32_e32 v23, v24
	v_mad_u64_u32 v[24:25], s[14:15], v26, s20, 0
	v_mov_b32_e32 v27, v6
	v_mov_b32_e32 v28, v25
	v_mbcnt_lo_u32_b32 v7, -1, 0
	v_cmp_gt_u64_e64 s[12:13], s[20:21], v[26:27]
	v_mad_u64_u32 v[26:27], s[14:15], v26, s21, v[28:29]
	v_or_b32_e32 v28, 14, v0
	v_mbcnt_hi_u32_b32 v7, -1, v7
	v_mov_b32_e32 v25, v26
	v_mad_u64_u32 v[26:27], s[30:31], v28, s20, 0
	s_mov_b32 s48, 0
	v_mov_b32_e32 v1, v6
	v_lshlrev_b32_e32 v7, 2, v7
	v_mov_b32_e32 v29, v6
	v_mov_b32_e32 v30, v27
	v_or_b32_e32 v50, 4, v7
	s_cselect_b64 s[28:29], -1, 0
	v_or_b32_e32 v51, 0x7c, v7
	v_or_b32_e32 v7, v49, v0
	v_cmp_gt_u64_e32 vcc, s[20:21], v[0:1]
	v_cmp_gt_u64_e64 s[14:15], s[20:21], v[28:29]
	v_mad_u64_u32 v[28:29], s[30:31], v28, s21, v[30:31]
	s_and_b64 s[34:35], s[4:5], s[0:1]
	s_mov_b32 s0, s48
	s_mov_b32 s1, s48
	s_mul_i32 s47, s20, s20
	s_mov_b32 s23, s48
	v_lshlrev_b32_e32 v52, 3, v7
	v_mul_lo_u32 v13, v0, s21
	v_mul_lo_u32 v12, v0, s20
	v_mov_b32_e32 v27, v28
	s_and_b64 s[30:31], s[4:5], vcc
	s_and_b64 s[2:3], s[4:5], s[2:3]
	s_and_b64 s[6:7], s[4:5], s[6:7]
	;; [unrolled: 1-line block ×6, first 2 shown]
	s_mov_b64 s[14:15], 0
	v_mov_b64_e32 v[34:35], 0
	v_mov_b64_e32 v[28:29], s[0:1]
	s_ashr_i32 s36, s21, 31
	v_mov_b32_e32 v53, 1
	s_branch .LBB140_11
.LBB140_8:                              ;   in Loop: Header=BB140_11 Depth=1
	v_mov_b64_e32 v[38:39], s[0:1]
.LBB140_9:                              ;   in Loop: Header=BB140_11 Depth=1
	s_or_b64 exec, exec, s[40:41]
.LBB140_10:                             ;   in Loop: Header=BB140_11 Depth=1
	s_or_b64 exec, exec, s[38:39]
	v_mov_b32_dpp v34, v30 row_shr:1 row_mask:0xf bank_mask:0xf
	v_mov_b32_dpp v35, v31 row_shr:1 row_mask:0xf bank_mask:0xf
	v_cmp_lt_i64_e32 vcc, v[34:35], v[30:31]
	v_lshl_add_u64 v[4:5], v[38:39], 0, v[4:5]
	s_waitcnt lgkmcnt(0)
	v_cndmask_b32_e32 v31, v31, v35, vcc
	v_cndmask_b32_e32 v30, v30, v34, vcc
	s_nop 0
	v_mov_b32_dpp v35, v31 row_shr:2 row_mask:0xf bank_mask:0xf
	v_mov_b32_dpp v34, v30 row_shr:2 row_mask:0xf bank_mask:0xf
	v_cmp_lt_i64_e32 vcc, v[34:35], v[30:31]
	s_nop 1
	v_cndmask_b32_e32 v31, v31, v35, vcc
	v_cndmask_b32_e32 v30, v30, v34, vcc
	s_nop 0
	v_mov_b32_dpp v35, v31 row_shr:4 row_mask:0xf bank_mask:0xe
	v_mov_b32_dpp v34, v30 row_shr:4 row_mask:0xf bank_mask:0xe
	v_cmp_lt_i64_e32 vcc, v[34:35], v[30:31]
	s_nop 1
	;; [unrolled: 7-line block ×3, first 2 shown]
	v_cndmask_b32_e32 v31, v31, v35, vcc
	v_cndmask_b32_e32 v30, v30, v34, vcc
	s_nop 0
	v_mov_b32_dpp v35, v31 row_bcast:15 row_mask:0xa bank_mask:0xf
	v_mov_b32_dpp v34, v30 row_bcast:15 row_mask:0xa bank_mask:0xf
	v_cmp_lt_i64_e32 vcc, v[34:35], v[30:31]
	s_nop 1
	v_cndmask_b32_e32 v7, v31, v35, vcc
	v_cndmask_b32_e32 v30, v30, v34, vcc
	ds_bpermute_b32 v34, v51, v30
	ds_bpermute_b32 v35, v51, v7
	s_waitcnt lgkmcnt(0)
	v_cmp_le_i64_e32 vcc, s[18:19], v[34:35]
	s_or_b64 s[14:15], vcc, s[14:15]
	s_andn2_b64 exec, exec, s[14:15]
	s_cbranch_execz .LBB140_64
.LBB140_11:                             ; =>This Loop Header: Depth=1
                                        ;     Child Loop BB140_14 Depth 2
	v_lshl_add_u64 v[32:33], v[32:33], 0, v[0:1]
	v_cmp_lt_i64_e32 vcc, v[32:33], v[2:3]
	v_mov_b64_e32 v[30:31], s[18:19]
	v_mov_b64_e32 v[46:47], v[2:3]
	ds_write_b8 v48, v6 offset:16384
	ds_write2_b64 v52, v[28:29], v[28:29] offset1:2
	ds_write2_b64 v52, v[28:29], v[28:29] offset0:4 offset1:6
	ds_write2_b64 v52, v[28:29], v[28:29] offset0:8 offset1:10
	;; [unrolled: 1-line block ×3, first 2 shown]
	s_waitcnt lgkmcnt(0)
	s_and_saveexec_b64 s[38:39], vcc
	s_cbranch_execz .LBB140_23
; %bb.12:                               ;   in Loop: Header=BB140_11 Depth=1
	v_lshlrev_b64 v[30:31], 3, v[32:33]
	v_mad_u64_u32 v[36:37], s[0:1], v34, s20, 0
	v_lshl_add_u64 v[38:39], s[26:27], 0, v[30:31]
	v_lshl_add_u64 v[40:41], s[24:25], 0, v[30:31]
	s_mov_b64 s[40:41], 0
	v_mov_b64_e32 v[30:31], s[18:19]
	v_mov_b64_e32 v[42:43], v[2:3]
	s_branch .LBB140_14
.LBB140_13:                             ;   in Loop: Header=BB140_14 Depth=2
	s_or_b64 exec, exec, s[0:1]
	v_lshl_add_u64 v[32:33], v[32:33], 0, 2
	v_cmp_ge_i64_e64 s[0:1], v[32:33], v[2:3]
	s_xor_b64 s[42:43], vcc, -1
	s_or_b64 s[0:1], s[42:43], s[0:1]
	s_and_b64 s[0:1], exec, s[0:1]
	v_lshl_add_u64 v[38:39], v[38:39], 0, 16
	v_lshl_add_u64 v[40:41], v[40:41], 0, 16
	s_or_b64 s[40:41], s[0:1], s[40:41]
	v_mov_b64_e32 v[42:43], v[46:47]
	s_andn2_b64 exec, exec, s[40:41]
	s_cbranch_execz .LBB140_22
.LBB140_14:                             ;   Parent Loop BB140_11 Depth=1
                                        ; =>  This Inner Loop Header: Depth=2
	global_load_dwordx2 v[44:45], v[40:41], off
	v_mov_b32_e32 v7, s48
                                        ; implicit-def: $vgpr46_vgpr47
	s_waitcnt vmcnt(0)
	v_subrev_co_u32_e32 v44, vcc, s33, v44
	s_nop 1
	v_subb_co_u32_e32 v45, vcc, v45, v7, vcc
	v_or_b32_e32 v7, s21, v45
	v_cmp_ne_u64_e32 vcc, 0, v[6:7]
	s_and_saveexec_b64 s[0:1], vcc
	s_xor_b64 s[42:43], exec, s[0:1]
	s_cbranch_execz .LBB140_16
; %bb.15:                               ;   in Loop: Header=BB140_14 Depth=2
	s_add_u32 s0, s20, s36
	s_mov_b32 s37, s36
	s_addc_u32 s1, s21, s36
	s_xor_b64 s[44:45], s[0:1], s[36:37]
	v_cvt_f32_u32_e32 v7, s44
	v_cvt_f32_u32_e32 v37, s45
	s_sub_u32 s0, 0, s44
	s_subb_u32 s1, 0, s45
	v_mov_b32_e32 v55, v6
	v_fmac_f32_e32 v7, 0x4f800000, v37
	v_rcp_f32_e32 v7, v7
	s_nop 0
	v_mul_f32_e32 v7, 0x5f7ffffc, v7
	v_mul_f32_e32 v37, 0x2f800000, v7
	v_trunc_f32_e32 v37, v37
	v_fmac_f32_e32 v7, 0xcf800000, v37
	v_cvt_u32_f32_e32 v37, v37
	v_cvt_u32_f32_e32 v7, v7
	v_mul_lo_u32 v46, s0, v37
	v_mul_hi_u32 v54, s0, v7
	v_mul_lo_u32 v47, s1, v7
	v_add_u32_e32 v46, v54, v46
	v_mul_lo_u32 v56, s0, v7
	v_add_u32_e32 v57, v46, v47
	v_mul_hi_u32 v47, v7, v57
	v_mul_lo_u32 v46, v7, v57
	v_mul_hi_u32 v54, v7, v56
	v_lshl_add_u64 v[46:47], v[54:55], 0, v[46:47]
	v_mul_hi_u32 v55, v37, v56
	v_mul_lo_u32 v56, v37, v56
	v_add_co_u32_e32 v46, vcc, v46, v56
	v_mul_hi_u32 v54, v37, v57
	s_nop 0
	v_addc_co_u32_e32 v46, vcc, v47, v55, vcc
	v_mov_b32_e32 v47, v6
	s_nop 0
	v_addc_co_u32_e32 v55, vcc, 0, v54, vcc
	v_mul_lo_u32 v54, v37, v57
	v_lshl_add_u64 v[46:47], v[46:47], 0, v[54:55]
	v_add_co_u32_e32 v7, vcc, v7, v46
	v_mul_lo_u32 v54, s0, v7
	s_nop 0
	v_addc_co_u32_e32 v37, vcc, v37, v47, vcc
	v_mul_lo_u32 v46, s0, v37
	v_mul_hi_u32 v47, s0, v7
	v_add_u32_e32 v46, v47, v46
	v_mul_lo_u32 v47, s1, v7
	v_add_u32_e32 v56, v46, v47
	v_mul_hi_u32 v58, v37, v54
	v_mul_lo_u32 v59, v37, v54
	v_mul_hi_u32 v47, v7, v56
	v_mul_lo_u32 v46, v7, v56
	v_mul_hi_u32 v54, v7, v54
	v_mov_b32_e32 v55, v6
	v_lshl_add_u64 v[46:47], v[54:55], 0, v[46:47]
	v_add_co_u32_e32 v46, vcc, v46, v59
	v_mul_hi_u32 v57, v37, v56
	s_nop 0
	v_addc_co_u32_e32 v46, vcc, v47, v58, vcc
	v_mul_lo_u32 v54, v37, v56
	s_nop 0
	v_addc_co_u32_e32 v55, vcc, 0, v57, vcc
	v_mov_b32_e32 v47, v6
	v_lshl_add_u64 v[46:47], v[46:47], 0, v[54:55]
	v_add_co_u32_e32 v7, vcc, v7, v46
	v_ashrrev_i32_e32 v46, 31, v45
	s_nop 0
	v_addc_co_u32_e32 v37, vcc, v37, v47, vcc
	v_mov_b32_e32 v47, v46
	v_lshl_add_u64 v[54:55], v[44:45], 0, v[46:47]
	v_xor_b32_e32 v47, v54, v46
	v_xor_b32_e32 v45, v55, v46
	v_mad_u64_u32 v[54:55], s[0:1], v47, v37, 0
	v_mul_hi_u32 v56, v47, v7
	v_mov_b32_e32 v57, v6
	v_lshl_add_u64 v[54:55], v[56:57], 0, v[54:55]
	v_mad_u64_u32 v[58:59], s[0:1], v45, v7, 0
	v_add_co_u32_e32 v7, vcc, v54, v58
	v_mad_u64_u32 v[56:57], s[0:1], v45, v37, 0
	s_nop 0
	v_addc_co_u32_e32 v54, vcc, v55, v59, vcc
	v_mov_b32_e32 v55, v6
	s_nop 0
	v_addc_co_u32_e32 v57, vcc, 0, v57, vcc
	v_lshl_add_u64 v[54:55], v[54:55], 0, v[56:57]
	v_mul_lo_u32 v7, s45, v54
	v_mul_lo_u32 v37, s44, v55
	v_mad_u64_u32 v[56:57], s[0:1], s44, v54, 0
	v_add3_u32 v7, v57, v37, v7
	v_sub_u32_e32 v37, v45, v7
	v_mov_b32_e32 v57, s45
	v_sub_co_u32_e32 v47, vcc, v47, v56
	v_lshl_add_u64 v[58:59], v[54:55], 0, 1
	s_nop 0
	v_subb_co_u32_e64 v37, s[0:1], v37, v57, vcc
	v_subrev_co_u32_e64 v56, s[0:1], s44, v47
	v_subb_co_u32_e32 v7, vcc, v45, v7, vcc
	s_nop 0
	v_subbrev_co_u32_e64 v37, s[0:1], 0, v37, s[0:1]
	v_cmp_le_u32_e64 s[0:1], s45, v37
	v_cmp_le_u32_e32 vcc, s45, v7
	s_nop 0
	v_cndmask_b32_e64 v57, 0, -1, s[0:1]
	v_cmp_le_u32_e64 s[0:1], s44, v56
	v_cndmask_b32_e64 v45, 0, -1, vcc
	v_cmp_le_u32_e32 vcc, s44, v47
	v_cndmask_b32_e64 v56, 0, -1, s[0:1]
	v_cmp_eq_u32_e64 s[0:1], s45, v37
	v_cndmask_b32_e64 v47, 0, -1, vcc
	v_cmp_eq_u32_e32 vcc, s45, v7
	v_cndmask_b32_e64 v37, v57, v56, s[0:1]
	v_lshl_add_u64 v[56:57], v[54:55], 0, 2
	v_cmp_ne_u32_e64 s[0:1], 0, v37
	v_cndmask_b32_e32 v7, v45, v47, vcc
	v_cmp_ne_u32_e32 vcc, 0, v7
	v_cndmask_b32_e64 v37, v59, v57, s[0:1]
	v_xor_b32_e32 v45, s36, v46
	v_cndmask_b32_e32 v7, v55, v37, vcc
	v_cndmask_b32_e64 v37, v58, v56, s[0:1]
	v_cndmask_b32_e32 v37, v54, v37, vcc
	v_xor_b32_e32 v37, v37, v45
	v_xor_b32_e32 v7, v7, v45
	v_sub_co_u32_e32 v46, vcc, v37, v45
	s_nop 1
	v_subb_co_u32_e32 v47, vcc, v7, v45, vcc
.LBB140_16:                             ;   in Loop: Header=BB140_14 Depth=2
	s_andn2_saveexec_b64 s[0:1], s[42:43]
	s_cbranch_execz .LBB140_18
; %bb.17:                               ;   in Loop: Header=BB140_14 Depth=2
	v_cvt_f32_u32_e32 v7, s20
	s_sub_i32 s37, 0, s20
	v_mov_b32_e32 v47, v6
	v_rcp_iflag_f32_e32 v7, v7
	s_nop 0
	v_mul_f32_e32 v7, 0x4f7ffffe, v7
	v_cvt_u32_f32_e32 v7, v7
	v_mul_lo_u32 v37, s37, v7
	v_mul_hi_u32 v37, v7, v37
	v_add_u32_e32 v7, v7, v37
	v_mul_hi_u32 v7, v44, v7
	v_mul_lo_u32 v37, v7, s20
	v_sub_u32_e32 v37, v44, v37
	v_add_u32_e32 v45, 1, v7
	v_subrev_u32_e32 v46, s20, v37
	v_cmp_le_u32_e32 vcc, s20, v37
	s_nop 1
	v_cndmask_b32_e32 v37, v37, v46, vcc
	v_cndmask_b32_e32 v7, v7, v45, vcc
	v_add_u32_e32 v45, 1, v7
	v_cmp_le_u32_e32 vcc, s20, v37
	s_nop 1
	v_cndmask_b32_e32 v46, v7, v45, vcc
.LBB140_18:                             ;   in Loop: Header=BB140_14 Depth=2
	s_or_b64 exec, exec, s[0:1]
	v_cmp_eq_u64_e32 vcc, v[46:47], v[34:35]
	v_cmp_ne_u64_e64 s[0:1], v[46:47], v[34:35]
	s_and_saveexec_b64 s[42:43], s[0:1]
	s_xor_b64 s[42:43], exec, s[42:43]
; %bb.19:                               ;   in Loop: Header=BB140_14 Depth=2
	v_cmp_lt_i64_e64 s[0:1], v[46:47], v[30:31]
                                        ; implicit-def: $vgpr44_vgpr45
                                        ; implicit-def: $vgpr42_vgpr43
	s_nop 1
	v_cndmask_b32_e64 v31, v31, v47, s[0:1]
	v_cndmask_b32_e64 v30, v30, v46, s[0:1]
; %bb.20:                               ;   in Loop: Header=BB140_14 Depth=2
	s_or_saveexec_b64 s[0:1], s[42:43]
	v_mov_b64_e32 v[46:47], v[32:33]
	s_xor_b64 exec, exec, s[0:1]
	s_cbranch_execz .LBB140_13
; %bb.21:                               ;   in Loop: Header=BB140_14 Depth=2
	global_load_dwordx2 v[46:47], v[38:39], off
	v_sub_u32_e32 v7, v44, v36
	v_add_lshl_u32 v7, v49, v7, 3
	ds_write_b8 v48, v53 offset:16384
	s_waitcnt vmcnt(0)
	ds_write_b64 v7, v[46:47]
	v_mov_b64_e32 v[46:47], v[42:43]
	s_branch .LBB140_13
.LBB140_22:                             ;   in Loop: Header=BB140_11 Depth=1
	s_or_b64 exec, exec, s[40:41]
.LBB140_23:                             ;   in Loop: Header=BB140_11 Depth=1
	s_or_b64 exec, exec, s[38:39]
	v_mov_b32_dpp v32, v46 row_shr:1 row_mask:0xf bank_mask:0xf
	v_mov_b32_dpp v33, v47 row_shr:1 row_mask:0xf bank_mask:0xf
	s_waitcnt lgkmcnt(0)
	v_cmp_lt_i64_e32 vcc, v[32:33], v[46:47]
	ds_read_u8 v36, v48 offset:16384
	v_mov_b64_e32 v[38:39], 0
	v_cndmask_b32_e32 v7, v47, v33, vcc
	v_cndmask_b32_e32 v32, v46, v32, vcc
	ds_bpermute_b32 v32, v50, v32
	ds_bpermute_b32 v33, v50, v7
	s_waitcnt lgkmcnt(2)
	v_and_b32_e32 v7, 1, v36
	v_cmp_eq_u32_e32 vcc, 1, v7
	s_and_saveexec_b64 s[38:39], vcc
	s_cbranch_execz .LBB140_10
; %bb.24:                               ;   in Loop: Header=BB140_11 Depth=1
	v_lshl_add_u64 v[34:35], v[34:35], 0, s[22:23]
	v_lshl_add_u64 v[36:37], v[4:5], 3, s[16:17]
	global_store_dwordx2 v[36:37], v[34:35], off
	v_mul_lo_u32 v7, s46, v4
	v_mul_lo_u32 v36, s47, v5
	v_mad_u64_u32 v[34:35], s[0:1], s47, v4, 0
	v_add3_u32 v35, v35, v36, v7
	v_lshlrev_b64 v[34:35], 3, v[34:35]
	v_lshl_add_u64 v[36:37], v[8:9], 0, v[34:35]
	v_lshl_add_u64 v[34:35], v[10:11], 0, v[34:35]
	s_and_saveexec_b64 s[0:1], s[30:31]
	s_cbranch_execz .LBB140_28
; %bb.25:                               ;   in Loop: Header=BB140_11 Depth=1
	s_and_b64 vcc, exec, s[28:29]
	s_cbranch_vccz .LBB140_55
; %bb.26:                               ;   in Loop: Header=BB140_11 Depth=1
	ds_read_b64 v[38:39], v52
	v_lshl_add_u64 v[40:41], v[12:13], 3, v[36:37]
	s_waitcnt lgkmcnt(0)
	global_store_dwordx2 v[40:41], v[38:39], off
	s_cbranch_execnz .LBB140_28
.LBB140_27:                             ;   in Loop: Header=BB140_11 Depth=1
	ds_read_b64 v[38:39], v52
	v_lshlrev_b32_e32 v40, 3, v0
	v_mov_b32_e32 v41, v6
	v_lshl_add_u64 v[40:41], v[34:35], 0, v[40:41]
	s_waitcnt lgkmcnt(0)
	global_store_dwordx2 v[40:41], v[38:39], off
.LBB140_28:                             ;   in Loop: Header=BB140_11 Depth=1
	s_or_b64 exec, exec, s[0:1]
	v_cndmask_b32_e64 v7, 0, 1, s[28:29]
	v_cmp_ne_u32_e64 s[0:1], 1, v7
	s_and_saveexec_b64 s[40:41], s[34:35]
	s_cbranch_execz .LBB140_32
; %bb.29:                               ;   in Loop: Header=BB140_11 Depth=1
	s_and_b64 vcc, exec, s[0:1]
	s_cbranch_vccnz .LBB140_56
; %bb.30:                               ;   in Loop: Header=BB140_11 Depth=1
	ds_read_b64 v[38:39], v52 offset:16
	v_lshl_add_u64 v[40:41], v[14:15], 3, v[36:37]
	s_waitcnt lgkmcnt(0)
	global_store_dwordx2 v[40:41], v[38:39], off
	s_cbranch_execnz .LBB140_32
.LBB140_31:                             ;   in Loop: Header=BB140_11 Depth=1
	ds_read_b64 v[38:39], v52 offset:16
	v_lshlrev_b32_e32 v40, 3, v0
	v_mov_b32_e32 v41, v6
	v_lshl_add_u64 v[40:41], v[34:35], 0, v[40:41]
	s_waitcnt lgkmcnt(0)
	global_store_dwordx2 v[40:41], v[38:39], off offset:16
.LBB140_32:                             ;   in Loop: Header=BB140_11 Depth=1
	s_or_b64 exec, exec, s[40:41]
	s_and_saveexec_b64 s[40:41], s[2:3]
	s_cbranch_execz .LBB140_36
; %bb.33:                               ;   in Loop: Header=BB140_11 Depth=1
	s_and_b64 vcc, exec, s[0:1]
	s_cbranch_vccnz .LBB140_57
; %bb.34:                               ;   in Loop: Header=BB140_11 Depth=1
	ds_read_b64 v[38:39], v52 offset:32
	v_lshl_add_u64 v[40:41], v[16:17], 3, v[36:37]
	s_waitcnt lgkmcnt(0)
	global_store_dwordx2 v[40:41], v[38:39], off
	s_cbranch_execnz .LBB140_36
.LBB140_35:                             ;   in Loop: Header=BB140_11 Depth=1
	ds_read_b64 v[38:39], v52 offset:32
	v_lshlrev_b32_e32 v40, 3, v0
	v_mov_b32_e32 v41, v6
	v_lshl_add_u64 v[40:41], v[34:35], 0, v[40:41]
	s_waitcnt lgkmcnt(0)
	global_store_dwordx2 v[40:41], v[38:39], off offset:32
.LBB140_36:                             ;   in Loop: Header=BB140_11 Depth=1
	s_or_b64 exec, exec, s[40:41]
	s_and_saveexec_b64 s[40:41], s[6:7]
	s_cbranch_execz .LBB140_40
; %bb.37:                               ;   in Loop: Header=BB140_11 Depth=1
	s_and_b64 vcc, exec, s[0:1]
	s_cbranch_vccnz .LBB140_58
; %bb.38:                               ;   in Loop: Header=BB140_11 Depth=1
	ds_read_b64 v[38:39], v52 offset:48
	v_lshl_add_u64 v[40:41], v[18:19], 3, v[36:37]
	s_waitcnt lgkmcnt(0)
	global_store_dwordx2 v[40:41], v[38:39], off
	s_cbranch_execnz .LBB140_40
.LBB140_39:                             ;   in Loop: Header=BB140_11 Depth=1
	ds_read_b64 v[38:39], v52 offset:48
	v_lshlrev_b32_e32 v40, 3, v0
	v_mov_b32_e32 v41, v6
	v_lshl_add_u64 v[40:41], v[34:35], 0, v[40:41]
	s_waitcnt lgkmcnt(0)
	global_store_dwordx2 v[40:41], v[38:39], off offset:48
.LBB140_40:                             ;   in Loop: Header=BB140_11 Depth=1
	s_or_b64 exec, exec, s[40:41]
	s_and_saveexec_b64 s[40:41], s[8:9]
	s_cbranch_execz .LBB140_44
; %bb.41:                               ;   in Loop: Header=BB140_11 Depth=1
	s_and_b64 vcc, exec, s[0:1]
	s_cbranch_vccnz .LBB140_59
; %bb.42:                               ;   in Loop: Header=BB140_11 Depth=1
	ds_read_b64 v[38:39], v52 offset:64
	v_lshl_add_u64 v[40:41], v[20:21], 3, v[36:37]
	s_waitcnt lgkmcnt(0)
	global_store_dwordx2 v[40:41], v[38:39], off
	s_cbranch_execnz .LBB140_44
.LBB140_43:                             ;   in Loop: Header=BB140_11 Depth=1
	ds_read_b64 v[38:39], v52 offset:64
	v_lshlrev_b32_e32 v40, 3, v0
	v_mov_b32_e32 v41, v6
	v_lshl_add_u64 v[40:41], v[34:35], 0, v[40:41]
	s_waitcnt lgkmcnt(0)
	global_store_dwordx2 v[40:41], v[38:39], off offset:64
.LBB140_44:                             ;   in Loop: Header=BB140_11 Depth=1
	s_or_b64 exec, exec, s[40:41]
	s_and_saveexec_b64 s[40:41], s[10:11]
	s_cbranch_execz .LBB140_48
; %bb.45:                               ;   in Loop: Header=BB140_11 Depth=1
	s_and_b64 vcc, exec, s[0:1]
	s_cbranch_vccnz .LBB140_60
; %bb.46:                               ;   in Loop: Header=BB140_11 Depth=1
	ds_read_b64 v[38:39], v52 offset:80
	v_lshl_add_u64 v[40:41], v[22:23], 3, v[36:37]
	s_waitcnt lgkmcnt(0)
	global_store_dwordx2 v[40:41], v[38:39], off
	s_cbranch_execnz .LBB140_48
.LBB140_47:                             ;   in Loop: Header=BB140_11 Depth=1
	ds_read_b64 v[38:39], v52 offset:80
	v_lshlrev_b32_e32 v40, 3, v0
	v_mov_b32_e32 v41, v6
	v_lshl_add_u64 v[40:41], v[34:35], 0, v[40:41]
	s_waitcnt lgkmcnt(0)
	global_store_dwordx2 v[40:41], v[38:39], off offset:80
.LBB140_48:                             ;   in Loop: Header=BB140_11 Depth=1
	s_or_b64 exec, exec, s[40:41]
	s_and_saveexec_b64 s[40:41], s[12:13]
	s_cbranch_execz .LBB140_52
; %bb.49:                               ;   in Loop: Header=BB140_11 Depth=1
	s_and_b64 vcc, exec, s[0:1]
	s_cbranch_vccnz .LBB140_61
; %bb.50:                               ;   in Loop: Header=BB140_11 Depth=1
	ds_read_b64 v[38:39], v52 offset:96
	v_lshl_add_u64 v[40:41], v[24:25], 3, v[36:37]
	s_waitcnt lgkmcnt(0)
	global_store_dwordx2 v[40:41], v[38:39], off
	s_cbranch_execnz .LBB140_52
.LBB140_51:                             ;   in Loop: Header=BB140_11 Depth=1
	ds_read_b64 v[38:39], v52 offset:96
	v_lshlrev_b32_e32 v40, 3, v0
	v_mov_b32_e32 v41, v6
	v_lshl_add_u64 v[40:41], v[34:35], 0, v[40:41]
	s_waitcnt lgkmcnt(0)
	global_store_dwordx2 v[40:41], v[38:39], off offset:96
.LBB140_52:                             ;   in Loop: Header=BB140_11 Depth=1
	s_or_b64 exec, exec, s[40:41]
	v_mov_b64_e32 v[38:39], 1
	s_and_saveexec_b64 s[40:41], s[4:5]
	s_cbranch_execz .LBB140_9
; %bb.53:                               ;   in Loop: Header=BB140_11 Depth=1
	s_and_b64 vcc, exec, s[0:1]
	s_cbranch_vccnz .LBB140_62
; %bb.54:                               ;   in Loop: Header=BB140_11 Depth=1
	ds_read_b64 v[38:39], v52 offset:112
	v_lshl_add_u64 v[36:37], v[26:27], 3, v[36:37]
	s_mov_b64 s[0:1], 1
	s_waitcnt lgkmcnt(0)
	global_store_dwordx2 v[36:37], v[38:39], off
	s_cbranch_execnz .LBB140_8
	s_branch .LBB140_63
.LBB140_55:                             ;   in Loop: Header=BB140_11 Depth=1
	s_branch .LBB140_27
.LBB140_56:                             ;   in Loop: Header=BB140_11 Depth=1
	s_branch .LBB140_31
.LBB140_57:                             ;   in Loop: Header=BB140_11 Depth=1
	s_branch .LBB140_35
.LBB140_58:                             ;   in Loop: Header=BB140_11 Depth=1
	s_branch .LBB140_39
.LBB140_59:                             ;   in Loop: Header=BB140_11 Depth=1
	s_branch .LBB140_43
.LBB140_60:                             ;   in Loop: Header=BB140_11 Depth=1
	s_branch .LBB140_47
.LBB140_61:                             ;   in Loop: Header=BB140_11 Depth=1
	s_branch .LBB140_51
.LBB140_62:                             ;   in Loop: Header=BB140_11 Depth=1
                                        ; implicit-def: $sgpr0_sgpr1
.LBB140_63:                             ;   in Loop: Header=BB140_11 Depth=1
	ds_read_b64 v[36:37], v52 offset:112
	v_lshlrev_b32_e32 v38, 3, v0
	v_mov_b32_e32 v39, v6
	v_lshl_add_u64 v[34:35], v[34:35], 0, v[38:39]
	s_mov_b64 s[0:1], 1
	s_waitcnt lgkmcnt(0)
	global_store_dwordx2 v[34:35], v[36:37], off offset:112
	s_branch .LBB140_8
.LBB140_64:
	s_endpgm
	.section	.rodata,"a",@progbits
	.p2align	6, 0x0
	.amdhsa_kernel _ZN9rocsparseL42csr2bsr_wavefront_per_row_multipass_kernelILj256ELj32ELj16EdllEEv20rocsparse_direction_T4_S2_S2_S2_S2_21rocsparse_index_base_PKT2_PKT3_PKS2_S3_PS4_PS7_PS2_
		.amdhsa_group_segment_fixed_size 16392
		.amdhsa_private_segment_fixed_size 0
		.amdhsa_kernarg_size 112
		.amdhsa_user_sgpr_count 2
		.amdhsa_user_sgpr_dispatch_ptr 0
		.amdhsa_user_sgpr_queue_ptr 0
		.amdhsa_user_sgpr_kernarg_segment_ptr 1
		.amdhsa_user_sgpr_dispatch_id 0
		.amdhsa_user_sgpr_kernarg_preload_length 0
		.amdhsa_user_sgpr_kernarg_preload_offset 0
		.amdhsa_user_sgpr_private_segment_size 0
		.amdhsa_uses_dynamic_stack 0
		.amdhsa_enable_private_segment 0
		.amdhsa_system_sgpr_workgroup_id_x 1
		.amdhsa_system_sgpr_workgroup_id_y 0
		.amdhsa_system_sgpr_workgroup_id_z 0
		.amdhsa_system_sgpr_workgroup_info 0
		.amdhsa_system_vgpr_workitem_id 0
		.amdhsa_next_free_vgpr 60
		.amdhsa_next_free_sgpr 49
		.amdhsa_accum_offset 60
		.amdhsa_reserve_vcc 1
		.amdhsa_float_round_mode_32 0
		.amdhsa_float_round_mode_16_64 0
		.amdhsa_float_denorm_mode_32 3
		.amdhsa_float_denorm_mode_16_64 3
		.amdhsa_dx10_clamp 1
		.amdhsa_ieee_mode 1
		.amdhsa_fp16_overflow 0
		.amdhsa_tg_split 0
		.amdhsa_exception_fp_ieee_invalid_op 0
		.amdhsa_exception_fp_denorm_src 0
		.amdhsa_exception_fp_ieee_div_zero 0
		.amdhsa_exception_fp_ieee_overflow 0
		.amdhsa_exception_fp_ieee_underflow 0
		.amdhsa_exception_fp_ieee_inexact 0
		.amdhsa_exception_int_div_zero 0
	.end_amdhsa_kernel
	.section	.text._ZN9rocsparseL42csr2bsr_wavefront_per_row_multipass_kernelILj256ELj32ELj16EdllEEv20rocsparse_direction_T4_S2_S2_S2_S2_21rocsparse_index_base_PKT2_PKT3_PKS2_S3_PS4_PS7_PS2_,"axG",@progbits,_ZN9rocsparseL42csr2bsr_wavefront_per_row_multipass_kernelILj256ELj32ELj16EdllEEv20rocsparse_direction_T4_S2_S2_S2_S2_21rocsparse_index_base_PKT2_PKT3_PKS2_S3_PS4_PS7_PS2_,comdat
.Lfunc_end140:
	.size	_ZN9rocsparseL42csr2bsr_wavefront_per_row_multipass_kernelILj256ELj32ELj16EdllEEv20rocsparse_direction_T4_S2_S2_S2_S2_21rocsparse_index_base_PKT2_PKT3_PKS2_S3_PS4_PS7_PS2_, .Lfunc_end140-_ZN9rocsparseL42csr2bsr_wavefront_per_row_multipass_kernelILj256ELj32ELj16EdllEEv20rocsparse_direction_T4_S2_S2_S2_S2_21rocsparse_index_base_PKT2_PKT3_PKS2_S3_PS4_PS7_PS2_
                                        ; -- End function
	.section	.AMDGPU.csdata,"",@progbits
; Kernel info:
; codeLenInByte = 3232
; NumSgprs: 55
; NumVgprs: 60
; NumAgprs: 0
; TotalNumVgprs: 60
; ScratchSize: 0
; MemoryBound: 0
; FloatMode: 240
; IeeeMode: 1
; LDSByteSize: 16392 bytes/workgroup (compile time only)
; SGPRBlocks: 6
; VGPRBlocks: 7
; NumSGPRsForWavesPerEU: 55
; NumVGPRsForWavesPerEU: 60
; AccumOffset: 60
; Occupancy: 3
; WaveLimiterHint : 0
; COMPUTE_PGM_RSRC2:SCRATCH_EN: 0
; COMPUTE_PGM_RSRC2:USER_SGPR: 2
; COMPUTE_PGM_RSRC2:TRAP_HANDLER: 0
; COMPUTE_PGM_RSRC2:TGID_X_EN: 1
; COMPUTE_PGM_RSRC2:TGID_Y_EN: 0
; COMPUTE_PGM_RSRC2:TGID_Z_EN: 0
; COMPUTE_PGM_RSRC2:TIDIG_COMP_CNT: 0
; COMPUTE_PGM_RSRC3_GFX90A:ACCUM_OFFSET: 14
; COMPUTE_PGM_RSRC3_GFX90A:TG_SPLIT: 0
	.section	.text._ZN9rocsparseL38csr2bsr_block_per_row_multipass_kernelILj256ELj32EdllEEv20rocsparse_direction_T3_S2_S2_S2_S2_21rocsparse_index_base_PKT1_PKT2_PKS2_S3_PS4_PS7_PS2_,"axG",@progbits,_ZN9rocsparseL38csr2bsr_block_per_row_multipass_kernelILj256ELj32EdllEEv20rocsparse_direction_T3_S2_S2_S2_S2_21rocsparse_index_base_PKT1_PKT2_PKS2_S3_PS4_PS7_PS2_,comdat
	.globl	_ZN9rocsparseL38csr2bsr_block_per_row_multipass_kernelILj256ELj32EdllEEv20rocsparse_direction_T3_S2_S2_S2_S2_21rocsparse_index_base_PKT1_PKT2_PKS2_S3_PS4_PS7_PS2_ ; -- Begin function _ZN9rocsparseL38csr2bsr_block_per_row_multipass_kernelILj256ELj32EdllEEv20rocsparse_direction_T3_S2_S2_S2_S2_21rocsparse_index_base_PKT1_PKT2_PKS2_S3_PS4_PS7_PS2_
	.p2align	8
	.type	_ZN9rocsparseL38csr2bsr_block_per_row_multipass_kernelILj256ELj32EdllEEv20rocsparse_direction_T3_S2_S2_S2_S2_21rocsparse_index_base_PKT1_PKT2_PKS2_S3_PS4_PS7_PS2_,@function
_ZN9rocsparseL38csr2bsr_block_per_row_multipass_kernelILj256ELj32EdllEEv20rocsparse_direction_T3_S2_S2_S2_S2_21rocsparse_index_base_PKT1_PKT2_PKS2_S3_PS4_PS7_PS2_: ; @_ZN9rocsparseL38csr2bsr_block_per_row_multipass_kernelILj256ELj32EdllEEv20rocsparse_direction_T3_S2_S2_S2_S2_21rocsparse_index_base_PKT1_PKT2_PKS2_S3_PS4_PS7_PS2_
; %bb.0:
	s_load_dwordx2 s[6:7], s[0:1], 0x8
	s_load_dwordx4 s[20:23], s[0:1], 0x20
	s_load_dword s33, s[0:1], 0x30
	s_load_dwordx2 s[4:5], s[0:1], 0x40
	s_ashr_i32 s3, s2, 31
	v_lshrrev_b32_e32 v10, 3, v0
	v_mov_b32_e32 v11, 0
	s_waitcnt lgkmcnt(0)
	s_mul_i32 s8, s2, s23
	s_mul_i32 s9, s3, s22
	v_mov_b32_e32 v1, s22
	s_add_i32 s10, s8, s9
	v_mad_u64_u32 v[4:5], s[8:9], s2, v1, v[10:11]
	v_add_u32_e32 v5, s10, v5
	v_cmp_gt_i64_e32 vcc, s[6:7], v[4:5]
	v_cmp_gt_i64_e64 s[18:19], s[22:23], v[10:11]
	v_mov_b64_e32 v[2:3], 0
	s_and_b64 s[6:7], s[18:19], vcc
	v_mov_b64_e32 v[20:21], v[2:3]
	s_and_saveexec_b64 s[8:9], s[6:7]
	s_cbranch_execnz .LBB141_3
; %bb.1:
	s_or_b64 exec, exec, s[8:9]
	s_and_saveexec_b64 s[8:9], s[6:7]
	s_cbranch_execnz .LBB141_4
.LBB141_2:
	s_or_b64 exec, exec, s[8:9]
	v_cmp_lt_i64_e64 s[4:5], s[20:21], 1
	s_and_b64 vcc, exec, s[4:5]
	s_cbranch_vccz .LBB141_5
	s_branch .LBB141_45
.LBB141_3:
	v_lshl_add_u64 v[6:7], v[4:5], 3, s[4:5]
	global_load_dwordx2 v[6:7], v[6:7], off
	s_waitcnt vmcnt(0)
	v_subrev_co_u32_e32 v20, vcc, s33, v6
	s_nop 1
	v_subbrev_co_u32_e32 v21, vcc, 0, v7, vcc
	s_or_b64 exec, exec, s[8:9]
	s_and_saveexec_b64 s[8:9], s[6:7]
	s_cbranch_execz .LBB141_2
.LBB141_4:
	v_lshl_add_u64 v[2:3], v[4:5], 3, s[4:5]
	global_load_dwordx2 v[2:3], v[2:3], off offset:8
	s_waitcnt vmcnt(0)
	v_subrev_co_u32_e32 v2, vcc, s33, v2
	s_nop 1
	v_subbrev_co_u32_e32 v3, vcc, 0, v3, vcc
	s_or_b64 exec, exec, s[8:9]
	v_cmp_lt_i64_e64 s[4:5], s[20:21], 1
	s_and_b64 vcc, exec, s[4:5]
	s_cbranch_vccnz .LBB141_45
.LBB141_5:
	s_load_dwordx2 s[24:25], s[0:1], 0x68
	s_load_dwordx4 s[4:7], s[0:1], 0x58
	s_load_dword s58, s[0:1], 0x50
	s_mul_i32 s8, s22, s23
	s_mul_hi_u32 s9, s22, s22
	s_add_i32 s9, s9, s8
	s_add_i32 s60, s9, s8
	s_lshl_b64 s[2:3], s[2:3], 3
	s_waitcnt lgkmcnt(0)
	s_add_u32 s2, s6, s2
	s_addc_u32 s3, s7, s3
	s_load_dwordx2 s[6:7], s[2:3], 0x0
	s_load_dwordx2 s[26:27], s[0:1], 0x48
	;; [unrolled: 1-line block ×3, first 2 shown]
	s_load_dword s8, s[0:1], 0x0
	v_mad_u64_u32 v[12:13], s[2:3], v10, s22, 0
	v_mov_b32_e32 v14, v13
	v_lshlrev_b32_e32 v6, 3, v10
	v_mov_b32_e32 v4, 0
	s_waitcnt lgkmcnt(0)
	s_sub_u32 s30, s6, s58
	v_lshlrev_b32_e32 v34, 5, v10
	v_mad_u64_u32 v[10:11], s[2:3], v10, s23, v[14:15]
	v_mov_b32_e32 v7, v4
	v_and_b32_e32 v8, 7, v0
	s_subb_u32 s31, s7, 0
	v_mbcnt_lo_u32_b32 v1, -1, 0
	v_mov_b32_e32 v13, v10
	s_movk_i32 s2, 0x80
	v_lshl_add_u64 v[6:7], s[4:5], 0, v[6:7]
	v_mbcnt_hi_u32_b32 v1, -1, v1
	s_cmp_eq_u32 s8, 0
	v_lshl_add_u64 v[10:11], v[12:13], 3, s[4:5]
	v_lshlrev_b32_e32 v36, 3, v0
	v_cmp_gt_u32_e64 s[2:3], s2, v0
	v_cmp_gt_u32_e64 s[4:5], 64, v0
	v_cmp_gt_u32_e64 s[6:7], 32, v0
	v_cmp_gt_u32_e64 s[8:9], 16, v0
	v_cmp_gt_u32_e64 s[10:11], 8, v0
	v_cmp_gt_u32_e64 s[12:13], 4, v0
	v_cmp_gt_u32_e64 s[14:15], 2, v0
	v_cmp_eq_u32_e64 s[16:17], 0, v0
	v_or_b32_e32 v0, v34, v8
	v_lshl_or_b32 v35, v1, 2, 28
	v_lshlrev_b32_e32 v12, 3, v8
	v_mov_b32_e32 v13, v4
	v_lshlrev_b32_e32 v37, 3, v0
	v_mad_u64_u32 v[0:1], s[36:37], v8, s22, 0
	v_lshl_add_u64 v[10:11], v[10:11], 0, v[12:13]
	v_mov_b32_e32 v12, v1
	v_mad_u64_u32 v[12:13], s[36:37], v8, s23, v[12:13]
	v_or_b32_e32 v14, 8, v8
	v_mov_b32_e32 v9, v4
	v_mov_b32_e32 v1, v12
	v_mad_u64_u32 v[12:13], s[38:39], v14, s22, 0
	v_cmp_gt_i64_e32 vcc, s[22:23], v[8:9]
	v_mov_b32_e32 v15, v4
	v_mov_b32_e32 v16, v13
	s_cselect_b64 s[0:1], -1, 0
	s_and_b64 s[34:35], s[18:19], vcc
	v_cmp_gt_i64_e32 vcc, s[22:23], v[14:15]
	v_mad_u64_u32 v[14:15], s[38:39], v14, s23, v[16:17]
	v_or_b32_e32 v16, 16, v8
	v_mov_b32_e32 v13, v14
	v_mad_u64_u32 v[14:15], s[40:41], v16, s22, 0
	v_mov_b32_e32 v17, v4
	v_mov_b32_e32 v18, v15
	s_and_b64 s[36:37], s[18:19], vcc
	v_cmp_gt_i64_e32 vcc, s[22:23], v[16:17]
	v_mad_u64_u32 v[16:17], s[40:41], v16, s23, v[18:19]
	v_or_b32_e32 v18, 24, v8
	v_mov_b32_e32 v19, v4
	s_and_b64 s[38:39], s[18:19], vcc
	v_cmp_gt_i64_e32 vcc, s[22:23], v[18:19]
	v_mov_b32_e32 v15, v16
	s_and_b64 s[40:41], s[18:19], vcc
	v_mad_u64_u32 v[16:17], s[18:19], v18, s22, 0
	v_mov_b32_e32 v22, v17
	s_mov_b32 s59, 0
	v_mad_u64_u32 v[18:19], s[18:19], v18, s23, v[22:23]
	s_mov_b32 s18, s59
	s_mov_b32 s19, s59
	s_mul_i32 s61, s22, s22
	v_mov_b32_e32 v17, v18
	s_mov_b64 s[46:47], 0
	v_mov_b64_e32 v[18:19], s[18:19]
	s_mov_b64 s[42:43], 0x80
	s_mov_b64 s[44:45], 0xc0
	v_mov_b32_e32 v38, 1
	s_branch .LBB141_7
.LBB141_6:                              ;   in Loop: Header=BB141_7 Depth=1
	s_or_b64 exec, exec, s[46:47]
	s_waitcnt lgkmcnt(0)
	s_barrier
	ds_read_b64 v[22:23], v4
	s_add_u32 s30, s18, s30
	s_addc_u32 s31, s19, s31
	s_waitcnt lgkmcnt(0)
	s_barrier
	v_cmp_gt_i64_e32 vcc, s[20:21], v[22:23]
	v_readfirstlane_b32 s46, v22
	v_readfirstlane_b32 s47, v23
	s_cbranch_vccz .LBB141_45
.LBB141_7:                              ; =>This Loop Header: Depth=1
                                        ;     Child Loop BB141_10 Depth 2
	v_lshl_add_u64 v[20:21], v[20:21], 0, v[8:9]
	v_cmp_lt_i64_e32 vcc, v[20:21], v[2:3]
	v_mov_b64_e32 v[22:23], s[20:21]
	v_mov_b64_e32 v[32:33], v[2:3]
	ds_write_b8 v4, v4 offset:8192
	ds_write2_b64 v37, v[18:19], v[18:19] offset1:8
	ds_write2_b64 v37, v[18:19], v[18:19] offset0:16 offset1:24
	s_waitcnt lgkmcnt(0)
	s_barrier
	s_and_saveexec_b64 s[48:49], vcc
	s_cbranch_execz .LBB141_19
; %bb.8:                                ;   in Loop: Header=BB141_7 Depth=1
	v_lshlrev_b64 v[22:23], 3, v[20:21]
	s_mul_i32 s62, s46, s22
	v_lshl_add_u64 v[24:25], s[28:29], 0, v[22:23]
	v_lshl_add_u64 v[26:27], s[26:27], 0, v[22:23]
	s_mov_b64 s[50:51], 0
	v_mov_b64_e32 v[22:23], s[20:21]
	v_mov_b64_e32 v[28:29], v[2:3]
	s_branch .LBB141_10
.LBB141_9:                              ;   in Loop: Header=BB141_10 Depth=2
	s_or_b64 exec, exec, s[18:19]
	v_lshl_add_u64 v[20:21], v[20:21], 0, 8
	v_cmp_ge_i64_e64 s[18:19], v[20:21], v[2:3]
	s_xor_b64 s[52:53], vcc, -1
	s_or_b64 s[18:19], s[52:53], s[18:19]
	s_and_b64 s[18:19], exec, s[18:19]
	v_lshl_add_u64 v[24:25], v[24:25], 0, 64
	v_lshl_add_u64 v[26:27], v[26:27], 0, 64
	s_or_b64 s[50:51], s[18:19], s[50:51]
	v_mov_b64_e32 v[28:29], v[32:33]
	s_andn2_b64 exec, exec, s[50:51]
	s_cbranch_execz .LBB141_18
.LBB141_10:                             ;   Parent Loop BB141_7 Depth=1
                                        ; =>  This Inner Loop Header: Depth=2
	global_load_dwordx2 v[30:31], v[26:27], off
	v_mov_b32_e32 v5, s59
                                        ; implicit-def: $vgpr32_vgpr33
	s_waitcnt vmcnt(0)
	v_subrev_co_u32_e32 v30, vcc, s33, v30
	s_nop 1
	v_subb_co_u32_e32 v31, vcc, v31, v5, vcc
	v_or_b32_e32 v5, s23, v31
	v_cmp_ne_u64_e32 vcc, 0, v[4:5]
	s_and_saveexec_b64 s[18:19], vcc
	s_xor_b64 s[52:53], exec, s[18:19]
	s_cbranch_execz .LBB141_12
; %bb.11:                               ;   in Loop: Header=BB141_10 Depth=2
	s_ashr_i32 s54, s23, 31
	s_add_u32 s18, s22, s54
	s_mov_b32 s55, s54
	s_addc_u32 s19, s23, s54
	s_xor_b64 s[56:57], s[18:19], s[54:55]
	v_cvt_f32_u32_e32 v5, s56
	v_cvt_f32_u32_e32 v32, s57
	s_sub_u32 s18, 0, s56
	s_subb_u32 s19, 0, s57
	v_mov_b32_e32 v41, v4
	v_fmac_f32_e32 v5, 0x4f800000, v32
	v_rcp_f32_e32 v5, v5
	s_nop 0
	v_mul_f32_e32 v5, 0x5f7ffffc, v5
	v_mul_f32_e32 v32, 0x2f800000, v5
	v_trunc_f32_e32 v32, v32
	v_fmac_f32_e32 v5, 0xcf800000, v32
	v_cvt_u32_f32_e32 v39, v32
	v_cvt_u32_f32_e32 v5, v5
	v_mul_lo_u32 v32, s18, v39
	v_mul_hi_u32 v40, s18, v5
	v_mul_lo_u32 v33, s19, v5
	v_add_u32_e32 v32, v40, v32
	v_mul_lo_u32 v42, s18, v5
	v_add_u32_e32 v43, v32, v33
	v_mul_hi_u32 v33, v5, v43
	v_mul_lo_u32 v32, v5, v43
	v_mul_hi_u32 v40, v5, v42
	v_lshl_add_u64 v[32:33], v[40:41], 0, v[32:33]
	v_mul_hi_u32 v41, v39, v42
	v_mul_lo_u32 v42, v39, v42
	v_add_co_u32_e32 v32, vcc, v32, v42
	v_mul_hi_u32 v40, v39, v43
	s_nop 0
	v_addc_co_u32_e32 v32, vcc, v33, v41, vcc
	v_mov_b32_e32 v33, v4
	s_nop 0
	v_addc_co_u32_e32 v41, vcc, 0, v40, vcc
	v_mul_lo_u32 v40, v39, v43
	v_lshl_add_u64 v[32:33], v[32:33], 0, v[40:41]
	v_add_co_u32_e32 v5, vcc, v5, v32
	v_mul_lo_u32 v40, s18, v5
	s_nop 0
	v_addc_co_u32_e32 v39, vcc, v39, v33, vcc
	v_mul_lo_u32 v32, s18, v39
	v_mul_hi_u32 v33, s18, v5
	v_add_u32_e32 v32, v33, v32
	v_mul_lo_u32 v33, s19, v5
	v_add_u32_e32 v42, v32, v33
	v_mul_hi_u32 v44, v39, v40
	v_mul_lo_u32 v45, v39, v40
	v_mul_hi_u32 v33, v5, v42
	v_mul_lo_u32 v32, v5, v42
	v_mul_hi_u32 v40, v5, v40
	v_mov_b32_e32 v41, v4
	v_lshl_add_u64 v[32:33], v[40:41], 0, v[32:33]
	v_add_co_u32_e32 v32, vcc, v32, v45
	v_mul_hi_u32 v43, v39, v42
	s_nop 0
	v_addc_co_u32_e32 v32, vcc, v33, v44, vcc
	v_mul_lo_u32 v40, v39, v42
	s_nop 0
	v_addc_co_u32_e32 v41, vcc, 0, v43, vcc
	v_mov_b32_e32 v33, v4
	v_lshl_add_u64 v[32:33], v[32:33], 0, v[40:41]
	v_add_co_u32_e32 v5, vcc, v5, v32
	v_ashrrev_i32_e32 v32, 31, v31
	s_nop 0
	v_addc_co_u32_e32 v39, vcc, v39, v33, vcc
	v_mov_b32_e32 v33, v32
	v_lshl_add_u64 v[40:41], v[30:31], 0, v[32:33]
	v_xor_b32_e32 v33, v40, v32
	v_xor_b32_e32 v31, v41, v32
	v_mad_u64_u32 v[40:41], s[18:19], v33, v39, 0
	v_mul_hi_u32 v42, v33, v5
	v_mov_b32_e32 v43, v4
	v_lshl_add_u64 v[40:41], v[42:43], 0, v[40:41]
	v_mad_u64_u32 v[44:45], s[18:19], v31, v5, 0
	v_add_co_u32_e32 v5, vcc, v40, v44
	v_mad_u64_u32 v[42:43], s[18:19], v31, v39, 0
	s_nop 0
	v_addc_co_u32_e32 v40, vcc, v41, v45, vcc
	v_mov_b32_e32 v41, v4
	s_nop 0
	v_addc_co_u32_e32 v43, vcc, 0, v43, vcc
	v_lshl_add_u64 v[40:41], v[40:41], 0, v[42:43]
	v_mul_lo_u32 v5, s57, v40
	v_mul_lo_u32 v39, s56, v41
	v_mad_u64_u32 v[42:43], s[18:19], s56, v40, 0
	v_add3_u32 v5, v43, v39, v5
	v_sub_u32_e32 v39, v31, v5
	v_mov_b32_e32 v43, s57
	v_sub_co_u32_e32 v33, vcc, v33, v42
	v_lshl_add_u64 v[44:45], v[40:41], 0, 1
	s_nop 0
	v_subb_co_u32_e64 v39, s[18:19], v39, v43, vcc
	v_subrev_co_u32_e64 v42, s[18:19], s56, v33
	v_subb_co_u32_e32 v5, vcc, v31, v5, vcc
	s_nop 0
	v_subbrev_co_u32_e64 v39, s[18:19], 0, v39, s[18:19]
	v_cmp_le_u32_e64 s[18:19], s57, v39
	v_cmp_le_u32_e32 vcc, s57, v5
	s_nop 0
	v_cndmask_b32_e64 v43, 0, -1, s[18:19]
	v_cmp_le_u32_e64 s[18:19], s56, v42
	v_cndmask_b32_e64 v31, 0, -1, vcc
	v_cmp_le_u32_e32 vcc, s56, v33
	v_cndmask_b32_e64 v42, 0, -1, s[18:19]
	v_cmp_eq_u32_e64 s[18:19], s57, v39
	v_cndmask_b32_e64 v33, 0, -1, vcc
	v_cmp_eq_u32_e32 vcc, s57, v5
	v_cndmask_b32_e64 v39, v43, v42, s[18:19]
	v_lshl_add_u64 v[42:43], v[40:41], 0, 2
	v_cmp_ne_u32_e64 s[18:19], 0, v39
	v_cndmask_b32_e32 v5, v31, v33, vcc
	v_cmp_ne_u32_e32 vcc, 0, v5
	v_cndmask_b32_e64 v31, v44, v42, s[18:19]
	v_cndmask_b32_e64 v39, v45, v43, s[18:19]
	v_cndmask_b32_e32 v31, v40, v31, vcc
	v_xor_b32_e32 v33, s54, v32
	v_cndmask_b32_e32 v5, v41, v39, vcc
	v_xor_b32_e32 v31, v31, v33
	v_xor_b32_e32 v5, v5, v33
	v_sub_co_u32_e32 v32, vcc, v31, v33
	s_nop 1
	v_subb_co_u32_e32 v33, vcc, v5, v33, vcc
.LBB141_12:                             ;   in Loop: Header=BB141_10 Depth=2
	s_andn2_saveexec_b64 s[18:19], s[52:53]
	s_cbranch_execz .LBB141_14
; %bb.13:                               ;   in Loop: Header=BB141_10 Depth=2
	v_cvt_f32_u32_e32 v5, s22
	s_sub_i32 s52, 0, s22
	v_rcp_iflag_f32_e32 v5, v5
	s_nop 0
	v_mul_f32_e32 v5, 0x4f7ffffe, v5
	v_cvt_u32_f32_e32 v5, v5
	v_mul_lo_u32 v31, s52, v5
	v_mul_hi_u32 v31, v5, v31
	v_add_u32_e32 v5, v5, v31
	v_mul_hi_u32 v5, v30, v5
	v_mul_lo_u32 v31, v5, s22
	v_sub_u32_e32 v31, v30, v31
	v_add_u32_e32 v32, 1, v5
	v_subrev_u32_e32 v33, s22, v31
	v_cmp_le_u32_e32 vcc, s22, v31
	s_nop 1
	v_cndmask_b32_e32 v31, v31, v33, vcc
	v_cndmask_b32_e32 v5, v5, v32, vcc
	v_add_u32_e32 v32, 1, v5
	v_cmp_le_u32_e32 vcc, s22, v31
	v_mov_b32_e32 v33, v4
	s_nop 0
	v_cndmask_b32_e32 v32, v5, v32, vcc
.LBB141_14:                             ;   in Loop: Header=BB141_10 Depth=2
	s_or_b64 exec, exec, s[18:19]
	v_cmp_eq_u64_e32 vcc, s[46:47], v[32:33]
	v_cmp_ne_u64_e64 s[18:19], s[46:47], v[32:33]
	s_and_saveexec_b64 s[52:53], s[18:19]
	s_xor_b64 s[52:53], exec, s[52:53]
; %bb.15:                               ;   in Loop: Header=BB141_10 Depth=2
	v_cmp_lt_i64_e64 s[18:19], v[32:33], v[22:23]
                                        ; implicit-def: $vgpr30_vgpr31
                                        ; implicit-def: $vgpr28_vgpr29
	s_nop 1
	v_cndmask_b32_e64 v23, v23, v33, s[18:19]
	v_cndmask_b32_e64 v22, v22, v32, s[18:19]
; %bb.16:                               ;   in Loop: Header=BB141_10 Depth=2
	s_or_saveexec_b64 s[18:19], s[52:53]
	v_mov_b64_e32 v[32:33], v[20:21]
	s_xor_b64 exec, exec, s[18:19]
	s_cbranch_execz .LBB141_9
; %bb.17:                               ;   in Loop: Header=BB141_10 Depth=2
	global_load_dwordx2 v[32:33], v[24:25], off
	v_subrev_u32_e32 v5, s62, v30
	v_add_lshl_u32 v5, v34, v5, 3
	ds_write_b8 v4, v38 offset:8192
	s_waitcnt vmcnt(0)
	ds_write_b64 v5, v[32:33]
	v_mov_b64_e32 v[32:33], v[28:29]
	s_branch .LBB141_9
.LBB141_18:                             ;   in Loop: Header=BB141_7 Depth=1
	s_or_b64 exec, exec, s[50:51]
.LBB141_19:                             ;   in Loop: Header=BB141_7 Depth=1
	s_or_b64 exec, exec, s[48:49]
	v_mov_b32_dpp v20, v32 row_shr:1 row_mask:0xf bank_mask:0xf
	v_mov_b32_dpp v21, v33 row_shr:1 row_mask:0xf bank_mask:0xf
	v_cmp_lt_i64_e32 vcc, v[20:21], v[32:33]
	s_waitcnt lgkmcnt(0)
	s_barrier
	v_cndmask_b32_e32 v21, v33, v21, vcc
	v_cndmask_b32_e32 v20, v32, v20, vcc
	s_nop 0
	v_mov_b32_dpp v25, v21 row_shr:2 row_mask:0xf bank_mask:0xf
	v_mov_b32_dpp v24, v20 row_shr:2 row_mask:0xf bank_mask:0xf
	v_cmp_lt_i64_e32 vcc, v[24:25], v[20:21]
	s_mov_b64 s[18:19], 0
	s_nop 0
	v_cndmask_b32_e32 v21, v21, v25, vcc
	v_cndmask_b32_e32 v20, v20, v24, vcc
	s_nop 0
	v_mov_b32_dpp v25, v21 row_shr:4 row_mask:0xf bank_mask:0xe
	v_mov_b32_dpp v24, v20 row_shr:4 row_mask:0xf bank_mask:0xe
	v_cmp_lt_i64_e32 vcc, v[24:25], v[20:21]
	s_nop 1
	v_cndmask_b32_e32 v5, v21, v25, vcc
	ds_read_u8 v25, v4 offset:8192
	v_cndmask_b32_e32 v20, v20, v24, vcc
	ds_bpermute_b32 v20, v35, v20
	ds_bpermute_b32 v21, v35, v5
	s_waitcnt lgkmcnt(2)
	v_cmp_eq_u32_e32 vcc, 0, v25
	s_cbranch_vccnz .LBB141_26
; %bb.20:                               ;   in Loop: Header=BB141_7 Depth=1
	s_add_u32 s18, s46, s58
	s_addc_u32 s19, s47, 0
	s_lshl_b64 s[46:47], s[30:31], 3
	s_add_u32 s46, s24, s46
	v_mov_b64_e32 v[24:25], s[18:19]
	s_mul_i32 s18, s61, s31
	s_mul_hi_u32 s19, s61, s30
	s_addc_u32 s47, s25, s47
	s_add_i32 s18, s19, s18
	s_mul_i32 s19, s60, s30
	s_add_i32 s19, s18, s19
	s_mul_i32 s18, s61, s30
	s_lshl_b64 s[18:19], s[18:19], 3
	global_store_dwordx2 v4, v[24:25], s[46:47]
	v_lshl_add_u64 v[24:25], v[6:7], 0, s[18:19]
	v_lshl_add_u64 v[26:27], v[10:11], 0, s[18:19]
	s_and_saveexec_b64 s[18:19], s[34:35]
	s_cbranch_execnz .LBB141_42
; %bb.21:                               ;   in Loop: Header=BB141_7 Depth=1
	s_or_b64 exec, exec, s[18:19]
	s_and_saveexec_b64 s[18:19], s[36:37]
	s_cbranch_execnz .LBB141_43
.LBB141_22:                             ;   in Loop: Header=BB141_7 Depth=1
	s_or_b64 exec, exec, s[18:19]
	s_and_saveexec_b64 s[18:19], s[38:39]
	s_cbranch_execnz .LBB141_44
.LBB141_23:                             ;   in Loop: Header=BB141_7 Depth=1
	s_or_b64 exec, exec, s[18:19]
	s_and_saveexec_b64 s[18:19], s[40:41]
	s_cbranch_execz .LBB141_25
.LBB141_24:                             ;   in Loop: Header=BB141_7 Depth=1
	ds_read_b64 v[28:29], v37 offset:192
	v_lshl_add_u64 v[26:27], v[26:27], 0, s[44:45]
	v_lshl_add_u64 v[24:25], v[16:17], 3, v[24:25]
	v_cndmask_b32_e64 v25, v25, v27, s[0:1]
	v_cndmask_b32_e64 v24, v24, v26, s[0:1]
	s_waitcnt lgkmcnt(0)
	global_store_dwordx2 v[24:25], v[28:29], off
.LBB141_25:                             ;   in Loop: Header=BB141_7 Depth=1
	s_or_b64 exec, exec, s[18:19]
	s_mov_b64 s[18:19], 1
.LBB141_26:                             ;   in Loop: Header=BB141_7 Depth=1
	s_waitcnt lgkmcnt(0)
	s_barrier
	ds_write_b64 v36, v[22:23]
	s_waitcnt lgkmcnt(0)
	s_barrier
	s_and_saveexec_b64 s[46:47], s[2:3]
	s_cbranch_execz .LBB141_28
; %bb.27:                               ;   in Loop: Header=BB141_7 Depth=1
	ds_read2st64_b64 v[22:25], v36 offset1:2
	s_waitcnt lgkmcnt(0)
	v_cmp_lt_i64_e32 vcc, v[24:25], v[22:23]
	s_nop 1
	v_cndmask_b32_e32 v23, v23, v25, vcc
	v_cndmask_b32_e32 v22, v22, v24, vcc
	ds_write_b64 v36, v[22:23]
.LBB141_28:                             ;   in Loop: Header=BB141_7 Depth=1
	s_or_b64 exec, exec, s[46:47]
	s_waitcnt lgkmcnt(0)
	s_barrier
	s_and_saveexec_b64 s[46:47], s[4:5]
	s_cbranch_execz .LBB141_30
; %bb.29:                               ;   in Loop: Header=BB141_7 Depth=1
	ds_read2st64_b64 v[22:25], v36 offset1:1
	s_waitcnt lgkmcnt(0)
	v_cmp_lt_i64_e32 vcc, v[24:25], v[22:23]
	s_nop 1
	v_cndmask_b32_e32 v23, v23, v25, vcc
	v_cndmask_b32_e32 v22, v22, v24, vcc
	ds_write_b64 v36, v[22:23]
.LBB141_30:                             ;   in Loop: Header=BB141_7 Depth=1
	s_or_b64 exec, exec, s[46:47]
	s_waitcnt lgkmcnt(0)
	s_barrier
	s_and_saveexec_b64 s[46:47], s[6:7]
	s_cbranch_execz .LBB141_32
; %bb.31:                               ;   in Loop: Header=BB141_7 Depth=1
	ds_read2_b64 v[22:25], v36 offset1:32
	s_waitcnt lgkmcnt(0)
	v_cmp_lt_i64_e32 vcc, v[24:25], v[22:23]
	s_nop 1
	v_cndmask_b32_e32 v23, v23, v25, vcc
	v_cndmask_b32_e32 v22, v22, v24, vcc
	ds_write_b64 v36, v[22:23]
.LBB141_32:                             ;   in Loop: Header=BB141_7 Depth=1
	s_or_b64 exec, exec, s[46:47]
	s_waitcnt lgkmcnt(0)
	s_barrier
	s_and_saveexec_b64 s[46:47], s[8:9]
	s_cbranch_execz .LBB141_34
; %bb.33:                               ;   in Loop: Header=BB141_7 Depth=1
	ds_read2_b64 v[22:25], v36 offset1:16
	s_waitcnt lgkmcnt(0)
	v_cmp_lt_i64_e32 vcc, v[24:25], v[22:23]
	s_nop 1
	v_cndmask_b32_e32 v23, v23, v25, vcc
	v_cndmask_b32_e32 v22, v22, v24, vcc
	ds_write_b64 v36, v[22:23]
.LBB141_34:                             ;   in Loop: Header=BB141_7 Depth=1
	;; [unrolled: 14-line block ×5, first 2 shown]
	s_or_b64 exec, exec, s[46:47]
	s_waitcnt lgkmcnt(0)
	s_barrier
	s_and_saveexec_b64 s[46:47], s[16:17]
	s_cbranch_execz .LBB141_6
; %bb.41:                               ;   in Loop: Header=BB141_7 Depth=1
	ds_read_b128 v[22:25], v4
	s_waitcnt lgkmcnt(0)
	v_cmp_lt_i64_e32 vcc, v[24:25], v[22:23]
	s_nop 1
	v_cndmask_b32_e32 v23, v23, v25, vcc
	v_cndmask_b32_e32 v22, v22, v24, vcc
	ds_write_b64 v4, v[22:23]
	s_branch .LBB141_6
.LBB141_42:                             ;   in Loop: Header=BB141_7 Depth=1
	ds_read_b64 v[28:29], v37
	v_lshl_add_u64 v[30:31], v[0:1], 3, v[24:25]
	v_cndmask_b32_e64 v31, v31, v27, s[0:1]
	v_cndmask_b32_e64 v30, v30, v26, s[0:1]
	s_waitcnt lgkmcnt(0)
	global_store_dwordx2 v[30:31], v[28:29], off
	s_or_b64 exec, exec, s[18:19]
	s_and_saveexec_b64 s[18:19], s[36:37]
	s_cbranch_execz .LBB141_22
.LBB141_43:                             ;   in Loop: Header=BB141_7 Depth=1
	ds_read_b64 v[28:29], v37 offset:64
	v_lshl_add_u64 v[30:31], v[26:27], 0, 64
	v_lshl_add_u64 v[32:33], v[12:13], 3, v[24:25]
	v_cndmask_b32_e64 v31, v33, v31, s[0:1]
	v_cndmask_b32_e64 v30, v32, v30, s[0:1]
	s_waitcnt lgkmcnt(0)
	global_store_dwordx2 v[30:31], v[28:29], off
	s_or_b64 exec, exec, s[18:19]
	s_and_saveexec_b64 s[18:19], s[38:39]
	s_cbranch_execz .LBB141_23
.LBB141_44:                             ;   in Loop: Header=BB141_7 Depth=1
	ds_read_b64 v[28:29], v37 offset:128
	v_lshl_add_u64 v[30:31], v[26:27], 0, s[42:43]
	v_lshl_add_u64 v[32:33], v[14:15], 3, v[24:25]
	v_cndmask_b32_e64 v31, v33, v31, s[0:1]
	v_cndmask_b32_e64 v30, v32, v30, s[0:1]
	s_waitcnt lgkmcnt(0)
	global_store_dwordx2 v[30:31], v[28:29], off
	s_or_b64 exec, exec, s[18:19]
	s_and_saveexec_b64 s[18:19], s[40:41]
	s_cbranch_execnz .LBB141_24
	s_branch .LBB141_25
.LBB141_45:
	s_endpgm
	.section	.rodata,"a",@progbits
	.p2align	6, 0x0
	.amdhsa_kernel _ZN9rocsparseL38csr2bsr_block_per_row_multipass_kernelILj256ELj32EdllEEv20rocsparse_direction_T3_S2_S2_S2_S2_21rocsparse_index_base_PKT1_PKT2_PKS2_S3_PS4_PS7_PS2_
		.amdhsa_group_segment_fixed_size 8200
		.amdhsa_private_segment_fixed_size 0
		.amdhsa_kernarg_size 112
		.amdhsa_user_sgpr_count 2
		.amdhsa_user_sgpr_dispatch_ptr 0
		.amdhsa_user_sgpr_queue_ptr 0
		.amdhsa_user_sgpr_kernarg_segment_ptr 1
		.amdhsa_user_sgpr_dispatch_id 0
		.amdhsa_user_sgpr_kernarg_preload_length 0
		.amdhsa_user_sgpr_kernarg_preload_offset 0
		.amdhsa_user_sgpr_private_segment_size 0
		.amdhsa_uses_dynamic_stack 0
		.amdhsa_enable_private_segment 0
		.amdhsa_system_sgpr_workgroup_id_x 1
		.amdhsa_system_sgpr_workgroup_id_y 0
		.amdhsa_system_sgpr_workgroup_id_z 0
		.amdhsa_system_sgpr_workgroup_info 0
		.amdhsa_system_vgpr_workitem_id 0
		.amdhsa_next_free_vgpr 46
		.amdhsa_next_free_sgpr 63
		.amdhsa_accum_offset 48
		.amdhsa_reserve_vcc 1
		.amdhsa_float_round_mode_32 0
		.amdhsa_float_round_mode_16_64 0
		.amdhsa_float_denorm_mode_32 3
		.amdhsa_float_denorm_mode_16_64 3
		.amdhsa_dx10_clamp 1
		.amdhsa_ieee_mode 1
		.amdhsa_fp16_overflow 0
		.amdhsa_tg_split 0
		.amdhsa_exception_fp_ieee_invalid_op 0
		.amdhsa_exception_fp_denorm_src 0
		.amdhsa_exception_fp_ieee_div_zero 0
		.amdhsa_exception_fp_ieee_overflow 0
		.amdhsa_exception_fp_ieee_underflow 0
		.amdhsa_exception_fp_ieee_inexact 0
		.amdhsa_exception_int_div_zero 0
	.end_amdhsa_kernel
	.section	.text._ZN9rocsparseL38csr2bsr_block_per_row_multipass_kernelILj256ELj32EdllEEv20rocsparse_direction_T3_S2_S2_S2_S2_21rocsparse_index_base_PKT1_PKT2_PKS2_S3_PS4_PS7_PS2_,"axG",@progbits,_ZN9rocsparseL38csr2bsr_block_per_row_multipass_kernelILj256ELj32EdllEEv20rocsparse_direction_T3_S2_S2_S2_S2_21rocsparse_index_base_PKT1_PKT2_PKS2_S3_PS4_PS7_PS2_,comdat
.Lfunc_end141:
	.size	_ZN9rocsparseL38csr2bsr_block_per_row_multipass_kernelILj256ELj32EdllEEv20rocsparse_direction_T3_S2_S2_S2_S2_21rocsparse_index_base_PKT1_PKT2_PKS2_S3_PS4_PS7_PS2_, .Lfunc_end141-_ZN9rocsparseL38csr2bsr_block_per_row_multipass_kernelILj256ELj32EdllEEv20rocsparse_direction_T3_S2_S2_S2_S2_21rocsparse_index_base_PKT1_PKT2_PKS2_S3_PS4_PS7_PS2_
                                        ; -- End function
	.section	.AMDGPU.csdata,"",@progbits
; Kernel info:
; codeLenInByte = 2960
; NumSgprs: 69
; NumVgprs: 46
; NumAgprs: 0
; TotalNumVgprs: 46
; ScratchSize: 0
; MemoryBound: 0
; FloatMode: 240
; IeeeMode: 1
; LDSByteSize: 8200 bytes/workgroup (compile time only)
; SGPRBlocks: 8
; VGPRBlocks: 5
; NumSGPRsForWavesPerEU: 69
; NumVGPRsForWavesPerEU: 46
; AccumOffset: 48
; Occupancy: 7
; WaveLimiterHint : 1
; COMPUTE_PGM_RSRC2:SCRATCH_EN: 0
; COMPUTE_PGM_RSRC2:USER_SGPR: 2
; COMPUTE_PGM_RSRC2:TRAP_HANDLER: 0
; COMPUTE_PGM_RSRC2:TGID_X_EN: 1
; COMPUTE_PGM_RSRC2:TGID_Y_EN: 0
; COMPUTE_PGM_RSRC2:TGID_Z_EN: 0
; COMPUTE_PGM_RSRC2:TIDIG_COMP_CNT: 0
; COMPUTE_PGM_RSRC3_GFX90A:ACCUM_OFFSET: 11
; COMPUTE_PGM_RSRC3_GFX90A:TG_SPLIT: 0
	.section	.text._ZN9rocsparseL38csr2bsr_block_per_row_multipass_kernelILj256ELj64EdllEEv20rocsparse_direction_T3_S2_S2_S2_S2_21rocsparse_index_base_PKT1_PKT2_PKS2_S3_PS4_PS7_PS2_,"axG",@progbits,_ZN9rocsparseL38csr2bsr_block_per_row_multipass_kernelILj256ELj64EdllEEv20rocsparse_direction_T3_S2_S2_S2_S2_21rocsparse_index_base_PKT1_PKT2_PKS2_S3_PS4_PS7_PS2_,comdat
	.globl	_ZN9rocsparseL38csr2bsr_block_per_row_multipass_kernelILj256ELj64EdllEEv20rocsparse_direction_T3_S2_S2_S2_S2_21rocsparse_index_base_PKT1_PKT2_PKS2_S3_PS4_PS7_PS2_ ; -- Begin function _ZN9rocsparseL38csr2bsr_block_per_row_multipass_kernelILj256ELj64EdllEEv20rocsparse_direction_T3_S2_S2_S2_S2_21rocsparse_index_base_PKT1_PKT2_PKS2_S3_PS4_PS7_PS2_
	.p2align	8
	.type	_ZN9rocsparseL38csr2bsr_block_per_row_multipass_kernelILj256ELj64EdllEEv20rocsparse_direction_T3_S2_S2_S2_S2_21rocsparse_index_base_PKT1_PKT2_PKS2_S3_PS4_PS7_PS2_,@function
_ZN9rocsparseL38csr2bsr_block_per_row_multipass_kernelILj256ELj64EdllEEv20rocsparse_direction_T3_S2_S2_S2_S2_21rocsparse_index_base_PKT1_PKT2_PKS2_S3_PS4_PS7_PS2_: ; @_ZN9rocsparseL38csr2bsr_block_per_row_multipass_kernelILj256ELj64EdllEEv20rocsparse_direction_T3_S2_S2_S2_S2_21rocsparse_index_base_PKT1_PKT2_PKS2_S3_PS4_PS7_PS2_
; %bb.0:
	s_load_dwordx2 s[6:7], s[0:1], 0x8
	s_load_dwordx4 s[20:23], s[0:1], 0x20
	s_load_dword s33, s[0:1], 0x30
	s_load_dwordx2 s[4:5], s[0:1], 0x40
	s_ashr_i32 s3, s2, 31
	v_lshrrev_b32_e32 v10, 2, v0
	v_mov_b32_e32 v11, 0
	s_waitcnt lgkmcnt(0)
	s_mul_i32 s8, s2, s23
	s_mul_i32 s9, s3, s22
	v_mov_b32_e32 v1, s22
	s_add_i32 s10, s8, s9
	v_mad_u64_u32 v[4:5], s[8:9], s2, v1, v[10:11]
	v_add_u32_e32 v5, s10, v5
	v_cmp_gt_i64_e32 vcc, s[6:7], v[4:5]
	v_cmp_gt_i64_e64 s[18:19], s[22:23], v[10:11]
	v_mov_b64_e32 v[2:3], 0
	s_and_b64 s[6:7], s[18:19], vcc
	v_mov_b64_e32 v[44:45], v[2:3]
	s_and_saveexec_b64 s[8:9], s[6:7]
	s_cbranch_execnz .LBB142_3
; %bb.1:
	s_or_b64 exec, exec, s[8:9]
	s_and_saveexec_b64 s[8:9], s[6:7]
	s_cbranch_execnz .LBB142_4
.LBB142_2:
	s_or_b64 exec, exec, s[8:9]
	v_cmp_lt_i64_e64 s[4:5], s[20:21], 1
	s_and_b64 vcc, exec, s[4:5]
	s_cbranch_vccz .LBB142_5
	s_branch .LBB142_69
.LBB142_3:
	v_lshl_add_u64 v[6:7], v[4:5], 3, s[4:5]
	global_load_dwordx2 v[6:7], v[6:7], off
	s_waitcnt vmcnt(0)
	v_subrev_co_u32_e32 v44, vcc, s33, v6
	s_nop 1
	v_subbrev_co_u32_e32 v45, vcc, 0, v7, vcc
	s_or_b64 exec, exec, s[8:9]
	s_and_saveexec_b64 s[8:9], s[6:7]
	s_cbranch_execz .LBB142_2
.LBB142_4:
	v_lshl_add_u64 v[2:3], v[4:5], 3, s[4:5]
	global_load_dwordx2 v[2:3], v[2:3], off offset:8
	s_waitcnt vmcnt(0)
	v_subrev_co_u32_e32 v2, vcc, s33, v2
	s_nop 1
	v_subbrev_co_u32_e32 v3, vcc, 0, v3, vcc
	s_or_b64 exec, exec, s[8:9]
	v_cmp_lt_i64_e64 s[4:5], s[20:21], 1
	s_and_b64 vcc, exec, s[4:5]
	s_cbranch_vccnz .LBB142_69
.LBB142_5:
	s_load_dwordx2 s[24:25], s[0:1], 0x68
	s_load_dwordx4 s[4:7], s[0:1], 0x58
	s_load_dword s70, s[0:1], 0x50
	s_mul_i32 s8, s22, s23
	s_mul_hi_u32 s9, s22, s22
	s_add_i32 s9, s9, s8
	s_add_i32 s72, s9, s8
	s_lshl_b64 s[2:3], s[2:3], 3
	s_waitcnt lgkmcnt(0)
	s_add_u32 s2, s6, s2
	s_addc_u32 s3, s7, s3
	s_load_dwordx2 s[6:7], s[2:3], 0x0
	s_load_dwordx2 s[26:27], s[0:1], 0x48
	;; [unrolled: 1-line block ×3, first 2 shown]
	s_load_dword s8, s[0:1], 0x0
	v_mad_u64_u32 v[12:13], s[2:3], v10, s22, 0
	v_mov_b32_e32 v14, v13
	v_lshlrev_b32_e32 v6, 3, v10
	v_mov_b32_e32 v4, 0
	s_waitcnt lgkmcnt(0)
	s_sub_u32 s30, s6, s70
	v_lshlrev_b32_e32 v58, 6, v10
	v_mad_u64_u32 v[10:11], s[2:3], v10, s23, v[14:15]
	v_mov_b32_e32 v7, v4
	v_and_b32_e32 v8, 3, v0
	s_subb_u32 s31, s7, 0
	v_mbcnt_lo_u32_b32 v1, -1, 0
	v_mov_b32_e32 v13, v10
	s_movk_i32 s2, 0x80
	v_lshl_add_u64 v[6:7], s[4:5], 0, v[6:7]
	v_mbcnt_hi_u32_b32 v1, -1, v1
	s_cmp_eq_u32 s8, 0
	v_lshl_add_u64 v[10:11], v[12:13], 3, s[4:5]
	v_lshlrev_b32_e32 v60, 3, v0
	v_cmp_gt_u32_e64 s[2:3], s2, v0
	v_cmp_gt_u32_e64 s[4:5], 64, v0
	;; [unrolled: 1-line block ×7, first 2 shown]
	v_cmp_eq_u32_e64 s[16:17], 0, v0
	v_or_b32_e32 v0, v58, v8
	v_lshl_or_b32 v59, v1, 2, 12
	v_lshlrev_b32_e32 v12, 3, v8
	v_mov_b32_e32 v13, v4
	v_lshlrev_b32_e32 v61, 3, v0
	v_mad_u64_u32 v[0:1], s[36:37], v8, s22, 0
	v_lshl_add_u64 v[10:11], v[10:11], 0, v[12:13]
	v_mov_b32_e32 v12, v1
	v_mad_u64_u32 v[12:13], s[36:37], v8, s23, v[12:13]
	v_or_b32_e32 v14, 4, v8
	v_mov_b32_e32 v9, v4
	v_mov_b32_e32 v1, v12
	v_mad_u64_u32 v[12:13], s[38:39], v14, s22, 0
	v_cmp_gt_i64_e32 vcc, s[22:23], v[8:9]
	v_mov_b32_e32 v15, v4
	v_mov_b32_e32 v16, v13
	s_cselect_b64 s[0:1], -1, 0
	s_and_b64 s[34:35], s[18:19], vcc
	v_cmp_gt_i64_e32 vcc, s[22:23], v[14:15]
	v_mad_u64_u32 v[14:15], s[38:39], v14, s23, v[16:17]
	v_or_b32_e32 v16, 8, v8
	v_mov_b32_e32 v13, v14
	v_mad_u64_u32 v[14:15], s[40:41], v16, s22, 0
	v_mov_b32_e32 v17, v4
	v_mov_b32_e32 v18, v15
	s_and_b64 s[36:37], s[18:19], vcc
	v_cmp_gt_i64_e32 vcc, s[22:23], v[16:17]
	v_mad_u64_u32 v[16:17], s[40:41], v16, s23, v[18:19]
	v_or_b32_e32 v18, 12, v8
	v_mov_b32_e32 v15, v16
	v_mad_u64_u32 v[16:17], s[42:43], v18, s22, 0
	v_mov_b32_e32 v19, v4
	v_mov_b32_e32 v20, v17
	;; [unrolled: 8-line block ×11, first 2 shown]
	s_and_b64 s[56:57], s[18:19], vcc
	v_cmp_gt_i64_e32 vcc, s[22:23], v[36:37]
	v_mad_u64_u32 v[36:37], s[60:61], v36, s23, v[38:39]
	v_or_b32_e32 v38, 52, v8
	v_cvt_f32_u32_e32 v5, s22
	v_mov_b32_e32 v35, v36
	v_mad_u64_u32 v[36:37], s[62:63], v38, s22, 0
	v_mov_b32_e32 v39, v4
	v_mov_b32_e32 v40, v37
	s_and_b64 s[58:59], s[18:19], vcc
	v_cmp_gt_i64_e32 vcc, s[22:23], v[38:39]
	v_mad_u64_u32 v[38:39], s[62:63], v38, s23, v[40:41]
	v_or_b32_e32 v40, 56, v8
	v_mov_b32_e32 v37, v38
	v_mad_u64_u32 v[38:39], s[64:65], v40, s22, 0
	v_rcp_iflag_f32_e32 v5, v5
	v_mov_b32_e32 v41, v4
	v_mov_b32_e32 v42, v39
	s_and_b64 s[60:61], s[18:19], vcc
	v_cmp_gt_i64_e32 vcc, s[22:23], v[40:41]
	v_mad_u64_u32 v[40:41], s[64:65], v40, s23, v[42:43]
	v_or_b32_e32 v42, 60, v8
	v_mov_b32_e32 v43, v4
	s_and_b64 s[62:63], s[18:19], vcc
	v_cmp_gt_i64_e32 vcc, s[22:23], v[42:43]
	v_mov_b32_e32 v39, v40
	s_and_b64 s[64:65], s[18:19], vcc
	v_mad_u64_u32 v[40:41], s[18:19], v42, s22, 0
	v_mul_f32_e32 v5, 0x4f7ffffe, v5
	v_mov_b32_e32 v46, v41
	v_cvt_u32_f32_e32 v62, v5
	s_mov_b32 s71, 0
	v_mad_u64_u32 v[42:43], s[18:19], v42, s23, v[46:47]
	s_mov_b32 s18, s71
	s_mov_b32 s19, s71
	s_mul_i32 s73, s22, s22
	v_mov_b32_e32 v41, v42
	s_mov_b64 s[92:93], 0
	v_mov_b64_e32 v[42:43], s[18:19]
	s_mov_b64 s[76:77], 0x100
	s_mov_b64 s[78:79], 0x120
	;; [unrolled: 1-line block ×8, first 2 shown]
	v_mov_b32_e32 v63, 1
	s_branch .LBB142_7
.LBB142_6:                              ;   in Loop: Header=BB142_7 Depth=1
	s_or_b64 exec, exec, s[66:67]
	s_waitcnt lgkmcnt(0)
	s_barrier
	ds_read_b64 v[46:47], v4
	s_add_u32 s30, s18, s30
	s_addc_u32 s31, s19, s31
	s_waitcnt lgkmcnt(0)
	s_barrier
	v_cmp_gt_i64_e32 vcc, s[20:21], v[46:47]
	v_readfirstlane_b32 s92, v46
	v_readfirstlane_b32 s93, v47
	s_cbranch_vccz .LBB142_69
.LBB142_7:                              ; =>This Loop Header: Depth=1
                                        ;     Child Loop BB142_10 Depth 2
	v_lshl_add_u64 v[44:45], v[44:45], 0, v[8:9]
	v_cmp_lt_i64_e32 vcc, v[44:45], v[2:3]
	v_mov_b64_e32 v[46:47], s[20:21]
	v_mov_b64_e32 v[56:57], v[2:3]
	ds_write_b8 v4, v4 offset:32768
	ds_write2_b64 v61, v[42:43], v[42:43] offset1:4
	ds_write2_b64 v61, v[42:43], v[42:43] offset0:8 offset1:12
	ds_write2_b64 v61, v[42:43], v[42:43] offset0:16 offset1:20
	;; [unrolled: 1-line block ×7, first 2 shown]
	s_waitcnt lgkmcnt(0)
	s_barrier
	s_and_saveexec_b64 s[94:95], vcc
	s_cbranch_execz .LBB142_19
; %bb.8:                                ;   in Loop: Header=BB142_7 Depth=1
	v_lshlrev_b64 v[46:47], 3, v[44:45]
	s_mul_i32 s74, s92, s22
	v_lshl_add_u64 v[48:49], s[28:29], 0, v[46:47]
	v_lshl_add_u64 v[50:51], s[26:27], 0, v[46:47]
	s_mov_b64 s[96:97], 0
	v_mov_b64_e32 v[46:47], s[20:21]
	v_mov_b64_e32 v[52:53], v[2:3]
	s_branch .LBB142_10
.LBB142_9:                              ;   in Loop: Header=BB142_10 Depth=2
	s_or_b64 exec, exec, s[18:19]
	v_lshl_add_u64 v[44:45], v[44:45], 0, 4
	v_cmp_ge_i64_e64 s[18:19], v[44:45], v[2:3]
	s_xor_b64 s[66:67], vcc, -1
	s_or_b64 s[18:19], s[66:67], s[18:19]
	s_and_b64 s[18:19], exec, s[18:19]
	v_lshl_add_u64 v[48:49], v[48:49], 0, 32
	v_lshl_add_u64 v[50:51], v[50:51], 0, 32
	s_or_b64 s[96:97], s[18:19], s[96:97]
	v_mov_b64_e32 v[52:53], v[56:57]
	s_andn2_b64 exec, exec, s[96:97]
	s_cbranch_execz .LBB142_18
.LBB142_10:                             ;   Parent Loop BB142_7 Depth=1
                                        ; =>  This Inner Loop Header: Depth=2
	global_load_dwordx2 v[54:55], v[50:51], off
	v_mov_b32_e32 v5, s71
                                        ; implicit-def: $vgpr56_vgpr57
	s_waitcnt vmcnt(0)
	v_subrev_co_u32_e32 v54, vcc, s33, v54
	s_nop 1
	v_subb_co_u32_e32 v55, vcc, v55, v5, vcc
	v_or_b32_e32 v5, s23, v55
	v_cmp_ne_u64_e32 vcc, 0, v[4:5]
	s_and_saveexec_b64 s[18:19], vcc
	s_xor_b64 s[98:99], exec, s[18:19]
	s_cbranch_execz .LBB142_12
; %bb.11:                               ;   in Loop: Header=BB142_10 Depth=2
	s_ashr_i32 s66, s23, 31
	s_add_u32 s18, s22, s66
	s_mov_b32 s67, s66
	s_addc_u32 s19, s23, s66
	s_xor_b64 s[68:69], s[18:19], s[66:67]
	v_cvt_f32_u32_e32 v5, s68
	v_cvt_f32_u32_e32 v56, s69
	s_sub_u32 s18, 0, s68
	s_subb_u32 s19, 0, s69
	v_mov_b32_e32 v65, v4
	v_fmac_f32_e32 v5, 0x4f800000, v56
	v_rcp_f32_e32 v5, v5
	s_nop 0
	v_mul_f32_e32 v5, 0x5f7ffffc, v5
	v_mul_f32_e32 v56, 0x2f800000, v5
	v_trunc_f32_e32 v56, v56
	v_fmac_f32_e32 v5, 0xcf800000, v56
	v_cvt_u32_f32_e32 v66, v56
	v_cvt_u32_f32_e32 v5, v5
	v_mul_lo_u32 v56, s18, v66
	v_mul_hi_u32 v64, s18, v5
	v_mul_lo_u32 v57, s19, v5
	v_add_u32_e32 v56, v64, v56
	v_mul_lo_u32 v67, s18, v5
	v_add_u32_e32 v68, v56, v57
	v_mul_hi_u32 v57, v5, v68
	v_mul_lo_u32 v56, v5, v68
	v_mul_hi_u32 v64, v5, v67
	v_lshl_add_u64 v[56:57], v[64:65], 0, v[56:57]
	v_mul_hi_u32 v65, v66, v67
	v_mul_lo_u32 v67, v66, v67
	v_add_co_u32_e32 v56, vcc, v56, v67
	v_mul_hi_u32 v64, v66, v68
	s_nop 0
	v_addc_co_u32_e32 v56, vcc, v57, v65, vcc
	v_mov_b32_e32 v57, v4
	s_nop 0
	v_addc_co_u32_e32 v65, vcc, 0, v64, vcc
	v_mul_lo_u32 v64, v66, v68
	v_lshl_add_u64 v[56:57], v[56:57], 0, v[64:65]
	v_add_co_u32_e32 v5, vcc, v5, v56
	v_mul_lo_u32 v64, s18, v5
	s_nop 0
	v_addc_co_u32_e32 v66, vcc, v66, v57, vcc
	v_mul_lo_u32 v56, s18, v66
	v_mul_hi_u32 v57, s18, v5
	v_add_u32_e32 v56, v57, v56
	v_mul_lo_u32 v57, s19, v5
	v_add_u32_e32 v67, v56, v57
	v_mul_hi_u32 v69, v66, v64
	v_mul_lo_u32 v70, v66, v64
	v_mul_hi_u32 v57, v5, v67
	v_mul_lo_u32 v56, v5, v67
	v_mul_hi_u32 v64, v5, v64
	v_mov_b32_e32 v65, v4
	v_lshl_add_u64 v[56:57], v[64:65], 0, v[56:57]
	v_add_co_u32_e32 v56, vcc, v56, v70
	v_mul_hi_u32 v68, v66, v67
	s_nop 0
	v_addc_co_u32_e32 v56, vcc, v57, v69, vcc
	v_mul_lo_u32 v64, v66, v67
	s_nop 0
	v_addc_co_u32_e32 v65, vcc, 0, v68, vcc
	v_mov_b32_e32 v57, v4
	v_lshl_add_u64 v[56:57], v[56:57], 0, v[64:65]
	v_add_co_u32_e32 v5, vcc, v5, v56
	v_ashrrev_i32_e32 v56, 31, v55
	s_nop 0
	v_addc_co_u32_e32 v68, vcc, v66, v57, vcc
	v_mov_b32_e32 v57, v56
	v_lshl_add_u64 v[64:65], v[54:55], 0, v[56:57]
	v_xor_b32_e32 v57, v64, v56
	v_xor_b32_e32 v55, v65, v56
	v_mad_u64_u32 v[64:65], s[18:19], v57, v68, 0
	v_mul_hi_u32 v66, v57, v5
	v_mov_b32_e32 v67, v4
	v_lshl_add_u64 v[64:65], v[66:67], 0, v[64:65]
	v_mad_u64_u32 v[66:67], s[18:19], v55, v68, 0
	v_mad_u64_u32 v[68:69], s[18:19], v55, v5, 0
	v_add_co_u32_e32 v5, vcc, v64, v68
	s_nop 1
	v_addc_co_u32_e32 v64, vcc, v65, v69, vcc
	v_mov_b32_e32 v65, v4
	s_nop 0
	v_addc_co_u32_e32 v67, vcc, 0, v67, vcc
	v_lshl_add_u64 v[64:65], v[64:65], 0, v[66:67]
	v_mul_lo_u32 v5, s69, v64
	v_mul_lo_u32 v68, s68, v65
	v_mad_u64_u32 v[66:67], s[18:19], s68, v64, 0
	v_add3_u32 v5, v67, v68, v5
	v_sub_u32_e32 v67, v55, v5
	v_mov_b32_e32 v68, s69
	v_sub_co_u32_e32 v57, vcc, v57, v66
	s_nop 1
	v_subb_co_u32_e64 v66, s[18:19], v67, v68, vcc
	v_subrev_co_u32_e64 v67, s[18:19], s68, v57
	v_subb_co_u32_e32 v5, vcc, v55, v5, vcc
	s_nop 0
	v_subbrev_co_u32_e64 v66, s[18:19], 0, v66, s[18:19]
	v_cmp_le_u32_e64 s[18:19], s69, v66
	v_cmp_le_u32_e32 vcc, s69, v5
	s_nop 0
	v_cndmask_b32_e64 v68, 0, -1, s[18:19]
	v_cmp_le_u32_e64 s[18:19], s68, v67
	v_cndmask_b32_e64 v55, 0, -1, vcc
	v_cmp_le_u32_e32 vcc, s68, v57
	v_cndmask_b32_e64 v67, 0, -1, s[18:19]
	v_cmp_eq_u32_e64 s[18:19], s69, v66
	v_cndmask_b32_e64 v57, 0, -1, vcc
	v_cmp_eq_u32_e32 vcc, s69, v5
	v_cndmask_b32_e64 v70, v68, v67, s[18:19]
	v_lshl_add_u64 v[66:67], v[64:65], 0, 2
	v_lshl_add_u64 v[68:69], v[64:65], 0, 1
	v_cmp_ne_u32_e64 s[18:19], 0, v70
	v_cndmask_b32_e32 v5, v55, v57, vcc
	v_cmp_ne_u32_e32 vcc, 0, v5
	v_cndmask_b32_e64 v55, v68, v66, s[18:19]
	v_cndmask_b32_e64 v67, v69, v67, s[18:19]
	v_cndmask_b32_e32 v55, v64, v55, vcc
	v_xor_b32_e32 v57, s66, v56
	v_cndmask_b32_e32 v5, v65, v67, vcc
	v_xor_b32_e32 v55, v55, v57
	v_xor_b32_e32 v5, v5, v57
	v_sub_co_u32_e32 v56, vcc, v55, v57
	s_nop 1
	v_subb_co_u32_e32 v57, vcc, v5, v57, vcc
.LBB142_12:                             ;   in Loop: Header=BB142_10 Depth=2
	s_andn2_saveexec_b64 s[18:19], s[98:99]
	s_cbranch_execz .LBB142_14
; %bb.13:                               ;   in Loop: Header=BB142_10 Depth=2
	s_sub_i32 s66, 0, s22
	v_mul_lo_u32 v5, s66, v62
	v_mul_hi_u32 v5, v62, v5
	v_add_u32_e32 v5, v62, v5
	v_mul_hi_u32 v5, v54, v5
	v_mul_lo_u32 v55, v5, s22
	v_sub_u32_e32 v55, v54, v55
	v_subrev_u32_e32 v56, s22, v55
	v_cmp_le_u32_e32 vcc, s22, v55
	v_mov_b32_e32 v57, v4
	s_nop 0
	v_cndmask_b32_e32 v55, v55, v56, vcc
	v_add_u32_e32 v56, 1, v5
	v_cndmask_b32_e32 v5, v5, v56, vcc
	v_add_u32_e32 v56, 1, v5
	v_cmp_le_u32_e32 vcc, s22, v55
	s_nop 1
	v_cndmask_b32_e32 v56, v5, v56, vcc
.LBB142_14:                             ;   in Loop: Header=BB142_10 Depth=2
	s_or_b64 exec, exec, s[18:19]
	v_cmp_eq_u64_e32 vcc, s[92:93], v[56:57]
	v_cmp_ne_u64_e64 s[18:19], s[92:93], v[56:57]
	s_and_saveexec_b64 s[66:67], s[18:19]
	s_xor_b64 s[66:67], exec, s[66:67]
; %bb.15:                               ;   in Loop: Header=BB142_10 Depth=2
	v_cmp_lt_i64_e64 s[18:19], v[56:57], v[46:47]
                                        ; implicit-def: $vgpr54_vgpr55
                                        ; implicit-def: $vgpr52_vgpr53
	s_nop 1
	v_cndmask_b32_e64 v47, v47, v57, s[18:19]
	v_cndmask_b32_e64 v46, v46, v56, s[18:19]
; %bb.16:                               ;   in Loop: Header=BB142_10 Depth=2
	s_or_saveexec_b64 s[18:19], s[66:67]
	v_mov_b64_e32 v[56:57], v[44:45]
	s_xor_b64 exec, exec, s[18:19]
	s_cbranch_execz .LBB142_9
; %bb.17:                               ;   in Loop: Header=BB142_10 Depth=2
	global_load_dwordx2 v[56:57], v[48:49], off
	v_subrev_u32_e32 v5, s74, v54
	v_add_lshl_u32 v5, v58, v5, 3
	ds_write_b8 v4, v63 offset:32768
	s_waitcnt vmcnt(0)
	ds_write_b64 v5, v[56:57]
	v_mov_b64_e32 v[56:57], v[52:53]
	s_branch .LBB142_9
.LBB142_18:                             ;   in Loop: Header=BB142_7 Depth=1
	s_or_b64 exec, exec, s[96:97]
.LBB142_19:                             ;   in Loop: Header=BB142_7 Depth=1
	s_or_b64 exec, exec, s[94:95]
	v_mov_b32_dpp v44, v56 row_shr:1 row_mask:0xf bank_mask:0xf
	v_mov_b32_dpp v45, v57 row_shr:1 row_mask:0xf bank_mask:0xf
	v_cmp_lt_i64_e32 vcc, v[44:45], v[56:57]
	s_waitcnt lgkmcnt(0)
	s_barrier
	v_cndmask_b32_e32 v45, v57, v45, vcc
	v_cndmask_b32_e32 v44, v56, v44, vcc
	s_nop 0
	v_mov_b32_dpp v49, v45 row_shr:2 row_mask:0xf bank_mask:0xf
	v_mov_b32_dpp v48, v44 row_shr:2 row_mask:0xf bank_mask:0xf
	v_cmp_lt_i64_e32 vcc, v[48:49], v[44:45]
	s_mov_b64 s[18:19], 0
	s_nop 0
	v_cndmask_b32_e32 v5, v45, v49, vcc
	ds_read_u8 v49, v4 offset:32768
	v_cndmask_b32_e32 v44, v44, v48, vcc
	ds_bpermute_b32 v44, v59, v44
	ds_bpermute_b32 v45, v59, v5
	s_waitcnt lgkmcnt(2)
	v_cmp_eq_u32_e32 vcc, 0, v49
	s_cbranch_vccnz .LBB142_38
; %bb.20:                               ;   in Loop: Header=BB142_7 Depth=1
	s_add_u32 s18, s92, s70
	s_addc_u32 s19, s93, 0
	s_lshl_b64 s[66:67], s[30:31], 3
	s_add_u32 s66, s24, s66
	v_mov_b64_e32 v[48:49], s[18:19]
	s_mul_i32 s18, s73, s31
	s_mul_hi_u32 s19, s73, s30
	s_addc_u32 s67, s25, s67
	s_add_i32 s18, s19, s18
	s_mul_i32 s19, s72, s30
	s_add_i32 s19, s18, s19
	s_mul_i32 s18, s73, s30
	s_lshl_b64 s[18:19], s[18:19], 3
	global_store_dwordx2 v4, v[48:49], s[66:67]
	v_lshl_add_u64 v[48:49], v[6:7], 0, s[18:19]
	v_lshl_add_u64 v[50:51], v[10:11], 0, s[18:19]
	s_and_saveexec_b64 s[18:19], s[34:35]
	s_cbranch_execnz .LBB142_54
; %bb.21:                               ;   in Loop: Header=BB142_7 Depth=1
	s_or_b64 exec, exec, s[18:19]
	s_and_saveexec_b64 s[18:19], s[36:37]
	s_cbranch_execnz .LBB142_55
.LBB142_22:                             ;   in Loop: Header=BB142_7 Depth=1
	s_or_b64 exec, exec, s[18:19]
	s_and_saveexec_b64 s[18:19], s[38:39]
	s_cbranch_execnz .LBB142_56
.LBB142_23:                             ;   in Loop: Header=BB142_7 Depth=1
	s_or_b64 exec, exec, s[18:19]
	s_and_saveexec_b64 s[18:19], s[40:41]
	s_cbranch_execnz .LBB142_57
.LBB142_24:                             ;   in Loop: Header=BB142_7 Depth=1
	s_or_b64 exec, exec, s[18:19]
	s_and_saveexec_b64 s[18:19], s[42:43]
	s_cbranch_execnz .LBB142_58
.LBB142_25:                             ;   in Loop: Header=BB142_7 Depth=1
	s_or_b64 exec, exec, s[18:19]
	s_and_saveexec_b64 s[18:19], s[44:45]
	s_cbranch_execnz .LBB142_59
.LBB142_26:                             ;   in Loop: Header=BB142_7 Depth=1
	s_or_b64 exec, exec, s[18:19]
	s_and_saveexec_b64 s[18:19], s[46:47]
	s_cbranch_execnz .LBB142_60
.LBB142_27:                             ;   in Loop: Header=BB142_7 Depth=1
	s_or_b64 exec, exec, s[18:19]
	s_and_saveexec_b64 s[18:19], s[48:49]
	s_cbranch_execnz .LBB142_61
.LBB142_28:                             ;   in Loop: Header=BB142_7 Depth=1
	s_or_b64 exec, exec, s[18:19]
	s_and_saveexec_b64 s[18:19], s[50:51]
	s_cbranch_execnz .LBB142_62
.LBB142_29:                             ;   in Loop: Header=BB142_7 Depth=1
	s_or_b64 exec, exec, s[18:19]
	s_and_saveexec_b64 s[18:19], s[52:53]
	s_cbranch_execnz .LBB142_63
.LBB142_30:                             ;   in Loop: Header=BB142_7 Depth=1
	s_or_b64 exec, exec, s[18:19]
	s_and_saveexec_b64 s[18:19], s[54:55]
	s_cbranch_execnz .LBB142_64
.LBB142_31:                             ;   in Loop: Header=BB142_7 Depth=1
	s_or_b64 exec, exec, s[18:19]
	s_and_saveexec_b64 s[18:19], s[56:57]
	s_cbranch_execnz .LBB142_65
.LBB142_32:                             ;   in Loop: Header=BB142_7 Depth=1
	s_or_b64 exec, exec, s[18:19]
	s_and_saveexec_b64 s[18:19], s[58:59]
	s_cbranch_execnz .LBB142_66
.LBB142_33:                             ;   in Loop: Header=BB142_7 Depth=1
	s_or_b64 exec, exec, s[18:19]
	s_and_saveexec_b64 s[18:19], s[60:61]
	s_cbranch_execnz .LBB142_67
.LBB142_34:                             ;   in Loop: Header=BB142_7 Depth=1
	s_or_b64 exec, exec, s[18:19]
	s_and_saveexec_b64 s[18:19], s[62:63]
	s_cbranch_execnz .LBB142_68
.LBB142_35:                             ;   in Loop: Header=BB142_7 Depth=1
	s_or_b64 exec, exec, s[18:19]
	s_and_saveexec_b64 s[18:19], s[64:65]
	s_cbranch_execz .LBB142_37
.LBB142_36:                             ;   in Loop: Header=BB142_7 Depth=1
	ds_read_b64 v[52:53], v61 offset:480
	v_lshl_add_u64 v[50:51], v[50:51], 0, s[90:91]
	v_lshl_add_u64 v[48:49], v[40:41], 3, v[48:49]
	v_cndmask_b32_e64 v49, v49, v51, s[0:1]
	v_cndmask_b32_e64 v48, v48, v50, s[0:1]
	s_waitcnt lgkmcnt(0)
	global_store_dwordx2 v[48:49], v[52:53], off
.LBB142_37:                             ;   in Loop: Header=BB142_7 Depth=1
	s_or_b64 exec, exec, s[18:19]
	s_mov_b64 s[18:19], 1
.LBB142_38:                             ;   in Loop: Header=BB142_7 Depth=1
	s_waitcnt lgkmcnt(0)
	s_barrier
	ds_write_b64 v60, v[46:47]
	s_waitcnt lgkmcnt(0)
	s_barrier
	s_and_saveexec_b64 s[66:67], s[2:3]
	s_cbranch_execz .LBB142_40
; %bb.39:                               ;   in Loop: Header=BB142_7 Depth=1
	ds_read2st64_b64 v[46:49], v60 offset1:2
	s_waitcnt lgkmcnt(0)
	v_cmp_lt_i64_e32 vcc, v[48:49], v[46:47]
	s_nop 1
	v_cndmask_b32_e32 v47, v47, v49, vcc
	v_cndmask_b32_e32 v46, v46, v48, vcc
	ds_write_b64 v60, v[46:47]
.LBB142_40:                             ;   in Loop: Header=BB142_7 Depth=1
	s_or_b64 exec, exec, s[66:67]
	s_waitcnt lgkmcnt(0)
	s_barrier
	s_and_saveexec_b64 s[66:67], s[4:5]
	s_cbranch_execz .LBB142_42
; %bb.41:                               ;   in Loop: Header=BB142_7 Depth=1
	ds_read2st64_b64 v[46:49], v60 offset1:1
	s_waitcnt lgkmcnt(0)
	v_cmp_lt_i64_e32 vcc, v[48:49], v[46:47]
	s_nop 1
	v_cndmask_b32_e32 v47, v47, v49, vcc
	v_cndmask_b32_e32 v46, v46, v48, vcc
	ds_write_b64 v60, v[46:47]
.LBB142_42:                             ;   in Loop: Header=BB142_7 Depth=1
	s_or_b64 exec, exec, s[66:67]
	s_waitcnt lgkmcnt(0)
	s_barrier
	s_and_saveexec_b64 s[66:67], s[6:7]
	s_cbranch_execz .LBB142_44
; %bb.43:                               ;   in Loop: Header=BB142_7 Depth=1
	ds_read2_b64 v[46:49], v60 offset1:32
	s_waitcnt lgkmcnt(0)
	v_cmp_lt_i64_e32 vcc, v[48:49], v[46:47]
	s_nop 1
	v_cndmask_b32_e32 v47, v47, v49, vcc
	v_cndmask_b32_e32 v46, v46, v48, vcc
	ds_write_b64 v60, v[46:47]
.LBB142_44:                             ;   in Loop: Header=BB142_7 Depth=1
	s_or_b64 exec, exec, s[66:67]
	s_waitcnt lgkmcnt(0)
	s_barrier
	s_and_saveexec_b64 s[66:67], s[8:9]
	s_cbranch_execz .LBB142_46
; %bb.45:                               ;   in Loop: Header=BB142_7 Depth=1
	ds_read2_b64 v[46:49], v60 offset1:16
	s_waitcnt lgkmcnt(0)
	v_cmp_lt_i64_e32 vcc, v[48:49], v[46:47]
	s_nop 1
	v_cndmask_b32_e32 v47, v47, v49, vcc
	v_cndmask_b32_e32 v46, v46, v48, vcc
	ds_write_b64 v60, v[46:47]
.LBB142_46:                             ;   in Loop: Header=BB142_7 Depth=1
	;; [unrolled: 14-line block ×5, first 2 shown]
	s_or_b64 exec, exec, s[66:67]
	s_waitcnt lgkmcnt(0)
	s_barrier
	s_and_saveexec_b64 s[66:67], s[16:17]
	s_cbranch_execz .LBB142_6
; %bb.53:                               ;   in Loop: Header=BB142_7 Depth=1
	ds_read_b128 v[46:49], v4
	s_waitcnt lgkmcnt(0)
	v_cmp_lt_i64_e32 vcc, v[48:49], v[46:47]
	s_nop 1
	v_cndmask_b32_e32 v47, v47, v49, vcc
	v_cndmask_b32_e32 v46, v46, v48, vcc
	ds_write_b64 v4, v[46:47]
	s_branch .LBB142_6
.LBB142_54:                             ;   in Loop: Header=BB142_7 Depth=1
	ds_read_b64 v[52:53], v61
	v_lshl_add_u64 v[54:55], v[0:1], 3, v[48:49]
	v_cndmask_b32_e64 v55, v55, v51, s[0:1]
	v_cndmask_b32_e64 v54, v54, v50, s[0:1]
	s_waitcnt lgkmcnt(0)
	global_store_dwordx2 v[54:55], v[52:53], off
	s_or_b64 exec, exec, s[18:19]
	s_and_saveexec_b64 s[18:19], s[36:37]
	s_cbranch_execz .LBB142_22
.LBB142_55:                             ;   in Loop: Header=BB142_7 Depth=1
	ds_read_b64 v[52:53], v61 offset:32
	v_lshl_add_u64 v[54:55], v[50:51], 0, 32
	v_lshl_add_u64 v[56:57], v[12:13], 3, v[48:49]
	v_cndmask_b32_e64 v55, v57, v55, s[0:1]
	v_cndmask_b32_e64 v54, v56, v54, s[0:1]
	s_waitcnt lgkmcnt(0)
	global_store_dwordx2 v[54:55], v[52:53], off
	s_or_b64 exec, exec, s[18:19]
	s_and_saveexec_b64 s[18:19], s[38:39]
	s_cbranch_execz .LBB142_23
.LBB142_56:                             ;   in Loop: Header=BB142_7 Depth=1
	ds_read_b64 v[52:53], v61 offset:64
	v_lshl_add_u64 v[54:55], v[50:51], 0, 64
	v_lshl_add_u64 v[56:57], v[14:15], 3, v[48:49]
	v_cndmask_b32_e64 v55, v57, v55, s[0:1]
	v_cndmask_b32_e64 v54, v56, v54, s[0:1]
	s_waitcnt lgkmcnt(0)
	global_store_dwordx2 v[54:55], v[52:53], off
	s_or_b64 exec, exec, s[18:19]
	s_and_saveexec_b64 s[18:19], s[40:41]
	s_cbranch_execz .LBB142_24
.LBB142_57:                             ;   in Loop: Header=BB142_7 Depth=1
	ds_read_b64 v[52:53], v61 offset:96
	s_mov_b64 s[66:67], 0x60
	v_lshl_add_u64 v[54:55], v[50:51], 0, s[66:67]
	v_lshl_add_u64 v[56:57], v[16:17], 3, v[48:49]
	v_cndmask_b32_e64 v55, v57, v55, s[0:1]
	v_cndmask_b32_e64 v54, v56, v54, s[0:1]
	s_waitcnt lgkmcnt(0)
	global_store_dwordx2 v[54:55], v[52:53], off
	s_or_b64 exec, exec, s[18:19]
	s_and_saveexec_b64 s[18:19], s[42:43]
	s_cbranch_execz .LBB142_25
.LBB142_58:                             ;   in Loop: Header=BB142_7 Depth=1
	ds_read_b64 v[52:53], v61 offset:128
	s_mov_b64 s[66:67], 0x80
	v_lshl_add_u64 v[54:55], v[50:51], 0, s[66:67]
	v_lshl_add_u64 v[56:57], v[18:19], 3, v[48:49]
	v_cndmask_b32_e64 v55, v57, v55, s[0:1]
	v_cndmask_b32_e64 v54, v56, v54, s[0:1]
	s_waitcnt lgkmcnt(0)
	global_store_dwordx2 v[54:55], v[52:53], off
	s_or_b64 exec, exec, s[18:19]
	s_and_saveexec_b64 s[18:19], s[44:45]
	s_cbranch_execz .LBB142_26
.LBB142_59:                             ;   in Loop: Header=BB142_7 Depth=1
	ds_read_b64 v[52:53], v61 offset:160
	s_mov_b64 s[66:67], 0xa0
	v_lshl_add_u64 v[54:55], v[50:51], 0, s[66:67]
	v_lshl_add_u64 v[56:57], v[20:21], 3, v[48:49]
	v_cndmask_b32_e64 v55, v57, v55, s[0:1]
	v_cndmask_b32_e64 v54, v56, v54, s[0:1]
	s_waitcnt lgkmcnt(0)
	global_store_dwordx2 v[54:55], v[52:53], off
	s_or_b64 exec, exec, s[18:19]
	s_and_saveexec_b64 s[18:19], s[46:47]
	s_cbranch_execz .LBB142_27
.LBB142_60:                             ;   in Loop: Header=BB142_7 Depth=1
	ds_read_b64 v[52:53], v61 offset:192
	s_mov_b64 s[66:67], 0xc0
	v_lshl_add_u64 v[54:55], v[50:51], 0, s[66:67]
	v_lshl_add_u64 v[56:57], v[22:23], 3, v[48:49]
	v_cndmask_b32_e64 v55, v57, v55, s[0:1]
	v_cndmask_b32_e64 v54, v56, v54, s[0:1]
	s_waitcnt lgkmcnt(0)
	global_store_dwordx2 v[54:55], v[52:53], off
	s_or_b64 exec, exec, s[18:19]
	s_and_saveexec_b64 s[18:19], s[48:49]
	s_cbranch_execz .LBB142_28
.LBB142_61:                             ;   in Loop: Header=BB142_7 Depth=1
	ds_read_b64 v[52:53], v61 offset:224
	s_mov_b64 s[66:67], 0xe0
	v_lshl_add_u64 v[54:55], v[50:51], 0, s[66:67]
	v_lshl_add_u64 v[56:57], v[24:25], 3, v[48:49]
	v_cndmask_b32_e64 v55, v57, v55, s[0:1]
	v_cndmask_b32_e64 v54, v56, v54, s[0:1]
	s_waitcnt lgkmcnt(0)
	global_store_dwordx2 v[54:55], v[52:53], off
	s_or_b64 exec, exec, s[18:19]
	s_and_saveexec_b64 s[18:19], s[50:51]
	s_cbranch_execz .LBB142_29
.LBB142_62:                             ;   in Loop: Header=BB142_7 Depth=1
	ds_read_b64 v[52:53], v61 offset:256
	v_lshl_add_u64 v[54:55], v[50:51], 0, s[76:77]
	v_lshl_add_u64 v[56:57], v[26:27], 3, v[48:49]
	v_cndmask_b32_e64 v55, v57, v55, s[0:1]
	v_cndmask_b32_e64 v54, v56, v54, s[0:1]
	s_waitcnt lgkmcnt(0)
	global_store_dwordx2 v[54:55], v[52:53], off
	s_or_b64 exec, exec, s[18:19]
	s_and_saveexec_b64 s[18:19], s[52:53]
	s_cbranch_execz .LBB142_30
.LBB142_63:                             ;   in Loop: Header=BB142_7 Depth=1
	ds_read_b64 v[52:53], v61 offset:288
	v_lshl_add_u64 v[54:55], v[50:51], 0, s[78:79]
	v_lshl_add_u64 v[56:57], v[28:29], 3, v[48:49]
	v_cndmask_b32_e64 v55, v57, v55, s[0:1]
	v_cndmask_b32_e64 v54, v56, v54, s[0:1]
	s_waitcnt lgkmcnt(0)
	global_store_dwordx2 v[54:55], v[52:53], off
	s_or_b64 exec, exec, s[18:19]
	s_and_saveexec_b64 s[18:19], s[54:55]
	s_cbranch_execz .LBB142_31
.LBB142_64:                             ;   in Loop: Header=BB142_7 Depth=1
	ds_read_b64 v[52:53], v61 offset:320
	v_lshl_add_u64 v[54:55], v[50:51], 0, s[80:81]
	v_lshl_add_u64 v[56:57], v[30:31], 3, v[48:49]
	v_cndmask_b32_e64 v55, v57, v55, s[0:1]
	v_cndmask_b32_e64 v54, v56, v54, s[0:1]
	s_waitcnt lgkmcnt(0)
	global_store_dwordx2 v[54:55], v[52:53], off
	s_or_b64 exec, exec, s[18:19]
	s_and_saveexec_b64 s[18:19], s[56:57]
	s_cbranch_execz .LBB142_32
.LBB142_65:                             ;   in Loop: Header=BB142_7 Depth=1
	ds_read_b64 v[52:53], v61 offset:352
	v_lshl_add_u64 v[54:55], v[50:51], 0, s[82:83]
	v_lshl_add_u64 v[56:57], v[32:33], 3, v[48:49]
	v_cndmask_b32_e64 v55, v57, v55, s[0:1]
	v_cndmask_b32_e64 v54, v56, v54, s[0:1]
	s_waitcnt lgkmcnt(0)
	global_store_dwordx2 v[54:55], v[52:53], off
	s_or_b64 exec, exec, s[18:19]
	s_and_saveexec_b64 s[18:19], s[58:59]
	s_cbranch_execz .LBB142_33
.LBB142_66:                             ;   in Loop: Header=BB142_7 Depth=1
	ds_read_b64 v[52:53], v61 offset:384
	v_lshl_add_u64 v[54:55], v[50:51], 0, s[84:85]
	v_lshl_add_u64 v[56:57], v[34:35], 3, v[48:49]
	v_cndmask_b32_e64 v55, v57, v55, s[0:1]
	v_cndmask_b32_e64 v54, v56, v54, s[0:1]
	s_waitcnt lgkmcnt(0)
	global_store_dwordx2 v[54:55], v[52:53], off
	s_or_b64 exec, exec, s[18:19]
	s_and_saveexec_b64 s[18:19], s[60:61]
	s_cbranch_execz .LBB142_34
.LBB142_67:                             ;   in Loop: Header=BB142_7 Depth=1
	ds_read_b64 v[52:53], v61 offset:416
	v_lshl_add_u64 v[54:55], v[50:51], 0, s[86:87]
	v_lshl_add_u64 v[56:57], v[36:37], 3, v[48:49]
	v_cndmask_b32_e64 v55, v57, v55, s[0:1]
	v_cndmask_b32_e64 v54, v56, v54, s[0:1]
	s_waitcnt lgkmcnt(0)
	global_store_dwordx2 v[54:55], v[52:53], off
	s_or_b64 exec, exec, s[18:19]
	s_and_saveexec_b64 s[18:19], s[62:63]
	s_cbranch_execz .LBB142_35
.LBB142_68:                             ;   in Loop: Header=BB142_7 Depth=1
	ds_read_b64 v[52:53], v61 offset:448
	v_lshl_add_u64 v[54:55], v[50:51], 0, s[88:89]
	v_lshl_add_u64 v[56:57], v[38:39], 3, v[48:49]
	v_cndmask_b32_e64 v55, v57, v55, s[0:1]
	v_cndmask_b32_e64 v54, v56, v54, s[0:1]
	s_waitcnt lgkmcnt(0)
	global_store_dwordx2 v[54:55], v[52:53], off
	s_or_b64 exec, exec, s[18:19]
	s_and_saveexec_b64 s[18:19], s[64:65]
	s_cbranch_execnz .LBB142_36
	s_branch .LBB142_37
.LBB142_69:
	s_endpgm
	.section	.rodata,"a",@progbits
	.p2align	6, 0x0
	.amdhsa_kernel _ZN9rocsparseL38csr2bsr_block_per_row_multipass_kernelILj256ELj64EdllEEv20rocsparse_direction_T3_S2_S2_S2_S2_21rocsparse_index_base_PKT1_PKT2_PKS2_S3_PS4_PS7_PS2_
		.amdhsa_group_segment_fixed_size 32776
		.amdhsa_private_segment_fixed_size 0
		.amdhsa_kernarg_size 112
		.amdhsa_user_sgpr_count 2
		.amdhsa_user_sgpr_dispatch_ptr 0
		.amdhsa_user_sgpr_queue_ptr 0
		.amdhsa_user_sgpr_kernarg_segment_ptr 1
		.amdhsa_user_sgpr_dispatch_id 0
		.amdhsa_user_sgpr_kernarg_preload_length 0
		.amdhsa_user_sgpr_kernarg_preload_offset 0
		.amdhsa_user_sgpr_private_segment_size 0
		.amdhsa_uses_dynamic_stack 0
		.amdhsa_enable_private_segment 0
		.amdhsa_system_sgpr_workgroup_id_x 1
		.amdhsa_system_sgpr_workgroup_id_y 0
		.amdhsa_system_sgpr_workgroup_id_z 0
		.amdhsa_system_sgpr_workgroup_info 0
		.amdhsa_system_vgpr_workitem_id 0
		.amdhsa_next_free_vgpr 71
		.amdhsa_next_free_sgpr 100
		.amdhsa_accum_offset 72
		.amdhsa_reserve_vcc 1
		.amdhsa_float_round_mode_32 0
		.amdhsa_float_round_mode_16_64 0
		.amdhsa_float_denorm_mode_32 3
		.amdhsa_float_denorm_mode_16_64 3
		.amdhsa_dx10_clamp 1
		.amdhsa_ieee_mode 1
		.amdhsa_fp16_overflow 0
		.amdhsa_tg_split 0
		.amdhsa_exception_fp_ieee_invalid_op 0
		.amdhsa_exception_fp_denorm_src 0
		.amdhsa_exception_fp_ieee_div_zero 0
		.amdhsa_exception_fp_ieee_overflow 0
		.amdhsa_exception_fp_ieee_underflow 0
		.amdhsa_exception_fp_ieee_inexact 0
		.amdhsa_exception_int_div_zero 0
	.end_amdhsa_kernel
	.section	.text._ZN9rocsparseL38csr2bsr_block_per_row_multipass_kernelILj256ELj64EdllEEv20rocsparse_direction_T3_S2_S2_S2_S2_21rocsparse_index_base_PKT1_PKT2_PKS2_S3_PS4_PS7_PS2_,"axG",@progbits,_ZN9rocsparseL38csr2bsr_block_per_row_multipass_kernelILj256ELj64EdllEEv20rocsparse_direction_T3_S2_S2_S2_S2_21rocsparse_index_base_PKT1_PKT2_PKS2_S3_PS4_PS7_PS2_,comdat
.Lfunc_end142:
	.size	_ZN9rocsparseL38csr2bsr_block_per_row_multipass_kernelILj256ELj64EdllEEv20rocsparse_direction_T3_S2_S2_S2_S2_21rocsparse_index_base_PKT1_PKT2_PKS2_S3_PS4_PS7_PS2_, .Lfunc_end142-_ZN9rocsparseL38csr2bsr_block_per_row_multipass_kernelILj256ELj64EdllEEv20rocsparse_direction_T3_S2_S2_S2_S2_21rocsparse_index_base_PKT1_PKT2_PKS2_S3_PS4_PS7_PS2_
                                        ; -- End function
	.section	.AMDGPU.csdata,"",@progbits
; Kernel info:
; codeLenInByte = 4448
; NumSgprs: 106
; NumVgprs: 71
; NumAgprs: 0
; TotalNumVgprs: 71
; ScratchSize: 0
; MemoryBound: 0
; FloatMode: 240
; IeeeMode: 1
; LDSByteSize: 32776 bytes/workgroup (compile time only)
; SGPRBlocks: 13
; VGPRBlocks: 8
; NumSGPRsForWavesPerEU: 106
; NumVGPRsForWavesPerEU: 71
; AccumOffset: 72
; Occupancy: 1
; WaveLimiterHint : 1
; COMPUTE_PGM_RSRC2:SCRATCH_EN: 0
; COMPUTE_PGM_RSRC2:USER_SGPR: 2
; COMPUTE_PGM_RSRC2:TRAP_HANDLER: 0
; COMPUTE_PGM_RSRC2:TGID_X_EN: 1
; COMPUTE_PGM_RSRC2:TGID_Y_EN: 0
; COMPUTE_PGM_RSRC2:TGID_Z_EN: 0
; COMPUTE_PGM_RSRC2:TIDIG_COMP_CNT: 0
; COMPUTE_PGM_RSRC3_GFX90A:ACCUM_OFFSET: 17
; COMPUTE_PGM_RSRC3_GFX90A:TG_SPLIT: 0
	.section	.text._ZN9rocsparseL21csr2bsr_65_inf_kernelILj32EdllEEv20rocsparse_direction_T2_S2_S2_S2_S2_S2_21rocsparse_index_base_PKT0_PKT1_PKS2_S3_PS4_PS7_PS2_SD_SE_SC_,"axG",@progbits,_ZN9rocsparseL21csr2bsr_65_inf_kernelILj32EdllEEv20rocsparse_direction_T2_S2_S2_S2_S2_S2_21rocsparse_index_base_PKT0_PKT1_PKS2_S3_PS4_PS7_PS2_SD_SE_SC_,comdat
	.globl	_ZN9rocsparseL21csr2bsr_65_inf_kernelILj32EdllEEv20rocsparse_direction_T2_S2_S2_S2_S2_S2_21rocsparse_index_base_PKT0_PKT1_PKS2_S3_PS4_PS7_PS2_SD_SE_SC_ ; -- Begin function _ZN9rocsparseL21csr2bsr_65_inf_kernelILj32EdllEEv20rocsparse_direction_T2_S2_S2_S2_S2_S2_21rocsparse_index_base_PKT0_PKT1_PKS2_S3_PS4_PS7_PS2_SD_SE_SC_
	.p2align	8
	.type	_ZN9rocsparseL21csr2bsr_65_inf_kernelILj32EdllEEv20rocsparse_direction_T2_S2_S2_S2_S2_S2_21rocsparse_index_base_PKT0_PKT1_PKS2_S3_PS4_PS7_PS2_SD_SE_SC_,@function
_ZN9rocsparseL21csr2bsr_65_inf_kernelILj32EdllEEv20rocsparse_direction_T2_S2_S2_S2_S2_S2_21rocsparse_index_base_PKT0_PKT1_PKS2_S3_PS4_PS7_PS2_SD_SE_SC_: ; @_ZN9rocsparseL21csr2bsr_65_inf_kernelILj32EdllEEv20rocsparse_direction_T2_S2_S2_S2_S2_S2_21rocsparse_index_base_PKT0_PKT1_PKS2_S3_PS4_PS7_PS2_SD_SE_SC_
; %bb.0:
	s_load_dwordx2 s[4:5], s[0:1], 0x18
	s_load_dwordx4 s[8:11], s[0:1], 0x8
	s_mov_b32 s3, 0
	s_mov_b64 s[6:7], 0
	s_waitcnt lgkmcnt(0)
	v_mov_b32_e32 v2, s4
	v_mov_b32_e32 v3, s5
	s_load_dwordx2 s[4:5], s[0:1], 0x78
	s_load_dword s16, s[0:1], 0x58
	v_cmp_ge_i64_e32 vcc, s[2:3], v[2:3]
	s_cbranch_vccnz .LBB143_2
; %bb.1:
	s_load_dwordx2 s[6:7], s[0:1], 0x68
	s_lshl_b64 s[12:13], s[2:3], 3
	s_waitcnt lgkmcnt(0)
	s_add_u32 s6, s6, s12
	s_addc_u32 s7, s7, s13
	s_load_dwordx2 s[6:7], s[6:7], 0x0
	s_waitcnt lgkmcnt(0)
	s_sub_u32 s6, s6, s16
	s_subb_u32 s7, s7, 0
.LBB143_2:
	s_load_dwordx4 s[12:15], s[0:1], 0x28
	s_load_dword s33, s[0:1], 0x38
	v_mov_b32_e32 v1, 0
	s_waitcnt lgkmcnt(0)
	s_mul_i32 s3, s2, s15
	s_mul_hi_u32 s17, s2, s14
	s_mul_i32 s18, s2, s14
	s_add_i32 s19, s17, s3
	s_lshl_b64 s[18:19], s[18:19], 9
	s_add_u32 s4, s4, s18
	s_addc_u32 s5, s5, s19
	v_mad_u64_u32 v[2:3], s[18:19], v0, s14, 0
	v_mov_b32_e32 v4, v3
	v_mad_u64_u32 v[4:5], s[18:19], v0, s15, v[4:5]
	v_mov_b32_e32 v3, v4
	v_lshlrev_b64 v[8:9], 3, v[2:3]
	s_lshl_b64 s[18:19], s[14:15], 8
	v_lshl_add_u64 v[2:3], s[4:5], 0, v[8:9]
	s_add_u32 s4, s4, s18
	s_addc_u32 s5, s5, s19
	v_lshl_add_u64 v[4:5], s[4:5], 0, v[8:9]
	v_cmp_lt_i64_e64 s[4:5], s[14:15], 1
	v_cmp_gt_i64_e64 s[36:37], s[14:15], 0
	s_and_b64 vcc, exec, s[4:5]
	s_cbranch_vccnz .LBB143_7
; %bb.3:
	s_load_dwordx2 s[4:5], s[0:1], 0x48
	v_mov_b32_e32 v6, s12
	s_mul_i32 s17, s2, s13
	s_mul_hi_u32 s3, s2, s12
	v_mad_u64_u32 v[6:7], s[20:21], s2, v6, v[0:1]
	s_add_i32 s19, s3, s17
	s_mov_b32 s3, 0
	v_add_u32_e32 v7, s17, v7
	s_waitcnt lgkmcnt(0)
	v_lshl_add_u64 v[6:7], v[6:7], 3, s[4:5]
	s_mov_b32 s4, s3
	s_mov_b32 s5, s3
	s_mul_i32 s18, s2, s12
	v_lshl_add_u64 v[6:7], v[6:7], 0, 8
	v_mov_b64_e32 v[10:11], s[4:5]
	s_mov_b64 s[20:21], 0x100
	v_mov_b64_e32 v[12:13], v[4:5]
	v_mov_b64_e32 v[14:15], v[2:3]
	v_mov_b64_e32 v[16:17], v[0:1]
	s_mov_b64 s[22:23], s[14:15]
	s_branch .LBB143_5
.LBB143_4:                              ;   in Loop: Header=BB143_5 Depth=1
	s_or_b64 exec, exec, s[4:5]
	s_add_u32 s22, s22, -1
	s_addc_u32 s23, s23, -1
	v_lshl_add_u64 v[16:17], v[16:17], 0, 32
	v_lshl_add_u64 v[14:15], v[14:15], 0, 8
	;; [unrolled: 1-line block ×3, first 2 shown]
	s_cmp_eq_u64 s[22:23], 0
	v_lshl_add_u64 v[12:13], v[12:13], 0, 8
	s_cbranch_scc1 .LBB143_7
.LBB143_5:                              ; =>This Inner Loop Header: Depth=1
	v_lshl_add_u64 v[18:19], s[18:19], 0, v[16:17]
	v_cmp_gt_i64_e32 vcc, s[8:9], v[18:19]
	v_cmp_gt_i64_e64 s[4:5], s[12:13], v[16:17]
	s_and_b64 s[24:25], vcc, s[4:5]
	global_store_dwordx2 v[14:15], v[10:11], off
	global_store_dwordx2 v[12:13], v[10:11], off
	s_and_saveexec_b64 s[4:5], s[24:25]
	s_cbranch_execz .LBB143_4
; %bb.6:                                ;   in Loop: Header=BB143_5 Depth=1
	global_load_dwordx4 v[18:21], v[6:7], off offset:-8
	v_mov_b32_e32 v22, s3
	s_waitcnt vmcnt(0)
	v_subrev_co_u32_e32 v18, vcc, s33, v18
	s_nop 1
	v_subb_co_u32_e32 v19, vcc, v19, v22, vcc
	v_subrev_co_u32_e32 v20, vcc, s33, v20
	s_nop 1
	v_subb_co_u32_e32 v21, vcc, v21, v22, vcc
	global_store_dwordx2 v[14:15], v[18:19], off
	global_store_dwordx2 v[12:13], v[20:21], off
	s_branch .LBB143_4
.LBB143_7:
	v_cmp_lt_i64_e64 s[4:5], s[10:11], 1
	s_and_b64 vcc, exec, s[4:5]
	s_cbranch_vccnz .LBB143_52
; %bb.8:
	s_load_dwordx4 s[20:23], s[0:1], 0x80
	s_load_dwordx2 s[4:5], s[0:1], 0x70
	s_lshl_b64 s[8:9], s[14:15], 5
	s_mul_i32 s3, s9, s2
	s_mul_hi_u32 s9, s8, s2
	s_add_i32 s3, s9, s3
	s_mul_i32 s2, s8, s2
	s_lshl_b64 s[2:3], s[2:3], 3
	s_waitcnt lgkmcnt(0)
	s_add_u32 s8, s20, s2
	s_addc_u32 s9, s21, s3
	v_lshl_add_u64 v[6:7], s[8:9], 0, v[8:9]
	s_add_u32 s2, s22, s2
	s_load_dwordx2 s[8:9], s[0:1], 0x60
	s_load_dwordx2 s[18:19], s[0:1], 0x50
	;; [unrolled: 1-line block ×3, first 2 shown]
	s_load_dword s24, s[0:1], 0x0
	s_addc_u32 s3, s23, s3
	v_lshl_add_u64 v[8:9], s[2:3], 0, v[8:9]
	s_lshl_b64 s[2:3], s[6:7], 3
	s_add_u32 s22, s4, s2
	s_addc_u32 s23, s5, s3
	v_mbcnt_lo_u32_b32 v11, -1, 0
	v_mov_b32_e32 v10, 0
	v_mbcnt_hi_u32_b32 v11, -1, v11
	v_mov_b32_e32 v12, 0x7c
	s_waitcnt lgkmcnt(0)
	s_cmp_lg_u32 s24, 0
	s_mov_b32 s48, 0
	v_lshl_or_b32 v38, v11, 2, v12
	s_cselect_b64 s[24:25], -1, 0
	s_add_u32 s26, s6, -1
	v_lshlrev_b32_e32 v12, 3, v0
	v_mov_b32_e32 v13, v10
	v_mov_b64_e32 v[18:19], 0
	v_cndmask_b32_e64 v11, 0, 1, s[36:37]
	v_cmp_eq_u32_e64 s[0:1], 31, v0
	s_mov_b32 s17, s48
	s_addc_u32 s27, s7, -1
	s_lshl_b64 s[28:29], s[12:13], 3
	s_lshl_b64 s[30:31], s[12:13], 8
	v_lshl_add_u64 v[12:13], s[8:9], 0, v[12:13]
	s_mov_b64 s[34:35], 0
	v_cmp_ne_u32_e64 s[2:3], 1, v11
	s_mov_b64 s[36:37], 0x100
	v_mov_b64_e32 v[16:17], v[18:19]
	v_mov_b64_e32 v[14:15], v[18:19]
	s_branch .LBB143_10
.LBB143_9:                              ;   in Loop: Header=BB143_10 Depth=1
	s_waitcnt lgkmcnt(2)
	v_lshl_add_u64 v[18:19], v[18:19], 0, 1
	v_cmp_le_i64_e32 vcc, s[10:11], v[18:19]
	s_or_b64 s[34:35], vcc, s[34:35]
	s_andn2_b64 exec, exec, s[34:35]
	s_cbranch_execz .LBB143_52
.LBB143_10:                             ; =>This Loop Header: Depth=1
                                        ;     Child Loop BB143_14 Depth 2
                                        ;       Child Loop BB143_17 Depth 3
                                        ;     Child Loop BB143_33 Depth 2
	s_and_b64 vcc, exec, s[2:3]
	v_mov_b64_e32 v[20:21], s[10:11]
	s_cbranch_vccnz .LBB143_23
; %bb.11:                               ;   in Loop: Header=BB143_10 Depth=1
	s_mov_b64 s[4:5], 0
	v_mov_b64_e32 v[20:21], s[10:11]
	s_branch .LBB143_14
.LBB143_12:                             ;   in Loop: Header=BB143_14 Depth=2
	s_or_b64 exec, exec, s[38:39]
.LBB143_13:                             ;   in Loop: Header=BB143_14 Depth=2
	s_or_b64 exec, exec, s[6:7]
	s_add_u32 s4, s4, 1
	s_addc_u32 s5, s5, 0
	s_cmp_eq_u64 s[4:5], s[14:15]
	s_cbranch_scc1 .LBB143_23
.LBB143_14:                             ;   Parent Loop BB143_10 Depth=1
                                        ; =>  This Loop Header: Depth=2
                                        ;       Child Loop BB143_17 Depth 3
	s_lshl_b64 s[6:7], s[4:5], 3
	v_lshl_add_u64 v[22:23], v[2:3], 0, s[6:7]
	v_lshl_add_u64 v[24:25], v[4:5], 0, s[6:7]
	global_load_dwordx2 v[34:35], v[22:23], off
	global_load_dwordx2 v[32:33], v[24:25], off
	v_lshl_add_u64 v[24:25], v[8:9], 0, s[6:7]
	v_mov_b32_e32 v11, v10
	v_lshl_add_u64 v[26:27], v[6:7], 0, s[6:7]
	v_mov_b64_e32 v[28:29], s[10:11]
	global_store_dwordx2 v[24:25], v[10:11], off
	global_store_dwordx2 v[26:27], v[28:29], off
	s_waitcnt vmcnt(2)
	v_cmp_lt_i64_e32 vcc, v[34:35], v[32:33]
	s_and_saveexec_b64 s[6:7], vcc
	s_cbranch_execz .LBB143_13
; %bb.15:                               ;   in Loop: Header=BB143_14 Depth=2
	v_lshl_add_u64 v[36:37], v[34:35], 3, s[18:19]
	s_mov_b64 s[38:39], 0
                                        ; implicit-def: $sgpr40_sgpr41
                                        ; implicit-def: $sgpr44_sgpr45
                                        ; implicit-def: $sgpr42_sgpr43
	s_branch .LBB143_17
.LBB143_16:                             ;   in Loop: Header=BB143_17 Depth=3
	s_or_b64 exec, exec, s[46:47]
	s_and_b64 s[46:47], exec, s[44:45]
	s_or_b64 s[38:39], s[46:47], s[38:39]
	s_andn2_b64 s[40:41], s[40:41], exec
	s_and_b64 s[46:47], s[42:43], exec
	s_or_b64 s[40:41], s[40:41], s[46:47]
	s_andn2_b64 exec, exec, s[38:39]
	s_cbranch_execz .LBB143_19
.LBB143_17:                             ;   Parent Loop BB143_10 Depth=1
                                        ;     Parent Loop BB143_14 Depth=2
                                        ; =>    This Inner Loop Header: Depth=3
	global_load_dwordx2 v[30:31], v[36:37], off
	v_mov_b32_e32 v11, s48
	v_mov_b64_e32 v[28:29], v[34:35]
	s_or_b64 s[42:43], s[42:43], exec
	s_or_b64 s[44:45], s[44:45], exec
                                        ; implicit-def: $vgpr34_vgpr35
	s_waitcnt vmcnt(0)
	v_subrev_co_u32_e32 v30, vcc, s33, v30
	s_nop 1
	v_subb_co_u32_e32 v31, vcc, v31, v11, vcc
	v_cmp_lt_i64_e32 vcc, v[30:31], v[18:19]
	s_and_saveexec_b64 s[46:47], vcc
	s_cbranch_execz .LBB143_16
; %bb.18:                               ;   in Loop: Header=BB143_17 Depth=3
	v_lshl_add_u64 v[34:35], v[28:29], 0, 1
	v_cmp_ge_i64_e32 vcc, v[34:35], v[32:33]
	s_andn2_b64 s[44:45], s[44:45], exec
	s_and_b64 s[50:51], vcc, exec
	v_lshl_add_u64 v[36:37], v[36:37], 0, 8
	s_andn2_b64 s[42:43], s[42:43], exec
	s_or_b64 s[44:45], s[44:45], s[50:51]
	s_branch .LBB143_16
.LBB143_19:                             ;   in Loop: Header=BB143_14 Depth=2
	s_or_b64 exec, exec, s[38:39]
	s_xor_b64 s[38:39], s[40:41], -1
	v_lshl_add_u64 v[32:33], v[28:29], 3, s[20:21]
	s_and_saveexec_b64 s[40:41], s[38:39]
	s_xor_b64 s[38:39], exec, s[40:41]
	s_cbranch_execz .LBB143_21
; %bb.20:                               ;   in Loop: Header=BB143_14 Depth=2
	global_load_dwordx2 v[22:23], v[32:33], off
                                        ; implicit-def: $vgpr32_vgpr33
	s_waitcnt vmcnt(0)
	global_store_dwordx2 v[24:25], v[22:23], off
	global_store_dwordx2 v[26:27], v[30:31], off
                                        ; implicit-def: $vgpr24_vgpr25
                                        ; implicit-def: $vgpr26_vgpr27
                                        ; implicit-def: $vgpr22_vgpr23
.LBB143_21:                             ;   in Loop: Header=BB143_14 Depth=2
	s_andn2_saveexec_b64 s[38:39], s[38:39]
	s_cbranch_execz .LBB143_12
; %bb.22:                               ;   in Loop: Header=BB143_14 Depth=2
	global_load_dwordx2 v[32:33], v[32:33], off
	v_cmp_lt_i64_e32 vcc, v[30:31], v[20:21]
	global_store_dwordx2 v[26:27], v[30:31], off
	s_waitcnt vmcnt(1)
	global_store_dwordx2 v[24:25], v[32:33], off
	global_store_dwordx2 v[22:23], v[28:29], off
	v_cndmask_b32_e32 v21, v21, v31, vcc
	v_cndmask_b32_e32 v20, v20, v30, vcc
	s_branch .LBB143_12
.LBB143_23:                             ;   in Loop: Header=BB143_10 Depth=1
	s_nop 0
	v_mov_b32_dpp v18, v20 row_shr:1 row_mask:0xf bank_mask:0xf
	v_mov_b32_dpp v19, v21 row_shr:1 row_mask:0xf bank_mask:0xf
	v_cmp_lt_i64_e32 vcc, v[18:19], v[20:21]
	s_nop 1
	v_cndmask_b32_e32 v19, v21, v19, vcc
	v_cndmask_b32_e32 v18, v20, v18, vcc
	s_nop 0
	v_mov_b32_dpp v21, v19 row_shr:2 row_mask:0xf bank_mask:0xf
	v_mov_b32_dpp v20, v18 row_shr:2 row_mask:0xf bank_mask:0xf
	v_cmp_lt_i64_e32 vcc, v[20:21], v[18:19]
	s_nop 1
	v_cndmask_b32_e32 v19, v19, v21, vcc
	v_cndmask_b32_e32 v18, v18, v20, vcc
	;; [unrolled: 7-line block ×4, first 2 shown]
	s_nop 0
	v_mov_b32_dpp v21, v19 row_bcast:15 row_mask:0xa bank_mask:0xf
	v_mov_b32_dpp v20, v18 row_bcast:15 row_mask:0xa bank_mask:0xf
	v_cmp_lt_i64_e32 vcc, v[20:21], v[18:19]
	s_nop 1
	v_cndmask_b32_e32 v19, v19, v21, vcc
	v_cndmask_b32_e32 v18, v18, v20, vcc
	v_cmp_gt_i64_e32 vcc, s[10:11], v[18:19]
	s_and_b64 s[4:5], s[0:1], vcc
	s_and_saveexec_b64 s[6:7], s[4:5]
	s_cbranch_execz .LBB143_29
; %bb.24:                               ;   in Loop: Header=BB143_10 Depth=1
	v_or_b32_e32 v11, s13, v19
	v_cmp_ne_u64_e32 vcc, 0, v[10:11]
                                        ; implicit-def: $vgpr20_vgpr21
	s_and_saveexec_b64 s[4:5], vcc
	s_xor_b64 s[38:39], exec, s[4:5]
	s_cbranch_execnz .LBB143_50
; %bb.25:                               ;   in Loop: Header=BB143_10 Depth=1
	s_andn2_saveexec_b64 s[4:5], s[38:39]
	s_cbranch_execnz .LBB143_51
.LBB143_26:                             ;   in Loop: Header=BB143_10 Depth=1
	s_or_b64 exec, exec, s[4:5]
	v_cmp_ge_i64_e32 vcc, v[20:21], v[16:17]
	s_and_saveexec_b64 s[4:5], vcc
	s_cbranch_execz .LBB143_28
.LBB143_27:                             ;   in Loop: Header=BB143_10 Depth=1
	v_lshl_add_u64 v[16:17], v[20:21], 0, s[16:17]
	s_waitcnt lgkmcnt(0)
	v_lshl_add_u64 v[22:23], v[14:15], 3, s[22:23]
	global_store_dwordx2 v[22:23], v[16:17], off
	v_lshl_add_u64 v[14:15], v[14:15], 0, 1
	v_lshl_add_u64 v[16:17], v[20:21], 0, 1
.LBB143_28:                             ;   in Loop: Header=BB143_10 Depth=1
	s_or_b64 exec, exec, s[4:5]
.LBB143_29:                             ;   in Loop: Header=BB143_10 Depth=1
	s_or_b64 exec, exec, s[6:7]
	ds_bpermute_b32 v18, v38, v18
	ds_bpermute_b32 v19, v38, v19
	s_waitcnt lgkmcnt(3)
	ds_bpermute_b32 v14, v38, v14
	s_waitcnt lgkmcnt(3)
	ds_bpermute_b32 v15, v38, v15
	s_and_b64 vcc, exec, s[2:3]
	s_cbranch_vccnz .LBB143_9
; %bb.30:                               ;   in Loop: Header=BB143_10 Depth=1
	s_waitcnt lgkmcnt(0)
	v_lshl_add_u64 v[20:21], s[26:27], 0, v[14:15]
	v_mov_b32_e32 v11, v15
	v_mul_lo_u32 v24, v21, s12
	v_mul_lo_u32 v25, v20, s13
	v_mad_u64_u32 v[20:21], s[4:5], v20, s12, 0
	v_mov_b32_e32 v22, v14
	v_mov_b32_e32 v23, v10
	v_add3_u32 v21, v21, v25, v24
	v_lshl_add_u64 v[24:25], s[26:27], 0, v[10:11]
	v_lshl_add_u64 v[22:23], v[24:25], 0, v[22:23]
	v_mul_lo_u32 v11, s12, v23
	v_mul_lo_u32 v24, s13, v22
	v_mad_u64_u32 v[22:23], s[4:5], s12, v22, v[0:1]
	v_add3_u32 v11, v24, v23, v11
	v_mov_b64_e32 v[24:25], s[8:9]
	v_mul_lo_u32 v11, s28, v11
	v_mul_lo_u32 v26, s29, v22
	v_mad_u64_u32 v[22:23], s[4:5], s28, v22, v[24:25]
	v_add3_u32 v23, v26, v23, v11
	v_mov_b64_e32 v[24:25], v[6:7]
	v_mov_b64_e32 v[26:27], v[8:9]
	;; [unrolled: 1-line block ×3, first 2 shown]
	s_mov_b64 s[38:39], s[14:15]
	s_branch .LBB143_33
.LBB143_31:                             ;   in Loop: Header=BB143_33 Depth=2
	s_or_b64 exec, exec, s[4:5]
	global_load_dwordx2 v[30:31], v[26:27], off
	v_lshl_add_u64 v[32:33], v[32:33], 3, v[22:23]
	s_waitcnt vmcnt(0)
	global_store_dwordx2 v[32:33], v[30:31], off
.LBB143_32:                             ;   in Loop: Header=BB143_33 Depth=2
	s_or_b64 exec, exec, s[40:41]
	s_add_u32 s38, s38, -1
	s_addc_u32 s39, s39, -1
	v_lshl_add_u64 v[22:23], v[22:23], 0, s[30:31]
	v_lshl_add_u64 v[28:29], v[28:29], 0, s[36:37]
	v_lshl_add_u64 v[26:27], v[26:27], 0, 8
	s_cmp_eq_u64 s[38:39], 0
	v_lshl_add_u64 v[24:25], v[24:25], 0, 8
	s_cbranch_scc1 .LBB143_9
.LBB143_33:                             ;   Parent Loop BB143_10 Depth=1
                                        ; =>  This Inner Loop Header: Depth=2
	global_load_dwordx2 v[30:31], v[24:25], off
	s_waitcnt vmcnt(0)
	v_cmp_gt_i64_e32 vcc, s[10:11], v[30:31]
	s_and_saveexec_b64 s[40:41], vcc
	s_cbranch_execz .LBB143_32
; %bb.34:                               ;   in Loop: Header=BB143_33 Depth=2
	v_or_b32_e32 v36, s13, v31
	v_mov_b32_e32 v11, v36
	v_cmp_ne_u64_e32 vcc, 0, v[10:11]
                                        ; implicit-def: $vgpr32_vgpr33
	s_and_saveexec_b64 s[4:5], vcc
	s_xor_b64 s[6:7], exec, s[4:5]
	s_cbranch_execz .LBB143_36
; %bb.35:                               ;   in Loop: Header=BB143_33 Depth=2
	s_ashr_i32 s42, s13, 31
	s_add_u32 s4, s12, s42
	s_mov_b32 s43, s42
	s_addc_u32 s5, s13, s42
	s_xor_b64 s[44:45], s[4:5], s[42:43]
	v_cvt_f32_u32_e32 v11, s44
	v_cvt_f32_u32_e32 v32, s45
	s_sub_u32 s4, 0, s44
	s_subb_u32 s5, 0, s45
	v_mov_b32_e32 v35, v10
	v_fmac_f32_e32 v11, 0x4f800000, v32
	v_rcp_f32_e32 v11, v11
	s_nop 0
	v_mul_f32_e32 v11, 0x5f7ffffc, v11
	v_mul_f32_e32 v32, 0x2f800000, v11
	v_trunc_f32_e32 v32, v32
	v_fmac_f32_e32 v11, 0xcf800000, v32
	v_cvt_u32_f32_e32 v37, v32
	v_cvt_u32_f32_e32 v11, v11
	v_mul_lo_u32 v32, s4, v37
	v_mul_hi_u32 v34, s4, v11
	v_mul_lo_u32 v33, s5, v11
	v_add_u32_e32 v32, v34, v32
	v_mul_lo_u32 v39, s4, v11
	v_add_u32_e32 v40, v32, v33
	v_mul_hi_u32 v33, v11, v40
	v_mul_lo_u32 v32, v11, v40
	v_mul_hi_u32 v34, v11, v39
	v_lshl_add_u64 v[32:33], v[34:35], 0, v[32:33]
	v_mul_hi_u32 v35, v37, v39
	v_mul_lo_u32 v39, v37, v39
	v_add_co_u32_e32 v32, vcc, v32, v39
	v_mul_hi_u32 v34, v37, v40
	s_nop 0
	v_addc_co_u32_e32 v32, vcc, v33, v35, vcc
	v_mov_b32_e32 v33, v10
	s_nop 0
	v_addc_co_u32_e32 v35, vcc, 0, v34, vcc
	v_mul_lo_u32 v34, v37, v40
	v_lshl_add_u64 v[32:33], v[32:33], 0, v[34:35]
	v_add_co_u32_e32 v11, vcc, v11, v32
	v_mul_lo_u32 v34, s4, v11
	s_nop 0
	v_addc_co_u32_e32 v37, vcc, v37, v33, vcc
	v_mul_lo_u32 v32, s4, v37
	v_mul_hi_u32 v33, s4, v11
	v_add_u32_e32 v32, v33, v32
	v_mul_lo_u32 v33, s5, v11
	v_add_u32_e32 v39, v32, v33
	v_mul_hi_u32 v41, v37, v34
	v_mul_lo_u32 v42, v37, v34
	v_mul_hi_u32 v33, v11, v39
	v_mul_lo_u32 v32, v11, v39
	v_mul_hi_u32 v34, v11, v34
	v_mov_b32_e32 v35, v10
	v_lshl_add_u64 v[32:33], v[34:35], 0, v[32:33]
	v_add_co_u32_e32 v32, vcc, v32, v42
	v_mul_hi_u32 v40, v37, v39
	s_nop 0
	v_addc_co_u32_e32 v32, vcc, v33, v41, vcc
	v_mul_lo_u32 v34, v37, v39
	s_nop 0
	v_addc_co_u32_e32 v35, vcc, 0, v40, vcc
	v_mov_b32_e32 v33, v10
	v_lshl_add_u64 v[32:33], v[32:33], 0, v[34:35]
	v_add_co_u32_e32 v11, vcc, v11, v32
	v_ashrrev_i32_e32 v32, 31, v31
	s_nop 0
	v_addc_co_u32_e32 v37, vcc, v37, v33, vcc
	v_mov_b32_e32 v33, v32
	v_lshl_add_u64 v[34:35], v[30:31], 0, v[32:33]
	v_xor_b32_e32 v39, v34, v32
	v_xor_b32_e32 v33, v35, v32
	v_mad_u64_u32 v[34:35], s[4:5], v39, v37, 0
	v_mul_hi_u32 v40, v39, v11
	v_mov_b32_e32 v41, v10
	v_lshl_add_u64 v[34:35], v[40:41], 0, v[34:35]
	v_mad_u64_u32 v[42:43], s[4:5], v33, v11, 0
	v_add_co_u32_e32 v11, vcc, v34, v42
	v_mad_u64_u32 v[40:41], s[4:5], v33, v37, 0
	s_nop 0
	v_addc_co_u32_e32 v34, vcc, v35, v43, vcc
	v_mov_b32_e32 v35, v10
	s_nop 0
	v_addc_co_u32_e32 v41, vcc, 0, v41, vcc
	v_lshl_add_u64 v[34:35], v[34:35], 0, v[40:41]
	v_mul_lo_u32 v11, s45, v34
	v_mul_lo_u32 v37, s44, v35
	v_mad_u64_u32 v[40:41], s[4:5], s44, v34, 0
	v_add3_u32 v11, v41, v37, v11
	v_sub_u32_e32 v37, v33, v11
	v_mov_b32_e32 v41, s45
	v_sub_co_u32_e32 v39, vcc, v39, v40
	v_lshl_add_u64 v[42:43], v[34:35], 0, 1
	s_nop 0
	v_subb_co_u32_e64 v37, s[4:5], v37, v41, vcc
	v_subrev_co_u32_e64 v40, s[4:5], s44, v39
	v_subb_co_u32_e32 v11, vcc, v33, v11, vcc
	s_nop 0
	v_subbrev_co_u32_e64 v37, s[4:5], 0, v37, s[4:5]
	v_cmp_le_u32_e64 s[4:5], s45, v37
	v_cmp_le_u32_e32 vcc, s45, v11
	s_nop 0
	v_cndmask_b32_e64 v41, 0, -1, s[4:5]
	v_cmp_le_u32_e64 s[4:5], s44, v40
	v_cndmask_b32_e64 v33, 0, -1, vcc
	v_cmp_le_u32_e32 vcc, s44, v39
	v_cndmask_b32_e64 v40, 0, -1, s[4:5]
	v_cmp_eq_u32_e64 s[4:5], s45, v37
	v_cndmask_b32_e64 v39, 0, -1, vcc
	v_cmp_eq_u32_e32 vcc, s45, v11
	v_cndmask_b32_e64 v37, v41, v40, s[4:5]
	v_lshl_add_u64 v[40:41], v[34:35], 0, 2
	v_cmp_ne_u32_e64 s[4:5], 0, v37
	v_cndmask_b32_e32 v11, v33, v39, vcc
	v_cmp_ne_u32_e32 vcc, 0, v11
	v_cndmask_b32_e64 v33, v42, v40, s[4:5]
	v_cndmask_b32_e64 v37, v43, v41, s[4:5]
	v_cndmask_b32_e32 v33, v34, v33, vcc
	v_xor_b32_e32 v34, s42, v32
	v_cndmask_b32_e32 v11, v35, v37, vcc
	v_xor_b32_e32 v32, v33, v34
	v_xor_b32_e32 v11, v11, v34
	v_sub_co_u32_e32 v32, vcc, v32, v34
	s_nop 1
	v_subb_co_u32_e32 v33, vcc, v11, v34, vcc
.LBB143_36:                             ;   in Loop: Header=BB143_33 Depth=2
	s_andn2_saveexec_b64 s[4:5], s[6:7]
	s_cbranch_execz .LBB143_38
; %bb.37:                               ;   in Loop: Header=BB143_33 Depth=2
	v_cvt_f32_u32_e32 v11, s12
	s_sub_i32 s6, 0, s12
	v_rcp_iflag_f32_e32 v11, v11
	s_nop 0
	v_mul_f32_e32 v11, 0x4f7ffffe, v11
	v_cvt_u32_f32_e32 v11, v11
	v_mul_lo_u32 v32, s6, v11
	v_mul_hi_u32 v32, v11, v32
	v_add_u32_e32 v11, v11, v32
	v_mul_hi_u32 v11, v30, v11
	v_mul_lo_u32 v32, v11, s12
	v_sub_u32_e32 v32, v30, v32
	v_add_u32_e32 v33, 1, v11
	v_subrev_u32_e32 v34, s12, v32
	v_cmp_le_u32_e32 vcc, s12, v32
	s_nop 1
	v_cndmask_b32_e32 v32, v32, v34, vcc
	v_cndmask_b32_e32 v11, v11, v33, vcc
	v_add_u32_e32 v33, 1, v11
	v_cmp_le_u32_e32 vcc, s12, v32
	s_nop 1
	v_cndmask_b32_e32 v32, v11, v33, vcc
	v_mov_b32_e32 v33, v10
.LBB143_38:                             ;   in Loop: Header=BB143_33 Depth=2
	s_or_b64 exec, exec, s[4:5]
	v_or_b32_e32 v11, s13, v19
	v_cmp_ne_u64_e32 vcc, 0, v[10:11]
                                        ; implicit-def: $vgpr34_vgpr35
	s_and_saveexec_b64 s[4:5], vcc
	s_xor_b64 s[6:7], exec, s[4:5]
	s_cbranch_execnz .LBB143_41
; %bb.39:                               ;   in Loop: Header=BB143_33 Depth=2
	s_andn2_saveexec_b64 s[4:5], s[6:7]
	s_cbranch_execnz .LBB143_42
.LBB143_40:                             ;   in Loop: Header=BB143_33 Depth=2
	s_or_b64 exec, exec, s[4:5]
	v_cmp_eq_u64_e32 vcc, v[32:33], v[34:35]
	s_and_b64 exec, exec, vcc
	s_cbranch_execz .LBB143_32
	s_branch .LBB143_43
.LBB143_41:                             ;   in Loop: Header=BB143_33 Depth=2
	s_ashr_i32 s42, s13, 31
	s_add_u32 s4, s12, s42
	s_mov_b32 s43, s42
	s_addc_u32 s5, s13, s42
	s_xor_b64 s[44:45], s[4:5], s[42:43]
	v_cvt_f32_u32_e32 v11, s44
	v_cvt_f32_u32_e32 v34, s45
	s_sub_u32 s4, 0, s44
	s_subb_u32 s5, 0, s45
	v_mov_b32_e32 v41, v10
	v_fmac_f32_e32 v11, 0x4f800000, v34
	v_rcp_f32_e32 v11, v11
	s_nop 0
	v_mul_f32_e32 v11, 0x5f7ffffc, v11
	v_mul_f32_e32 v34, 0x2f800000, v11
	v_trunc_f32_e32 v34, v34
	v_fmac_f32_e32 v11, 0xcf800000, v34
	v_cvt_u32_f32_e32 v37, v34
	v_cvt_u32_f32_e32 v11, v11
	v_mul_lo_u32 v34, s4, v37
	v_mul_hi_u32 v39, s4, v11
	v_mul_lo_u32 v35, s5, v11
	v_add_u32_e32 v34, v39, v34
	v_mul_lo_u32 v42, s4, v11
	v_add_u32_e32 v39, v34, v35
	v_mul_hi_u32 v35, v11, v39
	v_mul_lo_u32 v34, v11, v39
	v_mul_hi_u32 v40, v11, v42
	v_lshl_add_u64 v[34:35], v[40:41], 0, v[34:35]
	v_mul_hi_u32 v41, v37, v42
	v_mul_lo_u32 v42, v37, v42
	v_add_co_u32_e32 v34, vcc, v34, v42
	v_mul_hi_u32 v40, v37, v39
	s_nop 0
	v_addc_co_u32_e32 v34, vcc, v35, v41, vcc
	v_mov_b32_e32 v35, v10
	s_nop 0
	v_addc_co_u32_e32 v41, vcc, 0, v40, vcc
	v_mul_lo_u32 v40, v37, v39
	v_lshl_add_u64 v[34:35], v[34:35], 0, v[40:41]
	v_add_co_u32_e32 v11, vcc, v11, v34
	v_mul_lo_u32 v40, s4, v11
	s_nop 0
	v_addc_co_u32_e32 v37, vcc, v37, v35, vcc
	v_mul_lo_u32 v34, s4, v37
	v_mul_hi_u32 v35, s4, v11
	v_add_u32_e32 v34, v35, v34
	v_mul_lo_u32 v35, s5, v11
	v_add_u32_e32 v39, v34, v35
	v_mul_hi_u32 v43, v37, v40
	v_mul_lo_u32 v44, v37, v40
	v_mul_hi_u32 v35, v11, v39
	v_mul_lo_u32 v34, v11, v39
	v_mul_hi_u32 v40, v11, v40
	v_mov_b32_e32 v41, v10
	v_lshl_add_u64 v[34:35], v[40:41], 0, v[34:35]
	v_add_co_u32_e32 v34, vcc, v34, v44
	v_mul_hi_u32 v42, v37, v39
	s_nop 0
	v_addc_co_u32_e32 v34, vcc, v35, v43, vcc
	v_mul_lo_u32 v40, v37, v39
	s_nop 0
	v_addc_co_u32_e32 v41, vcc, 0, v42, vcc
	v_mov_b32_e32 v35, v10
	v_lshl_add_u64 v[34:35], v[34:35], 0, v[40:41]
	v_add_co_u32_e32 v11, vcc, v11, v34
	v_ashrrev_i32_e32 v34, 31, v19
	s_nop 0
	v_addc_co_u32_e32 v37, vcc, v37, v35, vcc
	v_mov_b32_e32 v35, v34
	v_lshl_add_u64 v[40:41], v[18:19], 0, v[34:35]
	v_xor_b32_e32 v39, v40, v34
	v_xor_b32_e32 v35, v41, v34
	v_mad_u64_u32 v[40:41], s[4:5], v39, v37, 0
	v_mul_hi_u32 v42, v39, v11
	v_mov_b32_e32 v43, v10
	v_lshl_add_u64 v[40:41], v[42:43], 0, v[40:41]
	v_mad_u64_u32 v[44:45], s[4:5], v35, v11, 0
	v_add_co_u32_e32 v11, vcc, v40, v44
	v_mad_u64_u32 v[42:43], s[4:5], v35, v37, 0
	s_nop 0
	v_addc_co_u32_e32 v40, vcc, v41, v45, vcc
	v_mov_b32_e32 v41, v10
	s_nop 0
	v_addc_co_u32_e32 v43, vcc, 0, v43, vcc
	v_lshl_add_u64 v[40:41], v[40:41], 0, v[42:43]
	v_mul_lo_u32 v11, s45, v40
	v_mul_lo_u32 v37, s44, v41
	v_mad_u64_u32 v[42:43], s[4:5], s44, v40, 0
	v_add3_u32 v11, v43, v37, v11
	v_sub_u32_e32 v37, v35, v11
	v_mov_b32_e32 v43, s45
	v_sub_co_u32_e32 v39, vcc, v39, v42
	v_lshl_add_u64 v[44:45], v[40:41], 0, 1
	s_nop 0
	v_subb_co_u32_e64 v37, s[4:5], v37, v43, vcc
	v_subrev_co_u32_e64 v42, s[4:5], s44, v39
	v_subb_co_u32_e32 v11, vcc, v35, v11, vcc
	s_nop 0
	v_subbrev_co_u32_e64 v37, s[4:5], 0, v37, s[4:5]
	v_cmp_le_u32_e64 s[4:5], s45, v37
	v_cmp_le_u32_e32 vcc, s45, v11
	s_nop 0
	v_cndmask_b32_e64 v43, 0, -1, s[4:5]
	v_cmp_le_u32_e64 s[4:5], s44, v42
	v_cndmask_b32_e64 v35, 0, -1, vcc
	v_cmp_le_u32_e32 vcc, s44, v39
	v_cndmask_b32_e64 v42, 0, -1, s[4:5]
	v_cmp_eq_u32_e64 s[4:5], s45, v37
	v_cndmask_b32_e64 v39, 0, -1, vcc
	v_cmp_eq_u32_e32 vcc, s45, v11
	v_cndmask_b32_e64 v37, v43, v42, s[4:5]
	v_lshl_add_u64 v[42:43], v[40:41], 0, 2
	v_cmp_ne_u32_e64 s[4:5], 0, v37
	v_cndmask_b32_e32 v11, v35, v39, vcc
	v_cmp_ne_u32_e32 vcc, 0, v11
	v_cndmask_b32_e64 v37, v45, v43, s[4:5]
	v_cndmask_b32_e64 v35, v44, v42, s[4:5]
	v_cndmask_b32_e32 v11, v41, v37, vcc
	v_cndmask_b32_e32 v35, v40, v35, vcc
	v_xor_b32_e32 v37, s42, v34
	v_xor_b32_e32 v34, v35, v37
	;; [unrolled: 1-line block ×3, first 2 shown]
	v_sub_co_u32_e32 v34, vcc, v34, v37
	s_nop 1
	v_subb_co_u32_e32 v35, vcc, v11, v37, vcc
	s_andn2_saveexec_b64 s[4:5], s[6:7]
	s_cbranch_execz .LBB143_40
.LBB143_42:                             ;   in Loop: Header=BB143_33 Depth=2
	v_cvt_f32_u32_e32 v11, s12
	s_sub_i32 s6, 0, s12
	v_rcp_iflag_f32_e32 v11, v11
	s_nop 0
	v_mul_f32_e32 v11, 0x4f7ffffe, v11
	v_cvt_u32_f32_e32 v11, v11
	v_mul_lo_u32 v34, s6, v11
	v_mul_hi_u32 v34, v11, v34
	v_add_u32_e32 v11, v11, v34
	v_mul_hi_u32 v11, v18, v11
	v_mul_lo_u32 v34, v11, s12
	v_sub_u32_e32 v34, v18, v34
	v_add_u32_e32 v35, 1, v11
	v_subrev_u32_e32 v37, s12, v34
	v_cmp_le_u32_e32 vcc, s12, v34
	s_nop 1
	v_cndmask_b32_e32 v34, v34, v37, vcc
	v_cndmask_b32_e32 v11, v11, v35, vcc
	v_add_u32_e32 v35, 1, v11
	v_cmp_le_u32_e32 vcc, s12, v34
	s_nop 1
	v_cndmask_b32_e32 v34, v11, v35, vcc
	v_mov_b32_e32 v35, v10
	s_or_b64 exec, exec, s[4:5]
	v_cmp_eq_u64_e32 vcc, v[32:33], v[34:35]
	s_and_b64 exec, exec, vcc
	s_cbranch_execz .LBB143_32
.LBB143_43:                             ;   in Loop: Header=BB143_33 Depth=2
	s_and_b64 vcc, exec, s[24:25]
	s_cbranch_vccz .LBB143_45
; %bb.44:                               ;   in Loop: Header=BB143_33 Depth=2
	global_load_dwordx2 v[34:35], v[26:27], off
	v_mul_lo_u32 v11, v33, s12
	v_mul_lo_u32 v37, v32, s13
	v_mad_u64_u32 v[32:33], s[4:5], v32, s12, 0
	v_add3_u32 v11, v33, v37, v11
	v_sub_co_u32_e32 v32, vcc, v30, v32
	s_nop 1
	v_subb_co_u32_e32 v33, vcc, v31, v11, vcc
	v_lshl_add_u64 v[32:33], v[32:33], 0, v[20:21]
	v_mul_lo_u32 v11, s28, v33
	v_mul_lo_u32 v37, s29, v32
	v_mad_u64_u32 v[32:33], s[4:5], s28, v32, v[28:29]
	v_add3_u32 v33, v37, v33, v11
	s_waitcnt vmcnt(0)
	global_store_dwordx2 v[32:33], v[34:35], off
	s_cbranch_execnz .LBB143_32
	s_branch .LBB143_46
.LBB143_45:                             ;   in Loop: Header=BB143_33 Depth=2
.LBB143_46:                             ;   in Loop: Header=BB143_33 Depth=2
	v_mov_b32_e32 v11, v36
	v_cmp_ne_u64_e32 vcc, 0, v[10:11]
                                        ; implicit-def: $vgpr32_vgpr33
	s_and_saveexec_b64 s[4:5], vcc
	s_xor_b64 s[42:43], exec, s[4:5]
	s_cbranch_execz .LBB143_48
; %bb.47:                               ;   in Loop: Header=BB143_33 Depth=2
	s_ashr_i32 s4, s13, 31
	s_add_u32 s6, s12, s4
	s_mov_b32 s5, s4
	s_addc_u32 s7, s13, s4
	s_xor_b64 s[44:45], s[6:7], s[4:5]
	v_cvt_f32_u32_e32 v11, s44
	v_cvt_f32_u32_e32 v32, s45
	s_sub_u32 s4, 0, s44
	s_subb_u32 s5, 0, s45
	v_mov_b32_e32 v35, v10
	v_fmac_f32_e32 v11, 0x4f800000, v32
	v_rcp_f32_e32 v11, v11
	s_nop 0
	v_mul_f32_e32 v11, 0x5f7ffffc, v11
	v_mul_f32_e32 v32, 0x2f800000, v11
	v_trunc_f32_e32 v32, v32
	v_fmac_f32_e32 v11, 0xcf800000, v32
	v_cvt_u32_f32_e32 v36, v32
	v_cvt_u32_f32_e32 v11, v11
	v_mul_lo_u32 v32, s4, v36
	v_mul_hi_u32 v34, s4, v11
	v_mul_lo_u32 v33, s5, v11
	v_add_u32_e32 v32, v34, v32
	v_mul_lo_u32 v37, s4, v11
	v_add_u32_e32 v39, v32, v33
	v_mul_hi_u32 v33, v11, v39
	v_mul_lo_u32 v32, v11, v39
	v_mul_hi_u32 v34, v11, v37
	v_lshl_add_u64 v[32:33], v[34:35], 0, v[32:33]
	v_mul_hi_u32 v35, v36, v37
	v_mul_lo_u32 v37, v36, v37
	v_add_co_u32_e32 v32, vcc, v32, v37
	v_mul_hi_u32 v34, v36, v39
	s_nop 0
	v_addc_co_u32_e32 v32, vcc, v33, v35, vcc
	v_mov_b32_e32 v33, v10
	s_nop 0
	v_addc_co_u32_e32 v35, vcc, 0, v34, vcc
	v_mul_lo_u32 v34, v36, v39
	v_lshl_add_u64 v[32:33], v[32:33], 0, v[34:35]
	v_add_co_u32_e32 v11, vcc, v11, v32
	v_mul_lo_u32 v34, s4, v11
	s_nop 0
	v_addc_co_u32_e32 v36, vcc, v36, v33, vcc
	v_mul_lo_u32 v32, s4, v36
	v_mul_hi_u32 v33, s4, v11
	v_add_u32_e32 v32, v33, v32
	v_mul_lo_u32 v33, s5, v11
	v_add_u32_e32 v37, v32, v33
	v_mul_hi_u32 v40, v36, v34
	v_mul_lo_u32 v41, v36, v34
	v_mul_hi_u32 v33, v11, v37
	v_mul_lo_u32 v32, v11, v37
	v_mul_hi_u32 v34, v11, v34
	v_mov_b32_e32 v35, v10
	v_lshl_add_u64 v[32:33], v[34:35], 0, v[32:33]
	v_add_co_u32_e32 v32, vcc, v32, v41
	v_mul_hi_u32 v39, v36, v37
	s_nop 0
	v_addc_co_u32_e32 v32, vcc, v33, v40, vcc
	v_mul_lo_u32 v34, v36, v37
	s_nop 0
	v_addc_co_u32_e32 v35, vcc, 0, v39, vcc
	v_mov_b32_e32 v33, v10
	v_lshl_add_u64 v[32:33], v[32:33], 0, v[34:35]
	v_ashrrev_i32_e32 v34, 31, v31
	v_mov_b32_e32 v35, v34
	v_add_co_u32_e32 v11, vcc, v11, v32
	v_lshl_add_u64 v[30:31], v[30:31], 0, v[34:35]
	s_nop 0
	v_addc_co_u32_e32 v36, vcc, v36, v33, vcc
	v_xor_b32_e32 v39, v30, v34
	v_xor_b32_e32 v35, v31, v34
	v_mad_u64_u32 v[30:31], s[4:5], v39, v36, 0
	v_mul_hi_u32 v32, v39, v11
	v_mov_b32_e32 v33, v10
	v_lshl_add_u64 v[30:31], v[32:33], 0, v[30:31]
	v_mad_u64_u32 v[32:33], s[4:5], v35, v36, 0
	v_mad_u64_u32 v[36:37], s[4:5], v35, v11, 0
	v_add_co_u32_e32 v11, vcc, v30, v36
	s_nop 1
	v_addc_co_u32_e32 v30, vcc, v31, v37, vcc
	v_mov_b32_e32 v31, v10
	s_nop 0
	v_addc_co_u32_e32 v33, vcc, 0, v33, vcc
	v_lshl_add_u64 v[30:31], v[30:31], 0, v[32:33]
	v_mul_lo_u32 v11, s45, v30
	v_mul_lo_u32 v32, s44, v31
	v_mad_u64_u32 v[30:31], s[4:5], s44, v30, 0
	v_add3_u32 v11, v31, v32, v11
	v_sub_u32_e32 v31, v35, v11
	v_mov_b32_e32 v32, s45
	v_sub_co_u32_e32 v30, vcc, v39, v30
	s_nop 1
	v_subb_co_u32_e64 v31, s[4:5], v31, v32, vcc
	v_subrev_co_u32_e64 v33, s[4:5], s44, v30
	v_subb_co_u32_e32 v11, vcc, v35, v11, vcc
	s_nop 0
	v_subbrev_co_u32_e64 v36, s[6:7], 0, v31, s[4:5]
	v_cmp_le_u32_e64 s[6:7], s45, v36
	v_subb_co_u32_e64 v31, s[4:5], v31, v32, s[4:5]
	s_nop 0
	v_cndmask_b32_e64 v37, 0, -1, s[6:7]
	v_cmp_le_u32_e64 s[6:7], s44, v33
	v_subrev_co_u32_e64 v32, s[4:5], s44, v33
	s_nop 0
	v_cndmask_b32_e64 v39, 0, -1, s[6:7]
	v_cmp_eq_u32_e64 s[6:7], s45, v36
	v_subbrev_co_u32_e64 v31, s[4:5], 0, v31, s[4:5]
	s_nop 0
	v_cndmask_b32_e64 v37, v37, v39, s[6:7]
	v_cmp_le_u32_e32 vcc, s45, v11
	v_cmp_ne_u32_e64 s[4:5], 0, v37
	s_nop 0
	v_cndmask_b32_e64 v35, 0, -1, vcc
	v_cmp_le_u32_e32 vcc, s44, v30
	v_cndmask_b32_e64 v31, v36, v31, s[4:5]
	s_nop 0
	v_cndmask_b32_e64 v36, 0, -1, vcc
	v_cmp_eq_u32_e32 vcc, s45, v11
	s_nop 1
	v_cndmask_b32_e32 v35, v35, v36, vcc
	v_cmp_ne_u32_e32 vcc, 0, v35
	s_nop 1
	v_cndmask_b32_e32 v11, v11, v31, vcc
	v_cndmask_b32_e64 v31, v33, v32, s[4:5]
	v_cndmask_b32_e32 v30, v30, v31, vcc
	v_xor_b32_e32 v30, v30, v34
	v_xor_b32_e32 v11, v11, v34
	v_sub_co_u32_e32 v32, vcc, v30, v34
                                        ; implicit-def: $vgpr30_vgpr31
	s_nop 1
	v_subb_co_u32_e32 v33, vcc, v11, v34, vcc
.LBB143_48:                             ;   in Loop: Header=BB143_33 Depth=2
	s_andn2_saveexec_b64 s[4:5], s[42:43]
	s_cbranch_execz .LBB143_31
; %bb.49:                               ;   in Loop: Header=BB143_33 Depth=2
	v_cvt_f32_u32_e32 v11, s12
	s_sub_i32 s6, 0, s12
	v_mov_b32_e32 v33, v10
	v_rcp_iflag_f32_e32 v11, v11
	s_nop 0
	v_mul_f32_e32 v11, 0x4f7ffffe, v11
	v_cvt_u32_f32_e32 v11, v11
	v_mul_lo_u32 v31, s6, v11
	v_mul_hi_u32 v31, v11, v31
	v_add_u32_e32 v11, v11, v31
	v_mul_hi_u32 v11, v30, v11
	v_mul_lo_u32 v11, v11, s12
	v_sub_u32_e32 v11, v30, v11
	v_subrev_u32_e32 v30, s12, v11
	v_cmp_le_u32_e32 vcc, s12, v11
	s_nop 1
	v_cndmask_b32_e32 v11, v11, v30, vcc
	v_subrev_u32_e32 v30, s12, v11
	v_cmp_le_u32_e32 vcc, s12, v11
	s_nop 1
	v_cndmask_b32_e32 v32, v11, v30, vcc
	s_branch .LBB143_31
.LBB143_50:                             ;   in Loop: Header=BB143_10 Depth=1
	s_ashr_i32 s40, s13, 31
	s_add_u32 s4, s12, s40
	s_mov_b32 s41, s40
	s_addc_u32 s5, s13, s40
	s_xor_b64 s[42:43], s[4:5], s[40:41]
	v_cvt_f32_u32_e32 v11, s42
	v_cvt_f32_u32_e32 v20, s43
	s_sub_u32 s4, 0, s42
	s_subb_u32 s5, 0, s43
	v_mov_b32_e32 v23, v10
	v_fmac_f32_e32 v11, 0x4f800000, v20
	v_rcp_f32_e32 v11, v11
	s_nop 0
	v_mul_f32_e32 v11, 0x5f7ffffc, v11
	v_mul_f32_e32 v20, 0x2f800000, v11
	v_trunc_f32_e32 v20, v20
	v_fmac_f32_e32 v11, 0xcf800000, v20
	v_cvt_u32_f32_e32 v24, v20
	v_cvt_u32_f32_e32 v11, v11
	v_mul_lo_u32 v20, s4, v24
	v_mul_hi_u32 v22, s4, v11
	v_mul_lo_u32 v21, s5, v11
	v_add_u32_e32 v20, v22, v20
	v_mul_lo_u32 v25, s4, v11
	v_add_u32_e32 v26, v20, v21
	v_mul_hi_u32 v21, v11, v26
	v_mul_lo_u32 v20, v11, v26
	v_mul_hi_u32 v22, v11, v25
	v_lshl_add_u64 v[20:21], v[22:23], 0, v[20:21]
	v_mul_hi_u32 v23, v24, v25
	v_mul_lo_u32 v25, v24, v25
	v_add_co_u32_e32 v20, vcc, v20, v25
	v_mul_hi_u32 v22, v24, v26
	s_nop 0
	v_addc_co_u32_e32 v20, vcc, v21, v23, vcc
	v_mov_b32_e32 v21, v10
	s_nop 0
	v_addc_co_u32_e32 v23, vcc, 0, v22, vcc
	v_mul_lo_u32 v22, v24, v26
	v_lshl_add_u64 v[20:21], v[20:21], 0, v[22:23]
	v_add_co_u32_e32 v11, vcc, v11, v20
	v_mul_lo_u32 v22, s4, v11
	s_nop 0
	v_addc_co_u32_e32 v24, vcc, v24, v21, vcc
	v_mul_lo_u32 v20, s4, v24
	v_mul_hi_u32 v21, s4, v11
	v_add_u32_e32 v20, v21, v20
	v_mul_lo_u32 v21, s5, v11
	v_add_u32_e32 v25, v20, v21
	v_mul_hi_u32 v27, v24, v22
	v_mul_lo_u32 v28, v24, v22
	v_mul_hi_u32 v21, v11, v25
	v_mul_lo_u32 v20, v11, v25
	v_mul_hi_u32 v22, v11, v22
	v_mov_b32_e32 v23, v10
	v_lshl_add_u64 v[20:21], v[22:23], 0, v[20:21]
	v_add_co_u32_e32 v20, vcc, v20, v28
	v_mul_hi_u32 v26, v24, v25
	s_nop 0
	v_addc_co_u32_e32 v20, vcc, v21, v27, vcc
	v_mul_lo_u32 v22, v24, v25
	s_nop 0
	v_addc_co_u32_e32 v23, vcc, 0, v26, vcc
	v_mov_b32_e32 v21, v10
	v_lshl_add_u64 v[20:21], v[20:21], 0, v[22:23]
	v_add_co_u32_e32 v11, vcc, v11, v20
	v_ashrrev_i32_e32 v20, 31, v19
	s_nop 0
	v_addc_co_u32_e32 v26, vcc, v24, v21, vcc
	v_mov_b32_e32 v21, v20
	v_lshl_add_u64 v[22:23], v[18:19], 0, v[20:21]
	v_xor_b32_e32 v28, v22, v20
	v_xor_b32_e32 v21, v23, v20
	v_mad_u64_u32 v[22:23], s[4:5], v28, v26, 0
	v_mul_hi_u32 v24, v28, v11
	v_mov_b32_e32 v25, v10
	v_lshl_add_u64 v[22:23], v[24:25], 0, v[22:23]
	v_mad_u64_u32 v[24:25], s[4:5], v21, v26, 0
	v_mad_u64_u32 v[26:27], s[4:5], v21, v11, 0
	v_add_co_u32_e32 v11, vcc, v22, v26
	s_nop 1
	v_addc_co_u32_e32 v22, vcc, v23, v27, vcc
	v_mov_b32_e32 v23, v10
	s_nop 0
	v_addc_co_u32_e32 v25, vcc, 0, v25, vcc
	v_lshl_add_u64 v[22:23], v[22:23], 0, v[24:25]
	v_mul_lo_u32 v11, s43, v22
	v_mul_lo_u32 v26, s42, v23
	v_mad_u64_u32 v[24:25], s[4:5], s42, v22, 0
	v_add3_u32 v11, v25, v26, v11
	v_sub_u32_e32 v25, v21, v11
	v_mov_b32_e32 v26, s43
	v_sub_co_u32_e32 v28, vcc, v28, v24
	s_nop 1
	v_subb_co_u32_e64 v24, s[4:5], v25, v26, vcc
	v_subrev_co_u32_e64 v25, s[4:5], s42, v28
	v_subb_co_u32_e32 v11, vcc, v21, v11, vcc
	s_nop 0
	v_subbrev_co_u32_e64 v24, s[4:5], 0, v24, s[4:5]
	v_cmp_le_u32_e64 s[4:5], s43, v24
	v_cmp_le_u32_e32 vcc, s43, v11
	s_nop 0
	v_cndmask_b32_e64 v26, 0, -1, s[4:5]
	v_cmp_le_u32_e64 s[4:5], s42, v25
	v_cndmask_b32_e64 v21, 0, -1, vcc
	v_cmp_le_u32_e32 vcc, s42, v28
	v_cndmask_b32_e64 v25, 0, -1, s[4:5]
	v_cmp_eq_u32_e64 s[4:5], s43, v24
	s_nop 1
	v_cndmask_b32_e64 v29, v26, v25, s[4:5]
	v_lshl_add_u64 v[24:25], v[22:23], 0, 2
	v_lshl_add_u64 v[26:27], v[22:23], 0, 1
	v_cmp_ne_u32_e64 s[4:5], 0, v29
	s_nop 1
	v_cndmask_b32_e64 v25, v27, v25, s[4:5]
	v_cndmask_b32_e64 v27, 0, -1, vcc
	v_cmp_eq_u32_e32 vcc, s43, v11
	s_nop 1
	v_cndmask_b32_e32 v11, v21, v27, vcc
	v_cmp_ne_u32_e32 vcc, 0, v11
	v_cndmask_b32_e64 v21, v26, v24, s[4:5]
	s_nop 0
	v_cndmask_b32_e32 v21, v22, v21, vcc
	v_xor_b32_e32 v22, s40, v20
	v_cndmask_b32_e32 v11, v23, v25, vcc
	v_xor_b32_e32 v20, v21, v22
	v_xor_b32_e32 v11, v11, v22
	v_sub_co_u32_e32 v20, vcc, v20, v22
	s_nop 1
	v_subb_co_u32_e32 v21, vcc, v11, v22, vcc
	s_andn2_saveexec_b64 s[4:5], s[38:39]
	s_cbranch_execz .LBB143_26
.LBB143_51:                             ;   in Loop: Header=BB143_10 Depth=1
	v_cvt_f32_u32_e32 v11, s12
	s_sub_i32 s38, 0, s12
	v_rcp_iflag_f32_e32 v11, v11
	s_nop 0
	v_mul_f32_e32 v11, 0x4f7ffffe, v11
	v_cvt_u32_f32_e32 v11, v11
	v_mul_lo_u32 v20, s38, v11
	v_mul_hi_u32 v20, v11, v20
	v_add_u32_e32 v11, v11, v20
	v_mul_hi_u32 v11, v18, v11
	v_mul_lo_u32 v20, v11, s12
	v_sub_u32_e32 v20, v18, v20
	v_add_u32_e32 v21, 1, v11
	v_subrev_u32_e32 v22, s12, v20
	v_cmp_le_u32_e32 vcc, s12, v20
	s_nop 1
	v_cndmask_b32_e32 v20, v20, v22, vcc
	v_cndmask_b32_e32 v11, v11, v21, vcc
	v_add_u32_e32 v21, 1, v11
	v_cmp_le_u32_e32 vcc, s12, v20
	s_nop 1
	v_cndmask_b32_e32 v20, v11, v21, vcc
	v_mov_b32_e32 v21, v10
	s_or_b64 exec, exec, s[4:5]
	v_cmp_ge_i64_e32 vcc, v[20:21], v[16:17]
	s_and_saveexec_b64 s[4:5], vcc
	s_cbranch_execnz .LBB143_27
	s_branch .LBB143_28
.LBB143_52:
	s_endpgm
	.section	.rodata,"a",@progbits
	.p2align	6, 0x0
	.amdhsa_kernel _ZN9rocsparseL21csr2bsr_65_inf_kernelILj32EdllEEv20rocsparse_direction_T2_S2_S2_S2_S2_S2_21rocsparse_index_base_PKT0_PKT1_PKS2_S3_PS4_PS7_PS2_SD_SE_SC_
		.amdhsa_group_segment_fixed_size 0
		.amdhsa_private_segment_fixed_size 0
		.amdhsa_kernarg_size 144
		.amdhsa_user_sgpr_count 2
		.amdhsa_user_sgpr_dispatch_ptr 0
		.amdhsa_user_sgpr_queue_ptr 0
		.amdhsa_user_sgpr_kernarg_segment_ptr 1
		.amdhsa_user_sgpr_dispatch_id 0
		.amdhsa_user_sgpr_kernarg_preload_length 0
		.amdhsa_user_sgpr_kernarg_preload_offset 0
		.amdhsa_user_sgpr_private_segment_size 0
		.amdhsa_uses_dynamic_stack 0
		.amdhsa_enable_private_segment 0
		.amdhsa_system_sgpr_workgroup_id_x 1
		.amdhsa_system_sgpr_workgroup_id_y 0
		.amdhsa_system_sgpr_workgroup_id_z 0
		.amdhsa_system_sgpr_workgroup_info 0
		.amdhsa_system_vgpr_workitem_id 0
		.amdhsa_next_free_vgpr 46
		.amdhsa_next_free_sgpr 52
		.amdhsa_accum_offset 48
		.amdhsa_reserve_vcc 1
		.amdhsa_float_round_mode_32 0
		.amdhsa_float_round_mode_16_64 0
		.amdhsa_float_denorm_mode_32 3
		.amdhsa_float_denorm_mode_16_64 3
		.amdhsa_dx10_clamp 1
		.amdhsa_ieee_mode 1
		.amdhsa_fp16_overflow 0
		.amdhsa_tg_split 0
		.amdhsa_exception_fp_ieee_invalid_op 0
		.amdhsa_exception_fp_denorm_src 0
		.amdhsa_exception_fp_ieee_div_zero 0
		.amdhsa_exception_fp_ieee_overflow 0
		.amdhsa_exception_fp_ieee_underflow 0
		.amdhsa_exception_fp_ieee_inexact 0
		.amdhsa_exception_int_div_zero 0
	.end_amdhsa_kernel
	.section	.text._ZN9rocsparseL21csr2bsr_65_inf_kernelILj32EdllEEv20rocsparse_direction_T2_S2_S2_S2_S2_S2_21rocsparse_index_base_PKT0_PKT1_PKS2_S3_PS4_PS7_PS2_SD_SE_SC_,"axG",@progbits,_ZN9rocsparseL21csr2bsr_65_inf_kernelILj32EdllEEv20rocsparse_direction_T2_S2_S2_S2_S2_S2_21rocsparse_index_base_PKT0_PKT1_PKS2_S3_PS4_PS7_PS2_SD_SE_SC_,comdat
.Lfunc_end143:
	.size	_ZN9rocsparseL21csr2bsr_65_inf_kernelILj32EdllEEv20rocsparse_direction_T2_S2_S2_S2_S2_S2_21rocsparse_index_base_PKT0_PKT1_PKS2_S3_PS4_PS7_PS2_SD_SE_SC_, .Lfunc_end143-_ZN9rocsparseL21csr2bsr_65_inf_kernelILj32EdllEEv20rocsparse_direction_T2_S2_S2_S2_S2_S2_21rocsparse_index_base_PKT0_PKT1_PKS2_S3_PS4_PS7_PS2_SD_SE_SC_
                                        ; -- End function
	.section	.AMDGPU.csdata,"",@progbits
; Kernel info:
; codeLenInByte = 5516
; NumSgprs: 58
; NumVgprs: 46
; NumAgprs: 0
; TotalNumVgprs: 46
; ScratchSize: 0
; MemoryBound: 0
; FloatMode: 240
; IeeeMode: 1
; LDSByteSize: 0 bytes/workgroup (compile time only)
; SGPRBlocks: 7
; VGPRBlocks: 5
; NumSGPRsForWavesPerEU: 58
; NumVGPRsForWavesPerEU: 46
; AccumOffset: 48
; Occupancy: 8
; WaveLimiterHint : 1
; COMPUTE_PGM_RSRC2:SCRATCH_EN: 0
; COMPUTE_PGM_RSRC2:USER_SGPR: 2
; COMPUTE_PGM_RSRC2:TRAP_HANDLER: 0
; COMPUTE_PGM_RSRC2:TGID_X_EN: 1
; COMPUTE_PGM_RSRC2:TGID_Y_EN: 0
; COMPUTE_PGM_RSRC2:TGID_Z_EN: 0
; COMPUTE_PGM_RSRC2:TIDIG_COMP_CNT: 0
; COMPUTE_PGM_RSRC3_GFX90A:ACCUM_OFFSET: 11
; COMPUTE_PGM_RSRC3_GFX90A:TG_SPLIT: 0
	.section	.text._ZN9rocsparseL35csr2bsr_block_dim_equals_one_kernelILj256E21rocsparse_complex_numIdEiiEEvT2_S3_S3_S3_21rocsparse_index_base_PKT0_PKT1_PKS3_S4_PS5_PS8_PS3_,"axG",@progbits,_ZN9rocsparseL35csr2bsr_block_dim_equals_one_kernelILj256E21rocsparse_complex_numIdEiiEEvT2_S3_S3_S3_21rocsparse_index_base_PKT0_PKT1_PKS3_S4_PS5_PS8_PS3_,comdat
	.globl	_ZN9rocsparseL35csr2bsr_block_dim_equals_one_kernelILj256E21rocsparse_complex_numIdEiiEEvT2_S3_S3_S3_21rocsparse_index_base_PKT0_PKT1_PKS3_S4_PS5_PS8_PS3_ ; -- Begin function _ZN9rocsparseL35csr2bsr_block_dim_equals_one_kernelILj256E21rocsparse_complex_numIdEiiEEvT2_S3_S3_S3_21rocsparse_index_base_PKT0_PKT1_PKS3_S4_PS5_PS8_PS3_
	.p2align	8
	.type	_ZN9rocsparseL35csr2bsr_block_dim_equals_one_kernelILj256E21rocsparse_complex_numIdEiiEEvT2_S3_S3_S3_21rocsparse_index_base_PKT0_PKT1_PKS3_S4_PS5_PS8_PS3_,@function
_ZN9rocsparseL35csr2bsr_block_dim_equals_one_kernelILj256E21rocsparse_complex_numIdEiiEEvT2_S3_S3_S3_21rocsparse_index_base_PKT0_PKT1_PKS3_S4_PS5_PS8_PS3_: ; @_ZN9rocsparseL35csr2bsr_block_dim_equals_one_kernelILj256E21rocsparse_complex_numIdEiiEEvT2_S3_S3_S3_21rocsparse_index_base_PKT0_PKT1_PKS3_S4_PS5_PS8_PS3_
; %bb.0:
	s_load_dword s8, s[0:1], 0x0
	s_load_dwordx4 s[4:7], s[0:1], 0x18
	v_lshl_or_b32 v0, s2, 8, v0
	s_waitcnt lgkmcnt(0)
	s_ashr_i32 s9, s8, 31
	s_lshl_b64 s[8:9], s[8:9], 2
	s_add_u32 s8, s6, s8
	s_addc_u32 s9, s7, s9
	s_load_dword s3, s[8:9], 0x0
	s_load_dword s10, s[6:7], 0x0
	s_waitcnt lgkmcnt(0)
	s_sub_i32 s10, s3, s10
	v_cmp_gt_i32_e32 vcc, s10, v0
	s_and_saveexec_b64 s[2:3], vcc
	s_cbranch_execz .LBB144_3
; %bb.1:
	s_load_dword s11, s[0:1], 0x30
	s_load_dwordx2 s[2:3], s[0:1], 0x38
	s_load_dword s12, s[0:1], 0x10
	s_load_dword s13, s[0:1], 0x50
	s_load_dwordx2 s[6:7], s[0:1], 0x28
	s_load_dwordx2 s[8:9], s[0:1], 0x48
	s_mov_b64 s[0:1], 0
	s_waitcnt lgkmcnt(0)
	s_sub_i32 s11, s11, s12
	s_lshl_b32 s12, s13, 8
.LBB144_2:                              ; =>This Inner Loop Header: Depth=1
	v_ashrrev_i32_e32 v1, 31, v0
	v_lshlrev_b64 v[2:3], 2, v[0:1]
	v_lshl_add_u64 v[4:5], s[6:7], 0, v[2:3]
	global_load_dword v4, v[4:5], off
	v_lshlrev_b64 v[6:7], 4, v[0:1]
	v_lshl_add_u64 v[2:3], s[8:9], 0, v[2:3]
	v_add_u32_e32 v0, s12, v0
	v_cmp_le_i32_e32 vcc, s10, v0
	s_or_b64 s[0:1], vcc, s[0:1]
	s_waitcnt vmcnt(0)
	v_add_u32_e32 v1, s11, v4
	global_store_dword v[2:3], v1, off
	v_lshl_add_u64 v[2:3], s[4:5], 0, v[6:7]
	global_load_dwordx4 v[2:5], v[2:3], off
	v_lshl_add_u64 v[6:7], s[2:3], 0, v[6:7]
	s_waitcnt vmcnt(0)
	global_store_dwordx4 v[6:7], v[2:5], off
	s_andn2_b64 exec, exec, s[0:1]
	s_cbranch_execnz .LBB144_2
.LBB144_3:
	s_endpgm
	.section	.rodata,"a",@progbits
	.p2align	6, 0x0
	.amdhsa_kernel _ZN9rocsparseL35csr2bsr_block_dim_equals_one_kernelILj256E21rocsparse_complex_numIdEiiEEvT2_S3_S3_S3_21rocsparse_index_base_PKT0_PKT1_PKS3_S4_PS5_PS8_PS3_
		.amdhsa_group_segment_fixed_size 0
		.amdhsa_private_segment_fixed_size 0
		.amdhsa_kernarg_size 336
		.amdhsa_user_sgpr_count 2
		.amdhsa_user_sgpr_dispatch_ptr 0
		.amdhsa_user_sgpr_queue_ptr 0
		.amdhsa_user_sgpr_kernarg_segment_ptr 1
		.amdhsa_user_sgpr_dispatch_id 0
		.amdhsa_user_sgpr_kernarg_preload_length 0
		.amdhsa_user_sgpr_kernarg_preload_offset 0
		.amdhsa_user_sgpr_private_segment_size 0
		.amdhsa_uses_dynamic_stack 0
		.amdhsa_enable_private_segment 0
		.amdhsa_system_sgpr_workgroup_id_x 1
		.amdhsa_system_sgpr_workgroup_id_y 0
		.amdhsa_system_sgpr_workgroup_id_z 0
		.amdhsa_system_sgpr_workgroup_info 0
		.amdhsa_system_vgpr_workitem_id 0
		.amdhsa_next_free_vgpr 8
		.amdhsa_next_free_sgpr 14
		.amdhsa_accum_offset 8
		.amdhsa_reserve_vcc 1
		.amdhsa_float_round_mode_32 0
		.amdhsa_float_round_mode_16_64 0
		.amdhsa_float_denorm_mode_32 3
		.amdhsa_float_denorm_mode_16_64 3
		.amdhsa_dx10_clamp 1
		.amdhsa_ieee_mode 1
		.amdhsa_fp16_overflow 0
		.amdhsa_tg_split 0
		.amdhsa_exception_fp_ieee_invalid_op 0
		.amdhsa_exception_fp_denorm_src 0
		.amdhsa_exception_fp_ieee_div_zero 0
		.amdhsa_exception_fp_ieee_overflow 0
		.amdhsa_exception_fp_ieee_underflow 0
		.amdhsa_exception_fp_ieee_inexact 0
		.amdhsa_exception_int_div_zero 0
	.end_amdhsa_kernel
	.section	.text._ZN9rocsparseL35csr2bsr_block_dim_equals_one_kernelILj256E21rocsparse_complex_numIdEiiEEvT2_S3_S3_S3_21rocsparse_index_base_PKT0_PKT1_PKS3_S4_PS5_PS8_PS3_,"axG",@progbits,_ZN9rocsparseL35csr2bsr_block_dim_equals_one_kernelILj256E21rocsparse_complex_numIdEiiEEvT2_S3_S3_S3_21rocsparse_index_base_PKT0_PKT1_PKS3_S4_PS5_PS8_PS3_,comdat
.Lfunc_end144:
	.size	_ZN9rocsparseL35csr2bsr_block_dim_equals_one_kernelILj256E21rocsparse_complex_numIdEiiEEvT2_S3_S3_S3_21rocsparse_index_base_PKT0_PKT1_PKS3_S4_PS5_PS8_PS3_, .Lfunc_end144-_ZN9rocsparseL35csr2bsr_block_dim_equals_one_kernelILj256E21rocsparse_complex_numIdEiiEEvT2_S3_S3_S3_21rocsparse_index_base_PKT0_PKT1_PKS3_S4_PS5_PS8_PS3_
                                        ; -- End function
	.section	.AMDGPU.csdata,"",@progbits
; Kernel info:
; codeLenInByte = 264
; NumSgprs: 20
; NumVgprs: 8
; NumAgprs: 0
; TotalNumVgprs: 8
; ScratchSize: 0
; MemoryBound: 0
; FloatMode: 240
; IeeeMode: 1
; LDSByteSize: 0 bytes/workgroup (compile time only)
; SGPRBlocks: 2
; VGPRBlocks: 0
; NumSGPRsForWavesPerEU: 20
; NumVGPRsForWavesPerEU: 8
; AccumOffset: 8
; Occupancy: 8
; WaveLimiterHint : 0
; COMPUTE_PGM_RSRC2:SCRATCH_EN: 0
; COMPUTE_PGM_RSRC2:USER_SGPR: 2
; COMPUTE_PGM_RSRC2:TRAP_HANDLER: 0
; COMPUTE_PGM_RSRC2:TGID_X_EN: 1
; COMPUTE_PGM_RSRC2:TGID_Y_EN: 0
; COMPUTE_PGM_RSRC2:TGID_Z_EN: 0
; COMPUTE_PGM_RSRC2:TIDIG_COMP_CNT: 0
; COMPUTE_PGM_RSRC3_GFX90A:ACCUM_OFFSET: 1
; COMPUTE_PGM_RSRC3_GFX90A:TG_SPLIT: 0
	.section	.text._ZN9rocsparseL42csr2bsr_wavefront_per_row_multipass_kernelILj256ELj16ELj4E21rocsparse_complex_numIdEiiEEv20rocsparse_direction_T4_S4_S4_S4_S4_21rocsparse_index_base_PKT2_PKT3_PKS4_S5_PS6_PS9_PS4_,"axG",@progbits,_ZN9rocsparseL42csr2bsr_wavefront_per_row_multipass_kernelILj256ELj16ELj4E21rocsparse_complex_numIdEiiEEv20rocsparse_direction_T4_S4_S4_S4_S4_21rocsparse_index_base_PKT2_PKT3_PKS4_S5_PS6_PS9_PS4_,comdat
	.globl	_ZN9rocsparseL42csr2bsr_wavefront_per_row_multipass_kernelILj256ELj16ELj4E21rocsparse_complex_numIdEiiEEv20rocsparse_direction_T4_S4_S4_S4_S4_21rocsparse_index_base_PKT2_PKT3_PKS4_S5_PS6_PS9_PS4_ ; -- Begin function _ZN9rocsparseL42csr2bsr_wavefront_per_row_multipass_kernelILj256ELj16ELj4E21rocsparse_complex_numIdEiiEEv20rocsparse_direction_T4_S4_S4_S4_S4_21rocsparse_index_base_PKT2_PKT3_PKS4_S5_PS6_PS9_PS4_
	.p2align	8
	.type	_ZN9rocsparseL42csr2bsr_wavefront_per_row_multipass_kernelILj256ELj16ELj4E21rocsparse_complex_numIdEiiEEv20rocsparse_direction_T4_S4_S4_S4_S4_21rocsparse_index_base_PKT2_PKT3_PKS4_S5_PS6_PS9_PS4_,@function
_ZN9rocsparseL42csr2bsr_wavefront_per_row_multipass_kernelILj256ELj16ELj4E21rocsparse_complex_numIdEiiEEv20rocsparse_direction_T4_S4_S4_S4_S4_21rocsparse_index_base_PKT2_PKT3_PKS4_S5_PS6_PS9_PS4_: ; @_ZN9rocsparseL42csr2bsr_wavefront_per_row_multipass_kernelILj256ELj16ELj4E21rocsparse_complex_numIdEiiEEv20rocsparse_direction_T4_S4_S4_S4_S4_21rocsparse_index_base_PKT2_PKT3_PKS4_S5_PS6_PS9_PS4_
; %bb.0:
	s_load_dwordx2 s[14:15], s[0:1], 0x0
	s_load_dwordx4 s[4:7], s[0:1], 0xc
	s_load_dwordx2 s[8:9], s[0:1], 0x28
	v_lshrrev_b32_e32 v10, 4, v0
	v_bfe_u32 v2, v0, 2, 2
	v_lshl_or_b32 v6, s2, 4, v10
	s_waitcnt lgkmcnt(0)
	v_mad_u64_u32 v[4:5], s[2:3], v6, s6, v[2:3]
	v_cmp_gt_i32_e64 s[2:3], s15, v4
	v_cmp_gt_i32_e32 vcc, s6, v2
	s_and_b64 s[2:3], vcc, s[2:3]
	v_mov_b32_e32 v11, 0
	v_mov_b32_e32 v8, 0
	s_and_saveexec_b64 s[10:11], s[2:3]
	s_cbranch_execz .LBB145_2
; %bb.1:
	v_ashrrev_i32_e32 v5, 31, v4
	v_lshl_add_u64 v[8:9], v[4:5], 2, s[8:9]
	global_load_dword v1, v[8:9], off
	s_waitcnt vmcnt(0)
	v_subrev_u32_e32 v8, s7, v1
.LBB145_2:
	s_or_b64 exec, exec, s[10:11]
	s_and_saveexec_b64 s[10:11], s[2:3]
	s_cbranch_execz .LBB145_4
; %bb.3:
	v_ashrrev_i32_e32 v5, 31, v4
	v_lshl_add_u64 v[4:5], v[4:5], 2, s[8:9]
	global_load_dword v1, v[4:5], off offset:4
	s_waitcnt vmcnt(0)
	v_subrev_u32_e32 v11, s7, v1
.LBB145_4:
	s_or_b64 exec, exec, s[10:11]
	s_load_dword s20, s[0:1], 0x38
	v_cmp_gt_i32_e64 s[2:3], s4, v6
	v_mov_b32_e32 v4, 0
	s_and_saveexec_b64 s[8:9], s[2:3]
	s_cbranch_execz .LBB145_6
; %bb.5:
	s_load_dwordx2 s[2:3], s[0:1], 0x48
	v_ashrrev_i32_e32 v7, 31, v6
	s_waitcnt lgkmcnt(0)
	v_lshl_add_u64 v[4:5], v[6:7], 2, s[2:3]
	global_load_dword v1, v[4:5], off
	s_waitcnt vmcnt(0)
	v_subrev_u32_e32 v4, s20, v1
.LBB145_6:
	s_or_b64 exec, exec, s[8:9]
	s_cmp_lt_i32 s5, 1
	s_cbranch_scc1 .LBB145_21
; %bb.7:
	v_and_b32_e32 v12, 3, v0
	s_load_dwordx2 s[2:3], s[0:1], 0x20
	s_load_dwordx2 s[8:9], s[0:1], 0x50
	;; [unrolled: 1-line block ×4, first 2 shown]
	v_cmp_gt_u32_e64 s[0:1], s6, v12
	s_and_b64 s[12:13], vcc, s[0:1]
	s_cmp_eq_u32 s14, 0
	s_cselect_b64 vcc, -1, 0
	s_abs_i32 s4, s6
	v_cvt_f32_u32_e32 v5, s4
	v_and_b32_e32 v0, 0xf0, v0
	v_lshl_or_b32 v13, v2, 2, v0
	v_or_b32_e32 v0, v13, v12
	v_lshlrev_b32_e32 v14, 4, v0
	v_mov_b32_e32 v0, 0
	v_rcp_iflag_f32_e32 v5, v5
	v_mbcnt_lo_u32_b32 v1, -1, 0
	v_mul_lo_u32 v6, v12, s6
	v_mov_b32_e32 v7, v0
	v_mbcnt_hi_u32_b32 v1, -1, v1
	s_waitcnt lgkmcnt(0)
	v_lshl_add_u64 v[6:7], v[6:7], 4, s[16:17]
	v_lshlrev_b32_e32 v16, 4, v2
	v_mov_b32_e32 v17, v0
	v_mul_lo_u32 v2, v2, s6
	v_mov_b32_e32 v3, v0
	v_lshl_add_u64 v[6:7], v[6:7], 0, v[16:17]
	v_lshl_add_u64 v[2:3], v[2:3], 4, s[16:17]
	v_lshlrev_b32_e32 v16, 4, v12
	v_lshlrev_b32_e32 v1, 2, v1
	v_lshl_add_u64 v[2:3], v[2:3], 0, v[16:17]
	v_or_b32_e32 v15, 12, v1
	v_or_b32_e32 v16, 60, v1
	v_mul_f32_e32 v1, 0x4f7ffffe, v5
	v_cvt_u32_f32_e32 v1, v1
	s_sub_i32 s0, 0, s4
	v_cndmask_b32_e32 v6, v6, v2, vcc
	s_mul_hi_u32 s21, s6, s6
	v_mul_lo_u32 v2, s0, v1
	v_mul_hi_u32 v2, v1, v2
	s_mul_i32 s22, s6, s6
	v_cndmask_b32_e32 v7, v7, v3, vcc
	s_ashr_i32 s23, s6, 31
	v_add_u32_e32 v17, v1, v2
	s_mov_b64 s[14:15], 0
	v_mov_b32_e32 v1, v0
	v_mov_b32_e32 v2, v0
	;; [unrolled: 1-line block ×5, first 2 shown]
	s_branch .LBB145_10
.LBB145_8:                              ;   in Loop: Header=BB145_10 Depth=1
	s_or_b64 exec, exec, s[16:17]
	v_mov_b32_e32 v9, 1
.LBB145_9:                              ;   in Loop: Header=BB145_10 Depth=1
	s_or_b64 exec, exec, s[0:1]
	v_mov_b32_dpp v5, v19 row_shr:1 row_mask:0xf bank_mask:0xf
	v_min_i32_e32 v5, v5, v19
	v_add_u32_e32 v4, v9, v4
	s_waitcnt lgkmcnt(0)
	v_mov_b32_dpp v19, v5 row_shr:2 row_mask:0xf bank_mask:0xf
	v_min_i32_e32 v5, v19, v5
	s_nop 1
	v_mov_b32_dpp v19, v5 row_shr:4 row_mask:0xf bank_mask:0xe
	v_min_i32_e32 v5, v19, v5
	s_nop 1
	v_mov_b32_dpp v19, v5 row_shr:8 row_mask:0xf bank_mask:0xc
	v_min_i32_e32 v5, v19, v5
	ds_bpermute_b32 v5, v16, v5
	s_waitcnt lgkmcnt(0)
	v_cmp_le_i32_e32 vcc, s5, v5
	s_or_b64 s[14:15], vcc, s[14:15]
	s_andn2_b64 exec, exec, s[14:15]
	s_cbranch_execz .LBB145_21
.LBB145_10:                             ; =>This Loop Header: Depth=1
                                        ;     Child Loop BB145_13 Depth 2
	v_add_u32_e32 v8, v8, v12
	v_cmp_lt_i32_e32 vcc, v8, v11
	v_mov_b32_e32 v19, s5
	v_mov_b32_e32 v21, v11
	ds_write_b8 v10, v0 offset:4096
	ds_write_b128 v14, v[0:3]
	s_waitcnt lgkmcnt(0)
	s_and_saveexec_b64 s[16:17], vcc
	s_cbranch_execz .LBB145_18
; %bb.11:                               ;   in Loop: Header=BB145_10 Depth=1
	v_mul_lo_u32 v20, v5, s6
	s_mov_b64 s[18:19], 0
	v_mov_b32_e32 v19, s5
	v_mov_b32_e32 v21, v11
	s_branch .LBB145_13
.LBB145_12:                             ;   in Loop: Header=BB145_13 Depth=2
	s_or_b64 exec, exec, s[0:1]
	v_add_u32_e32 v8, 4, v8
	v_cmp_ge_i32_e64 s[0:1], v8, v11
	s_xor_b64 s[24:25], vcc, -1
	s_or_b64 s[0:1], s[24:25], s[0:1]
	s_and_b64 s[0:1], exec, s[0:1]
	s_or_b64 s[18:19], s[0:1], s[18:19]
	s_andn2_b64 exec, exec, s[18:19]
	s_cbranch_execz .LBB145_17
.LBB145_13:                             ;   Parent Loop BB145_10 Depth=1
                                        ; =>  This Inner Loop Header: Depth=2
	v_ashrrev_i32_e32 v9, 31, v8
	v_lshl_add_u64 v[22:23], v[8:9], 2, s[10:11]
	global_load_dword v22, v[22:23], off
	s_waitcnt vmcnt(0)
	v_subrev_u32_e32 v22, s7, v22
	v_sub_u32_e32 v24, 0, v22
	v_max_i32_e32 v24, v22, v24
	v_mul_hi_u32 v25, v24, v17
	v_mul_lo_u32 v26, v25, s4
	v_sub_u32_e32 v24, v24, v26
	v_add_u32_e32 v27, 1, v25
	v_cmp_le_u32_e32 vcc, s4, v24
	v_subrev_u32_e32 v26, s4, v24
	v_ashrrev_i32_e32 v23, 31, v22
	v_cndmask_b32_e32 v25, v25, v27, vcc
	v_cndmask_b32_e32 v24, v24, v26, vcc
	v_add_u32_e32 v26, 1, v25
	v_cmp_le_u32_e32 vcc, s4, v24
	v_xor_b32_e32 v23, s23, v23
	s_nop 0
	v_cndmask_b32_e32 v24, v25, v26, vcc
	v_xor_b32_e32 v24, v24, v23
	v_sub_u32_e32 v24, v24, v23
	v_cmp_eq_u32_e32 vcc, v24, v5
	v_cmp_ne_u32_e64 s[0:1], v24, v5
	v_mov_b32_e32 v23, v21
	s_and_saveexec_b64 s[24:25], s[0:1]
	s_xor_b64 s[0:1], exec, s[24:25]
; %bb.14:                               ;   in Loop: Header=BB145_13 Depth=2
	v_min_i32_e32 v19, v24, v19
                                        ; implicit-def: $vgpr22
                                        ; implicit-def: $vgpr23
; %bb.15:                               ;   in Loop: Header=BB145_13 Depth=2
	s_or_saveexec_b64 s[0:1], s[0:1]
	v_mov_b32_e32 v21, v8
	s_xor_b64 exec, exec, s[0:1]
	s_cbranch_execz .LBB145_12
; %bb.16:                               ;   in Loop: Header=BB145_13 Depth=2
	v_lshl_add_u64 v[24:25], v[8:9], 4, s[2:3]
	global_load_dwordx4 v[24:27], v[24:25], off
	v_sub_u32_e32 v9, v22, v20
	v_add_lshl_u32 v9, v9, v13, 4
	v_mov_b32_e32 v21, v23
	ds_write_b8 v10, v18 offset:4096
	s_waitcnt vmcnt(0)
	ds_write2_b64 v9, v[24:25], v[26:27] offset1:1
	s_branch .LBB145_12
.LBB145_17:                             ;   in Loop: Header=BB145_10 Depth=1
	s_or_b64 exec, exec, s[18:19]
.LBB145_18:                             ;   in Loop: Header=BB145_10 Depth=1
	s_or_b64 exec, exec, s[16:17]
	v_mov_b32_dpp v8, v21 row_shr:1 row_mask:0xf bank_mask:0xf
	v_min_i32_e32 v8, v8, v21
	s_waitcnt lgkmcnt(0)
	ds_read_u8 v9, v10 offset:4096
	v_mov_b32_dpp v20, v8 row_shr:2 row_mask:0xf bank_mask:0xf
	v_min_i32_e32 v8, v20, v8
	ds_bpermute_b32 v8, v15, v8
	s_waitcnt lgkmcnt(1)
	v_and_b32_e32 v9, 1, v9
	v_cmp_eq_u32_e32 vcc, 1, v9
	v_mov_b32_e32 v9, 0
	s_and_saveexec_b64 s[0:1], vcc
	s_cbranch_execz .LBB145_9
; %bb.19:                               ;   in Loop: Header=BB145_10 Depth=1
	v_add_u32_e32 v9, s20, v5
	v_ashrrev_i32_e32 v5, 31, v4
	v_lshl_add_u64 v[20:21], v[4:5], 2, s[8:9]
	global_store_dword v[20:21], v9, off
	s_and_saveexec_b64 s[16:17], s[12:13]
	s_cbranch_execz .LBB145_8
; %bb.20:                               ;   in Loop: Header=BB145_10 Depth=1
	ds_read2_b64 v[20:23], v14 offset1:1
	v_mul_lo_u32 v9, s21, v4
	v_mul_lo_u32 v5, s22, v5
	v_mad_u64_u32 v[24:25], s[18:19], s22, v4, 0
	v_add3_u32 v25, v25, v5, v9
	v_lshl_add_u64 v[24:25], v[24:25], 4, v[6:7]
	s_waitcnt lgkmcnt(0)
	global_store_dwordx4 v[24:25], v[20:23], off
	s_branch .LBB145_8
.LBB145_21:
	s_endpgm
	.section	.rodata,"a",@progbits
	.p2align	6, 0x0
	.amdhsa_kernel _ZN9rocsparseL42csr2bsr_wavefront_per_row_multipass_kernelILj256ELj16ELj4E21rocsparse_complex_numIdEiiEEv20rocsparse_direction_T4_S4_S4_S4_S4_21rocsparse_index_base_PKT2_PKT3_PKS4_S5_PS6_PS9_PS4_
		.amdhsa_group_segment_fixed_size 4112
		.amdhsa_private_segment_fixed_size 0
		.amdhsa_kernarg_size 88
		.amdhsa_user_sgpr_count 2
		.amdhsa_user_sgpr_dispatch_ptr 0
		.amdhsa_user_sgpr_queue_ptr 0
		.amdhsa_user_sgpr_kernarg_segment_ptr 1
		.amdhsa_user_sgpr_dispatch_id 0
		.amdhsa_user_sgpr_kernarg_preload_length 0
		.amdhsa_user_sgpr_kernarg_preload_offset 0
		.amdhsa_user_sgpr_private_segment_size 0
		.amdhsa_uses_dynamic_stack 0
		.amdhsa_enable_private_segment 0
		.amdhsa_system_sgpr_workgroup_id_x 1
		.amdhsa_system_sgpr_workgroup_id_y 0
		.amdhsa_system_sgpr_workgroup_id_z 0
		.amdhsa_system_sgpr_workgroup_info 0
		.amdhsa_system_vgpr_workitem_id 0
		.amdhsa_next_free_vgpr 28
		.amdhsa_next_free_sgpr 26
		.amdhsa_accum_offset 28
		.amdhsa_reserve_vcc 1
		.amdhsa_float_round_mode_32 0
		.amdhsa_float_round_mode_16_64 0
		.amdhsa_float_denorm_mode_32 3
		.amdhsa_float_denorm_mode_16_64 3
		.amdhsa_dx10_clamp 1
		.amdhsa_ieee_mode 1
		.amdhsa_fp16_overflow 0
		.amdhsa_tg_split 0
		.amdhsa_exception_fp_ieee_invalid_op 0
		.amdhsa_exception_fp_denorm_src 0
		.amdhsa_exception_fp_ieee_div_zero 0
		.amdhsa_exception_fp_ieee_overflow 0
		.amdhsa_exception_fp_ieee_underflow 0
		.amdhsa_exception_fp_ieee_inexact 0
		.amdhsa_exception_int_div_zero 0
	.end_amdhsa_kernel
	.section	.text._ZN9rocsparseL42csr2bsr_wavefront_per_row_multipass_kernelILj256ELj16ELj4E21rocsparse_complex_numIdEiiEEv20rocsparse_direction_T4_S4_S4_S4_S4_21rocsparse_index_base_PKT2_PKT3_PKS4_S5_PS6_PS9_PS4_,"axG",@progbits,_ZN9rocsparseL42csr2bsr_wavefront_per_row_multipass_kernelILj256ELj16ELj4E21rocsparse_complex_numIdEiiEEv20rocsparse_direction_T4_S4_S4_S4_S4_21rocsparse_index_base_PKT2_PKT3_PKS4_S5_PS6_PS9_PS4_,comdat
.Lfunc_end145:
	.size	_ZN9rocsparseL42csr2bsr_wavefront_per_row_multipass_kernelILj256ELj16ELj4E21rocsparse_complex_numIdEiiEEv20rocsparse_direction_T4_S4_S4_S4_S4_21rocsparse_index_base_PKT2_PKT3_PKS4_S5_PS6_PS9_PS4_, .Lfunc_end145-_ZN9rocsparseL42csr2bsr_wavefront_per_row_multipass_kernelILj256ELj16ELj4E21rocsparse_complex_numIdEiiEEv20rocsparse_direction_T4_S4_S4_S4_S4_21rocsparse_index_base_PKT2_PKT3_PKS4_S5_PS6_PS9_PS4_
                                        ; -- End function
	.section	.AMDGPU.csdata,"",@progbits
; Kernel info:
; codeLenInByte = 1116
; NumSgprs: 32
; NumVgprs: 28
; NumAgprs: 0
; TotalNumVgprs: 28
; ScratchSize: 0
; MemoryBound: 0
; FloatMode: 240
; IeeeMode: 1
; LDSByteSize: 4112 bytes/workgroup (compile time only)
; SGPRBlocks: 3
; VGPRBlocks: 3
; NumSGPRsForWavesPerEU: 32
; NumVGPRsForWavesPerEU: 28
; AccumOffset: 28
; Occupancy: 8
; WaveLimiterHint : 0
; COMPUTE_PGM_RSRC2:SCRATCH_EN: 0
; COMPUTE_PGM_RSRC2:USER_SGPR: 2
; COMPUTE_PGM_RSRC2:TRAP_HANDLER: 0
; COMPUTE_PGM_RSRC2:TGID_X_EN: 1
; COMPUTE_PGM_RSRC2:TGID_Y_EN: 0
; COMPUTE_PGM_RSRC2:TGID_Z_EN: 0
; COMPUTE_PGM_RSRC2:TIDIG_COMP_CNT: 0
; COMPUTE_PGM_RSRC3_GFX90A:ACCUM_OFFSET: 6
; COMPUTE_PGM_RSRC3_GFX90A:TG_SPLIT: 0
	.section	.text._ZN9rocsparseL42csr2bsr_wavefront_per_row_multipass_kernelILj256ELj64ELj8E21rocsparse_complex_numIdEiiEEv20rocsparse_direction_T4_S4_S4_S4_S4_21rocsparse_index_base_PKT2_PKT3_PKS4_S5_PS6_PS9_PS4_,"axG",@progbits,_ZN9rocsparseL42csr2bsr_wavefront_per_row_multipass_kernelILj256ELj64ELj8E21rocsparse_complex_numIdEiiEEv20rocsparse_direction_T4_S4_S4_S4_S4_21rocsparse_index_base_PKT2_PKT3_PKS4_S5_PS6_PS9_PS4_,comdat
	.globl	_ZN9rocsparseL42csr2bsr_wavefront_per_row_multipass_kernelILj256ELj64ELj8E21rocsparse_complex_numIdEiiEEv20rocsparse_direction_T4_S4_S4_S4_S4_21rocsparse_index_base_PKT2_PKT3_PKS4_S5_PS6_PS9_PS4_ ; -- Begin function _ZN9rocsparseL42csr2bsr_wavefront_per_row_multipass_kernelILj256ELj64ELj8E21rocsparse_complex_numIdEiiEEv20rocsparse_direction_T4_S4_S4_S4_S4_21rocsparse_index_base_PKT2_PKT3_PKS4_S5_PS6_PS9_PS4_
	.p2align	8
	.type	_ZN9rocsparseL42csr2bsr_wavefront_per_row_multipass_kernelILj256ELj64ELj8E21rocsparse_complex_numIdEiiEEv20rocsparse_direction_T4_S4_S4_S4_S4_21rocsparse_index_base_PKT2_PKT3_PKS4_S5_PS6_PS9_PS4_,@function
_ZN9rocsparseL42csr2bsr_wavefront_per_row_multipass_kernelILj256ELj64ELj8E21rocsparse_complex_numIdEiiEEv20rocsparse_direction_T4_S4_S4_S4_S4_21rocsparse_index_base_PKT2_PKT3_PKS4_S5_PS6_PS9_PS4_: ; @_ZN9rocsparseL42csr2bsr_wavefront_per_row_multipass_kernelILj256ELj64ELj8E21rocsparse_complex_numIdEiiEEv20rocsparse_direction_T4_S4_S4_S4_S4_21rocsparse_index_base_PKT2_PKT3_PKS4_S5_PS6_PS9_PS4_
; %bb.0:
	s_load_dwordx2 s[14:15], s[0:1], 0x0
	s_load_dwordx4 s[4:7], s[0:1], 0xc
	s_load_dwordx2 s[8:9], s[0:1], 0x28
	v_lshrrev_b32_e32 v10, 6, v0
	v_bfe_u32 v2, v0, 3, 3
	v_lshl_or_b32 v6, s2, 2, v10
	s_waitcnt lgkmcnt(0)
	v_mad_u64_u32 v[4:5], s[2:3], v6, s6, v[2:3]
	v_cmp_gt_i32_e64 s[2:3], s15, v4
	v_cmp_gt_i32_e32 vcc, s6, v2
	s_and_b64 s[2:3], vcc, s[2:3]
	v_mov_b32_e32 v11, 0
	v_mov_b32_e32 v8, 0
	s_and_saveexec_b64 s[10:11], s[2:3]
	s_cbranch_execz .LBB146_2
; %bb.1:
	v_ashrrev_i32_e32 v5, 31, v4
	v_lshl_add_u64 v[8:9], v[4:5], 2, s[8:9]
	global_load_dword v1, v[8:9], off
	s_waitcnt vmcnt(0)
	v_subrev_u32_e32 v8, s7, v1
.LBB146_2:
	s_or_b64 exec, exec, s[10:11]
	s_and_saveexec_b64 s[10:11], s[2:3]
	s_cbranch_execz .LBB146_4
; %bb.3:
	v_ashrrev_i32_e32 v5, 31, v4
	v_lshl_add_u64 v[4:5], v[4:5], 2, s[8:9]
	global_load_dword v1, v[4:5], off offset:4
	s_waitcnt vmcnt(0)
	v_subrev_u32_e32 v11, s7, v1
.LBB146_4:
	s_or_b64 exec, exec, s[10:11]
	s_load_dword s20, s[0:1], 0x38
	v_cmp_gt_i32_e64 s[2:3], s4, v6
	v_mov_b32_e32 v4, 0
	s_and_saveexec_b64 s[8:9], s[2:3]
	s_cbranch_execz .LBB146_6
; %bb.5:
	s_load_dwordx2 s[2:3], s[0:1], 0x48
	v_ashrrev_i32_e32 v7, 31, v6
	s_waitcnt lgkmcnt(0)
	v_lshl_add_u64 v[4:5], v[6:7], 2, s[2:3]
	global_load_dword v1, v[4:5], off
	s_waitcnt vmcnt(0)
	v_subrev_u32_e32 v4, s20, v1
.LBB146_6:
	s_or_b64 exec, exec, s[8:9]
	s_cmp_lt_i32 s5, 1
	s_cbranch_scc1 .LBB146_21
; %bb.7:
	v_and_b32_e32 v12, 7, v0
	s_load_dwordx2 s[2:3], s[0:1], 0x20
	s_load_dwordx2 s[8:9], s[0:1], 0x50
	;; [unrolled: 1-line block ×4, first 2 shown]
	v_cmp_gt_u32_e64 s[0:1], s6, v12
	s_and_b64 s[12:13], vcc, s[0:1]
	s_cmp_eq_u32 s14, 0
	s_cselect_b64 vcc, -1, 0
	s_abs_i32 s4, s6
	v_cvt_f32_u32_e32 v5, s4
	v_and_b32_e32 v0, 0xc0, v0
	v_lshl_or_b32 v13, v2, 3, v0
	v_or_b32_e32 v0, v13, v12
	v_lshlrev_b32_e32 v14, 4, v0
	v_mov_b32_e32 v0, 0
	v_rcp_iflag_f32_e32 v5, v5
	v_mbcnt_lo_u32_b32 v1, -1, 0
	v_mul_lo_u32 v6, v12, s6
	v_mov_b32_e32 v7, v0
	v_mbcnt_hi_u32_b32 v1, -1, v1
	s_waitcnt lgkmcnt(0)
	v_lshl_add_u64 v[6:7], v[6:7], 4, s[16:17]
	v_lshlrev_b32_e32 v16, 4, v2
	v_mov_b32_e32 v17, v0
	v_mul_lo_u32 v2, v2, s6
	v_mov_b32_e32 v3, v0
	v_lshl_add_u64 v[6:7], v[6:7], 0, v[16:17]
	v_lshl_add_u64 v[2:3], v[2:3], 4, s[16:17]
	v_lshlrev_b32_e32 v16, 4, v12
	v_lshlrev_b32_e32 v1, 2, v1
	v_lshl_add_u64 v[2:3], v[2:3], 0, v[16:17]
	v_or_b32_e32 v15, 28, v1
	v_or_b32_e32 v16, 0xfc, v1
	v_mul_f32_e32 v1, 0x4f7ffffe, v5
	v_cvt_u32_f32_e32 v1, v1
	s_sub_i32 s0, 0, s4
	v_cndmask_b32_e32 v6, v6, v2, vcc
	s_mul_hi_u32 s21, s6, s6
	v_mul_lo_u32 v2, s0, v1
	v_mul_hi_u32 v2, v1, v2
	s_mul_i32 s22, s6, s6
	v_cndmask_b32_e32 v7, v7, v3, vcc
	s_ashr_i32 s23, s6, 31
	v_add_u32_e32 v17, v1, v2
	s_mov_b64 s[14:15], 0
	v_mov_b32_e32 v1, v0
	v_mov_b32_e32 v2, v0
	;; [unrolled: 1-line block ×5, first 2 shown]
	s_branch .LBB146_10
.LBB146_8:                              ;   in Loop: Header=BB146_10 Depth=1
	s_or_b64 exec, exec, s[16:17]
	v_mov_b32_e32 v9, 1
.LBB146_9:                              ;   in Loop: Header=BB146_10 Depth=1
	s_or_b64 exec, exec, s[0:1]
	v_mov_b32_dpp v5, v19 row_shr:1 row_mask:0xf bank_mask:0xf
	v_min_i32_e32 v5, v5, v19
	v_add_u32_e32 v4, v9, v4
	s_waitcnt lgkmcnt(0)
	v_mov_b32_dpp v19, v5 row_shr:2 row_mask:0xf bank_mask:0xf
	v_min_i32_e32 v5, v19, v5
	s_nop 1
	v_mov_b32_dpp v19, v5 row_shr:4 row_mask:0xf bank_mask:0xe
	v_min_i32_e32 v5, v19, v5
	s_nop 1
	v_mov_b32_dpp v19, v5 row_shr:8 row_mask:0xf bank_mask:0xc
	v_min_i32_e32 v5, v19, v5
	s_nop 1
	v_mov_b32_dpp v19, v5 row_bcast:15 row_mask:0xa bank_mask:0xf
	v_min_i32_e32 v5, v19, v5
	s_nop 1
	v_mov_b32_dpp v19, v5 row_bcast:31 row_mask:0xc bank_mask:0xf
	v_min_i32_e32 v5, v19, v5
	ds_bpermute_b32 v5, v16, v5
	s_waitcnt lgkmcnt(0)
	v_cmp_le_i32_e32 vcc, s5, v5
	s_or_b64 s[14:15], vcc, s[14:15]
	s_andn2_b64 exec, exec, s[14:15]
	s_cbranch_execz .LBB146_21
.LBB146_10:                             ; =>This Loop Header: Depth=1
                                        ;     Child Loop BB146_13 Depth 2
	v_add_u32_e32 v8, v8, v12
	v_cmp_lt_i32_e32 vcc, v8, v11
	v_mov_b32_e32 v19, s5
	v_mov_b32_e32 v21, v11
	ds_write_b8 v10, v0 offset:4096
	ds_write_b128 v14, v[0:3]
	s_waitcnt lgkmcnt(0)
	s_and_saveexec_b64 s[16:17], vcc
	s_cbranch_execz .LBB146_18
; %bb.11:                               ;   in Loop: Header=BB146_10 Depth=1
	v_mul_lo_u32 v20, v5, s6
	s_mov_b64 s[18:19], 0
	v_mov_b32_e32 v19, s5
	v_mov_b32_e32 v21, v11
	s_branch .LBB146_13
.LBB146_12:                             ;   in Loop: Header=BB146_13 Depth=2
	s_or_b64 exec, exec, s[0:1]
	v_add_u32_e32 v8, 8, v8
	v_cmp_ge_i32_e64 s[0:1], v8, v11
	s_xor_b64 s[24:25], vcc, -1
	s_or_b64 s[0:1], s[24:25], s[0:1]
	s_and_b64 s[0:1], exec, s[0:1]
	s_or_b64 s[18:19], s[0:1], s[18:19]
	s_andn2_b64 exec, exec, s[18:19]
	s_cbranch_execz .LBB146_17
.LBB146_13:                             ;   Parent Loop BB146_10 Depth=1
                                        ; =>  This Inner Loop Header: Depth=2
	v_ashrrev_i32_e32 v9, 31, v8
	v_lshl_add_u64 v[22:23], v[8:9], 2, s[10:11]
	global_load_dword v22, v[22:23], off
	s_waitcnt vmcnt(0)
	v_subrev_u32_e32 v22, s7, v22
	v_sub_u32_e32 v24, 0, v22
	v_max_i32_e32 v24, v22, v24
	v_mul_hi_u32 v25, v24, v17
	v_mul_lo_u32 v26, v25, s4
	v_sub_u32_e32 v24, v24, v26
	v_add_u32_e32 v27, 1, v25
	v_cmp_le_u32_e32 vcc, s4, v24
	v_subrev_u32_e32 v26, s4, v24
	v_ashrrev_i32_e32 v23, 31, v22
	v_cndmask_b32_e32 v25, v25, v27, vcc
	v_cndmask_b32_e32 v24, v24, v26, vcc
	v_add_u32_e32 v26, 1, v25
	v_cmp_le_u32_e32 vcc, s4, v24
	v_xor_b32_e32 v23, s23, v23
	s_nop 0
	v_cndmask_b32_e32 v24, v25, v26, vcc
	v_xor_b32_e32 v24, v24, v23
	v_sub_u32_e32 v24, v24, v23
	v_cmp_eq_u32_e32 vcc, v24, v5
	v_cmp_ne_u32_e64 s[0:1], v24, v5
	v_mov_b32_e32 v23, v21
	s_and_saveexec_b64 s[24:25], s[0:1]
	s_xor_b64 s[0:1], exec, s[24:25]
; %bb.14:                               ;   in Loop: Header=BB146_13 Depth=2
	v_min_i32_e32 v19, v24, v19
                                        ; implicit-def: $vgpr22
                                        ; implicit-def: $vgpr23
; %bb.15:                               ;   in Loop: Header=BB146_13 Depth=2
	s_or_saveexec_b64 s[0:1], s[0:1]
	v_mov_b32_e32 v21, v8
	s_xor_b64 exec, exec, s[0:1]
	s_cbranch_execz .LBB146_12
; %bb.16:                               ;   in Loop: Header=BB146_13 Depth=2
	v_lshl_add_u64 v[24:25], v[8:9], 4, s[2:3]
	global_load_dwordx4 v[24:27], v[24:25], off
	v_sub_u32_e32 v9, v22, v20
	v_add_lshl_u32 v9, v9, v13, 4
	v_mov_b32_e32 v21, v23
	ds_write_b8 v10, v18 offset:4096
	s_waitcnt vmcnt(0)
	ds_write2_b64 v9, v[24:25], v[26:27] offset1:1
	s_branch .LBB146_12
.LBB146_17:                             ;   in Loop: Header=BB146_10 Depth=1
	s_or_b64 exec, exec, s[18:19]
.LBB146_18:                             ;   in Loop: Header=BB146_10 Depth=1
	s_or_b64 exec, exec, s[16:17]
	v_mov_b32_dpp v8, v21 row_shr:1 row_mask:0xf bank_mask:0xf
	v_min_i32_e32 v8, v8, v21
	s_waitcnt lgkmcnt(0)
	s_nop 0
	v_mov_b32_dpp v9, v8 row_shr:2 row_mask:0xf bank_mask:0xf
	v_min_i32_e32 v8, v9, v8
	ds_read_u8 v9, v10 offset:4096
	s_waitcnt lgkmcnt(0)
	v_and_b32_e32 v9, 1, v9
	v_mov_b32_dpp v20, v8 row_shr:4 row_mask:0xf bank_mask:0xe
	v_min_i32_e32 v8, v20, v8
	ds_bpermute_b32 v8, v15, v8
	v_cmp_eq_u32_e32 vcc, 1, v9
	v_mov_b32_e32 v9, 0
	s_and_saveexec_b64 s[0:1], vcc
	s_cbranch_execz .LBB146_9
; %bb.19:                               ;   in Loop: Header=BB146_10 Depth=1
	v_add_u32_e32 v9, s20, v5
	v_ashrrev_i32_e32 v5, 31, v4
	v_lshl_add_u64 v[20:21], v[4:5], 2, s[8:9]
	global_store_dword v[20:21], v9, off
	s_and_saveexec_b64 s[16:17], s[12:13]
	s_cbranch_execz .LBB146_8
; %bb.20:                               ;   in Loop: Header=BB146_10 Depth=1
	ds_read2_b64 v[20:23], v14 offset1:1
	v_mul_lo_u32 v9, s21, v4
	v_mul_lo_u32 v5, s22, v5
	v_mad_u64_u32 v[24:25], s[18:19], s22, v4, 0
	v_add3_u32 v25, v25, v5, v9
	v_lshl_add_u64 v[24:25], v[24:25], 4, v[6:7]
	s_waitcnt lgkmcnt(0)
	global_store_dwordx4 v[24:25], v[20:23], off
	s_branch .LBB146_8
.LBB146_21:
	s_endpgm
	.section	.rodata,"a",@progbits
	.p2align	6, 0x0
	.amdhsa_kernel _ZN9rocsparseL42csr2bsr_wavefront_per_row_multipass_kernelILj256ELj64ELj8E21rocsparse_complex_numIdEiiEEv20rocsparse_direction_T4_S4_S4_S4_S4_21rocsparse_index_base_PKT2_PKT3_PKS4_S5_PS6_PS9_PS4_
		.amdhsa_group_segment_fixed_size 4104
		.amdhsa_private_segment_fixed_size 0
		.amdhsa_kernarg_size 88
		.amdhsa_user_sgpr_count 2
		.amdhsa_user_sgpr_dispatch_ptr 0
		.amdhsa_user_sgpr_queue_ptr 0
		.amdhsa_user_sgpr_kernarg_segment_ptr 1
		.amdhsa_user_sgpr_dispatch_id 0
		.amdhsa_user_sgpr_kernarg_preload_length 0
		.amdhsa_user_sgpr_kernarg_preload_offset 0
		.amdhsa_user_sgpr_private_segment_size 0
		.amdhsa_uses_dynamic_stack 0
		.amdhsa_enable_private_segment 0
		.amdhsa_system_sgpr_workgroup_id_x 1
		.amdhsa_system_sgpr_workgroup_id_y 0
		.amdhsa_system_sgpr_workgroup_id_z 0
		.amdhsa_system_sgpr_workgroup_info 0
		.amdhsa_system_vgpr_workitem_id 0
		.amdhsa_next_free_vgpr 28
		.amdhsa_next_free_sgpr 26
		.amdhsa_accum_offset 28
		.amdhsa_reserve_vcc 1
		.amdhsa_float_round_mode_32 0
		.amdhsa_float_round_mode_16_64 0
		.amdhsa_float_denorm_mode_32 3
		.amdhsa_float_denorm_mode_16_64 3
		.amdhsa_dx10_clamp 1
		.amdhsa_ieee_mode 1
		.amdhsa_fp16_overflow 0
		.amdhsa_tg_split 0
		.amdhsa_exception_fp_ieee_invalid_op 0
		.amdhsa_exception_fp_denorm_src 0
		.amdhsa_exception_fp_ieee_div_zero 0
		.amdhsa_exception_fp_ieee_overflow 0
		.amdhsa_exception_fp_ieee_underflow 0
		.amdhsa_exception_fp_ieee_inexact 0
		.amdhsa_exception_int_div_zero 0
	.end_amdhsa_kernel
	.section	.text._ZN9rocsparseL42csr2bsr_wavefront_per_row_multipass_kernelILj256ELj64ELj8E21rocsparse_complex_numIdEiiEEv20rocsparse_direction_T4_S4_S4_S4_S4_21rocsparse_index_base_PKT2_PKT3_PKS4_S5_PS6_PS9_PS4_,"axG",@progbits,_ZN9rocsparseL42csr2bsr_wavefront_per_row_multipass_kernelILj256ELj64ELj8E21rocsparse_complex_numIdEiiEEv20rocsparse_direction_T4_S4_S4_S4_S4_21rocsparse_index_base_PKT2_PKT3_PKS4_S5_PS6_PS9_PS4_,comdat
.Lfunc_end146:
	.size	_ZN9rocsparseL42csr2bsr_wavefront_per_row_multipass_kernelILj256ELj64ELj8E21rocsparse_complex_numIdEiiEEv20rocsparse_direction_T4_S4_S4_S4_S4_21rocsparse_index_base_PKT2_PKT3_PKS4_S5_PS6_PS9_PS4_, .Lfunc_end146-_ZN9rocsparseL42csr2bsr_wavefront_per_row_multipass_kernelILj256ELj64ELj8E21rocsparse_complex_numIdEiiEEv20rocsparse_direction_T4_S4_S4_S4_S4_21rocsparse_index_base_PKT2_PKT3_PKS4_S5_PS6_PS9_PS4_
                                        ; -- End function
	.section	.AMDGPU.csdata,"",@progbits
; Kernel info:
; codeLenInByte = 1168
; NumSgprs: 32
; NumVgprs: 28
; NumAgprs: 0
; TotalNumVgprs: 28
; ScratchSize: 0
; MemoryBound: 0
; FloatMode: 240
; IeeeMode: 1
; LDSByteSize: 4104 bytes/workgroup (compile time only)
; SGPRBlocks: 3
; VGPRBlocks: 3
; NumSGPRsForWavesPerEU: 32
; NumVGPRsForWavesPerEU: 28
; AccumOffset: 28
; Occupancy: 8
; WaveLimiterHint : 0
; COMPUTE_PGM_RSRC2:SCRATCH_EN: 0
; COMPUTE_PGM_RSRC2:USER_SGPR: 2
; COMPUTE_PGM_RSRC2:TRAP_HANDLER: 0
; COMPUTE_PGM_RSRC2:TGID_X_EN: 1
; COMPUTE_PGM_RSRC2:TGID_Y_EN: 0
; COMPUTE_PGM_RSRC2:TGID_Z_EN: 0
; COMPUTE_PGM_RSRC2:TIDIG_COMP_CNT: 0
; COMPUTE_PGM_RSRC3_GFX90A:ACCUM_OFFSET: 6
; COMPUTE_PGM_RSRC3_GFX90A:TG_SPLIT: 0
	.section	.text._ZN9rocsparseL42csr2bsr_wavefront_per_row_multipass_kernelILj256ELj32ELj8E21rocsparse_complex_numIdEiiEEv20rocsparse_direction_T4_S4_S4_S4_S4_21rocsparse_index_base_PKT2_PKT3_PKS4_S5_PS6_PS9_PS4_,"axG",@progbits,_ZN9rocsparseL42csr2bsr_wavefront_per_row_multipass_kernelILj256ELj32ELj8E21rocsparse_complex_numIdEiiEEv20rocsparse_direction_T4_S4_S4_S4_S4_21rocsparse_index_base_PKT2_PKT3_PKS4_S5_PS6_PS9_PS4_,comdat
	.globl	_ZN9rocsparseL42csr2bsr_wavefront_per_row_multipass_kernelILj256ELj32ELj8E21rocsparse_complex_numIdEiiEEv20rocsparse_direction_T4_S4_S4_S4_S4_21rocsparse_index_base_PKT2_PKT3_PKS4_S5_PS6_PS9_PS4_ ; -- Begin function _ZN9rocsparseL42csr2bsr_wavefront_per_row_multipass_kernelILj256ELj32ELj8E21rocsparse_complex_numIdEiiEEv20rocsparse_direction_T4_S4_S4_S4_S4_21rocsparse_index_base_PKT2_PKT3_PKS4_S5_PS6_PS9_PS4_
	.p2align	8
	.type	_ZN9rocsparseL42csr2bsr_wavefront_per_row_multipass_kernelILj256ELj32ELj8E21rocsparse_complex_numIdEiiEEv20rocsparse_direction_T4_S4_S4_S4_S4_21rocsparse_index_base_PKT2_PKT3_PKS4_S5_PS6_PS9_PS4_,@function
_ZN9rocsparseL42csr2bsr_wavefront_per_row_multipass_kernelILj256ELj32ELj8E21rocsparse_complex_numIdEiiEEv20rocsparse_direction_T4_S4_S4_S4_S4_21rocsparse_index_base_PKT2_PKT3_PKS4_S5_PS6_PS9_PS4_: ; @_ZN9rocsparseL42csr2bsr_wavefront_per_row_multipass_kernelILj256ELj32ELj8E21rocsparse_complex_numIdEiiEEv20rocsparse_direction_T4_S4_S4_S4_S4_21rocsparse_index_base_PKT2_PKT3_PKS4_S5_PS6_PS9_PS4_
; %bb.0:
	s_load_dwordx2 s[10:11], s[0:1], 0x0
	s_load_dwordx4 s[4:7], s[0:1], 0xc
	s_load_dwordx2 s[8:9], s[0:1], 0x28
	v_lshrrev_b32_e32 v22, 5, v0
	v_bfe_u32 v2, v0, 2, 3
	v_lshl_or_b32 v6, s2, 3, v22
	s_waitcnt lgkmcnt(0)
	v_mad_u64_u32 v[4:5], s[2:3], v6, s6, v[2:3]
	v_cmp_gt_i32_e64 s[2:3], s11, v4
	v_cmp_gt_i32_e32 vcc, s6, v2
	s_and_b64 s[2:3], vcc, s[2:3]
	v_mov_b32_e32 v23, 0
	v_mov_b32_e32 v31, 0
	s_and_saveexec_b64 s[12:13], s[2:3]
	s_cbranch_execz .LBB147_2
; %bb.1:
	v_ashrrev_i32_e32 v5, 31, v4
	v_lshl_add_u64 v[8:9], v[4:5], 2, s[8:9]
	global_load_dword v1, v[8:9], off
	s_waitcnt vmcnt(0)
	v_subrev_u32_e32 v31, s7, v1
.LBB147_2:
	s_or_b64 exec, exec, s[12:13]
	s_and_saveexec_b64 s[12:13], s[2:3]
	s_cbranch_execz .LBB147_4
; %bb.3:
	v_ashrrev_i32_e32 v5, 31, v4
	v_lshl_add_u64 v[4:5], v[4:5], 2, s[8:9]
	global_load_dword v1, v[4:5], off offset:4
	s_waitcnt vmcnt(0)
	v_subrev_u32_e32 v23, s7, v1
.LBB147_4:
	s_or_b64 exec, exec, s[12:13]
	s_load_dword s26, s[0:1], 0x38
	v_cmp_gt_i32_e64 s[2:3], s4, v6
	v_mov_b32_e32 v4, 0
	s_and_saveexec_b64 s[8:9], s[2:3]
	s_cbranch_execz .LBB147_6
; %bb.5:
	s_load_dwordx2 s[2:3], s[0:1], 0x48
	v_ashrrev_i32_e32 v7, 31, v6
	s_waitcnt lgkmcnt(0)
	v_lshl_add_u64 v[4:5], v[6:7], 2, s[2:3]
	global_load_dword v1, v[4:5], off
	s_waitcnt vmcnt(0)
	v_subrev_u32_e32 v4, s26, v1
.LBB147_6:
	s_or_b64 exec, exec, s[8:9]
	s_cmp_lt_i32 s5, 1
	s_cbranch_scc1 .LBB147_30
; %bb.7:
	v_and_b32_e32 v6, 3, v0
	v_lshlrev_b32_e32 v0, 6, v22
	v_lshl_or_b32 v7, v2, 3, v0
	v_mbcnt_lo_u32_b32 v0, -1, 0
	v_mbcnt_hi_u32_b32 v0, -1, v0
	v_lshlrev_b32_e32 v0, 2, v0
	s_cmp_lg_u32 s10, 0
	v_or_b32_e32 v25, 12, v0
	v_or_b32_e32 v26, 0x7c, v0
	;; [unrolled: 1-line block ×3, first 2 shown]
	s_cselect_b64 s[18:19], -1, 0
	s_abs_i32 s28, s6
	v_lshlrev_b32_e32 v27, 4, v0
	v_cvt_f32_u32_e32 v0, s28
	s_load_dwordx2 s[12:13], s[0:1], 0x20
	s_load_dwordx2 s[14:15], s[0:1], 0x50
	;; [unrolled: 1-line block ×4, first 2 shown]
	v_lshlrev_b32_e32 v8, 4, v2
	v_mov_b32_e32 v9, 0
	v_rcp_iflag_f32_e32 v0, v0
	v_cmp_gt_u32_e64 s[0:1], s6, v6
	s_waitcnt lgkmcnt(0)
	v_lshl_add_u64 v[10:11], s[2:3], 0, v[8:9]
	v_mul_lo_u32 v8, v2, s6
	v_mul_f32_e32 v0, 0x4f7ffffe, v0
	v_cvt_u32_f32_e32 v0, v0
	v_or_b32_e32 v1, 4, v6
	s_and_b64 s[20:21], s[0:1], vcc
	s_sub_i32 s0, 0, s28
	s_mov_b32 s8, 0
	v_lshl_add_u64 v[12:13], v[8:9], 4, s[2:3]
	v_cmp_gt_u32_e64 s[2:3], s6, v1
	v_mul_lo_u32 v1, s0, v0
	v_mul_hi_u32 v1, v0, v1
	s_mov_b32 s9, s8
	v_mul_lo_u32 v14, v6, s6
	v_add_u32_e32 v29, v0, v1
	s_mov_b32 s10, s8
	s_mov_b32 s11, s8
	v_mov_b64_e32 v[0:1], s[8:9]
	v_cndmask_b32_e64 v5, 0, 1, s[18:19]
	v_mov_b32_e32 v24, 0
	s_mul_hi_u32 s4, s6, s6
	s_mul_i32 s27, s6, s6
	v_or_b32_e32 v28, 64, v27
	v_mov_b32_e32 v15, v9
	v_lshl_add_u32 v16, s6, 2, v14
	v_mov_b32_e32 v17, v9
	s_and_b64 s[22:23], vcc, s[2:3]
	s_ashr_i32 s29, s6, 31
	s_mov_b64 s[24:25], 0
	v_mov_b64_e32 v[2:3], s[10:11]
	v_mov_b32_e32 v30, 1
	v_cmp_ne_u32_e64 s[0:1], 1, v5
	v_lshlrev_b32_e32 v8, 4, v6
	v_mov_b32_e32 v5, 0
	s_branch .LBB147_11
.LBB147_8:                              ;   in Loop: Header=BB147_11 Depth=1
	v_mov_b32_e32 v33, s30
.LBB147_9:                              ;   in Loop: Header=BB147_11 Depth=1
	s_or_b64 exec, exec, s[8:9]
.LBB147_10:                             ;   in Loop: Header=BB147_11 Depth=1
	s_or_b64 exec, exec, s[2:3]
	v_mov_b32_dpp v5, v32 row_shr:1 row_mask:0xf bank_mask:0xf
	v_min_i32_e32 v5, v5, v32
	v_add_u32_e32 v4, v33, v4
	s_waitcnt lgkmcnt(0)
	v_mov_b32_dpp v18, v5 row_shr:2 row_mask:0xf bank_mask:0xf
	v_min_i32_e32 v5, v18, v5
	s_nop 1
	v_mov_b32_dpp v18, v5 row_shr:4 row_mask:0xf bank_mask:0xe
	v_min_i32_e32 v5, v18, v5
	s_nop 1
	;; [unrolled: 3-line block ×3, first 2 shown]
	v_mov_b32_dpp v18, v5 row_bcast:15 row_mask:0xa bank_mask:0xf
	v_min_i32_e32 v5, v18, v5
	ds_bpermute_b32 v5, v26, v5
	s_waitcnt lgkmcnt(0)
	v_cmp_le_i32_e32 vcc, s5, v5
	s_or_b64 s[24:25], vcc, s[24:25]
	s_andn2_b64 exec, exec, s[24:25]
	s_cbranch_execz .LBB147_30
.LBB147_11:                             ; =>This Loop Header: Depth=1
                                        ;     Child Loop BB147_14 Depth 2
	v_add_u32_e32 v18, v31, v6
	v_cmp_lt_i32_e32 vcc, v18, v23
	v_mov_b32_e32 v32, s5
	v_mov_b32_e32 v21, v23
	ds_write_b8 v22, v24 offset:8192
	ds_write_b128 v27, v[0:3]
	ds_write_b128 v27, v[0:3] offset:64
	s_waitcnt lgkmcnt(0)
	s_and_saveexec_b64 s[8:9], vcc
	s_cbranch_execz .LBB147_19
; %bb.12:                               ;   in Loop: Header=BB147_11 Depth=1
	v_mul_lo_u32 v20, v5, s6
	s_mov_b64 s[10:11], 0
	v_mov_b32_e32 v32, s5
	v_mov_b32_e32 v21, v23
	s_branch .LBB147_14
.LBB147_13:                             ;   in Loop: Header=BB147_14 Depth=2
	s_or_b64 exec, exec, s[2:3]
	v_add_u32_e32 v18, 4, v18
	v_cmp_ge_i32_e64 s[2:3], v18, v23
	s_xor_b64 s[30:31], vcc, -1
	s_or_b64 s[2:3], s[30:31], s[2:3]
	s_and_b64 s[2:3], exec, s[2:3]
	s_or_b64 s[10:11], s[2:3], s[10:11]
	s_andn2_b64 exec, exec, s[10:11]
	s_cbranch_execz .LBB147_18
.LBB147_14:                             ;   Parent Loop BB147_11 Depth=1
                                        ; =>  This Inner Loop Header: Depth=2
	v_ashrrev_i32_e32 v19, 31, v18
	v_lshl_add_u64 v[34:35], v[18:19], 2, s[16:17]
	global_load_dword v31, v[34:35], off
	s_waitcnt vmcnt(0)
	v_subrev_u32_e32 v31, s7, v31
	v_sub_u32_e32 v34, 0, v31
	v_max_i32_e32 v34, v31, v34
	v_mul_hi_u32 v35, v34, v29
	v_mul_lo_u32 v36, v35, s28
	v_sub_u32_e32 v34, v34, v36
	v_add_u32_e32 v37, 1, v35
	v_cmp_le_u32_e32 vcc, s28, v34
	v_subrev_u32_e32 v36, s28, v34
	v_ashrrev_i32_e32 v33, 31, v31
	v_cndmask_b32_e32 v35, v35, v37, vcc
	v_cndmask_b32_e32 v34, v34, v36, vcc
	v_add_u32_e32 v36, 1, v35
	v_cmp_le_u32_e32 vcc, s28, v34
	v_xor_b32_e32 v33, s29, v33
	s_nop 0
	v_cndmask_b32_e32 v34, v35, v36, vcc
	v_xor_b32_e32 v34, v34, v33
	v_sub_u32_e32 v34, v34, v33
	v_cmp_eq_u32_e32 vcc, v34, v5
	v_cmp_ne_u32_e64 s[2:3], v34, v5
	v_mov_b32_e32 v33, v21
	s_and_saveexec_b64 s[30:31], s[2:3]
	s_xor_b64 s[2:3], exec, s[30:31]
; %bb.15:                               ;   in Loop: Header=BB147_14 Depth=2
	v_min_i32_e32 v32, v34, v32
                                        ; implicit-def: $vgpr31
                                        ; implicit-def: $vgpr33
; %bb.16:                               ;   in Loop: Header=BB147_14 Depth=2
	s_or_saveexec_b64 s[2:3], s[2:3]
	v_mov_b32_e32 v21, v18
	s_xor_b64 exec, exec, s[2:3]
	s_cbranch_execz .LBB147_13
; %bb.17:                               ;   in Loop: Header=BB147_14 Depth=2
	v_lshl_add_u64 v[34:35], v[18:19], 4, s[12:13]
	global_load_dwordx4 v[34:37], v[34:35], off
	v_sub_u32_e32 v19, v31, v20
	v_add_lshl_u32 v19, v7, v19, 4
	v_mov_b32_e32 v21, v33
	ds_write_b8 v22, v30 offset:8192
	s_waitcnt vmcnt(0)
	ds_write2_b64 v19, v[34:35], v[36:37] offset1:1
	s_branch .LBB147_13
.LBB147_18:                             ;   in Loop: Header=BB147_11 Depth=1
	s_or_b64 exec, exec, s[10:11]
.LBB147_19:                             ;   in Loop: Header=BB147_11 Depth=1
	s_or_b64 exec, exec, s[8:9]
	v_mov_b32_dpp v18, v21 row_shr:1 row_mask:0xf bank_mask:0xf
	v_min_i32_e32 v18, v18, v21
	s_waitcnt lgkmcnt(0)
	ds_read_u8 v19, v22 offset:8192
	v_mov_b32_dpp v20, v18 row_shr:2 row_mask:0xf bank_mask:0xf
	v_min_i32_e32 v18, v20, v18
	ds_bpermute_b32 v31, v25, v18
	v_mov_b32_e32 v33, 0
	s_waitcnt lgkmcnt(1)
	v_and_b32_e32 v18, 1, v19
	v_cmp_eq_u32_e32 vcc, 1, v18
	s_and_saveexec_b64 s[2:3], vcc
	s_cbranch_execz .LBB147_10
; %bb.20:                               ;   in Loop: Header=BB147_11 Depth=1
	v_add_u32_e32 v20, s26, v5
	v_ashrrev_i32_e32 v5, 31, v4
	v_lshl_add_u64 v[18:19], v[4:5], 2, s[14:15]
	global_store_dword v[18:19], v20, off
	v_mul_lo_u32 v20, s4, v4
	v_mul_lo_u32 v5, s27, v5
	v_mad_u64_u32 v[18:19], s[8:9], s27, v4, 0
	v_add3_u32 v19, v19, v5, v20
	v_lshlrev_b64 v[18:19], 4, v[18:19]
	v_lshl_add_u64 v[20:21], v[10:11], 0, v[18:19]
	v_lshl_add_u64 v[18:19], v[12:13], 0, v[18:19]
	s_and_saveexec_b64 s[8:9], s[20:21]
	s_cbranch_execz .LBB147_24
; %bb.21:                               ;   in Loop: Header=BB147_11 Depth=1
	s_and_b64 vcc, exec, s[18:19]
	s_cbranch_vccz .LBB147_27
; %bb.22:                               ;   in Loop: Header=BB147_11 Depth=1
	ds_read2_b64 v[34:37], v27 offset1:1
	v_lshl_add_u64 v[38:39], v[14:15], 4, v[20:21]
	s_waitcnt lgkmcnt(0)
	global_store_dwordx4 v[38:39], v[34:37], off
	s_cbranch_execnz .LBB147_24
.LBB147_23:                             ;   in Loop: Header=BB147_11 Depth=1
	ds_read2_b64 v[34:37], v27 offset1:1
	v_lshl_add_u64 v[38:39], v[18:19], 0, v[8:9]
	s_waitcnt lgkmcnt(0)
	global_store_dwordx4 v[38:39], v[34:37], off
.LBB147_24:                             ;   in Loop: Header=BB147_11 Depth=1
	s_or_b64 exec, exec, s[8:9]
	v_mov_b32_e32 v33, 1
	s_and_saveexec_b64 s[8:9], s[22:23]
	s_cbranch_execz .LBB147_9
; %bb.25:                               ;   in Loop: Header=BB147_11 Depth=1
	s_and_b64 vcc, exec, s[0:1]
	s_cbranch_vccnz .LBB147_28
; %bb.26:                               ;   in Loop: Header=BB147_11 Depth=1
	ds_read2_b64 v[34:37], v28 offset1:1
	v_lshl_add_u64 v[20:21], v[16:17], 4, v[20:21]
	s_mov_b32 s30, 1
	s_waitcnt lgkmcnt(0)
	global_store_dwordx4 v[20:21], v[34:37], off
	s_cbranch_execnz .LBB147_8
	s_branch .LBB147_29
.LBB147_27:                             ;   in Loop: Header=BB147_11 Depth=1
	s_branch .LBB147_23
.LBB147_28:                             ;   in Loop: Header=BB147_11 Depth=1
                                        ; implicit-def: $sgpr30
.LBB147_29:                             ;   in Loop: Header=BB147_11 Depth=1
	ds_read2_b64 v[34:37], v28 offset1:1
	v_lshl_add_u64 v[18:19], v[18:19], 0, v[8:9]
	s_mov_b32 s30, 1
	s_waitcnt lgkmcnt(0)
	global_store_dwordx4 v[18:19], v[34:37], off offset:64
	s_branch .LBB147_8
.LBB147_30:
	s_endpgm
	.section	.rodata,"a",@progbits
	.p2align	6, 0x0
	.amdhsa_kernel _ZN9rocsparseL42csr2bsr_wavefront_per_row_multipass_kernelILj256ELj32ELj8E21rocsparse_complex_numIdEiiEEv20rocsparse_direction_T4_S4_S4_S4_S4_21rocsparse_index_base_PKT2_PKT3_PKS4_S5_PS6_PS9_PS4_
		.amdhsa_group_segment_fixed_size 8200
		.amdhsa_private_segment_fixed_size 0
		.amdhsa_kernarg_size 88
		.amdhsa_user_sgpr_count 2
		.amdhsa_user_sgpr_dispatch_ptr 0
		.amdhsa_user_sgpr_queue_ptr 0
		.amdhsa_user_sgpr_kernarg_segment_ptr 1
		.amdhsa_user_sgpr_dispatch_id 0
		.amdhsa_user_sgpr_kernarg_preload_length 0
		.amdhsa_user_sgpr_kernarg_preload_offset 0
		.amdhsa_user_sgpr_private_segment_size 0
		.amdhsa_uses_dynamic_stack 0
		.amdhsa_enable_private_segment 0
		.amdhsa_system_sgpr_workgroup_id_x 1
		.amdhsa_system_sgpr_workgroup_id_y 0
		.amdhsa_system_sgpr_workgroup_id_z 0
		.amdhsa_system_sgpr_workgroup_info 0
		.amdhsa_system_vgpr_workitem_id 0
		.amdhsa_next_free_vgpr 40
		.amdhsa_next_free_sgpr 32
		.amdhsa_accum_offset 40
		.amdhsa_reserve_vcc 1
		.amdhsa_float_round_mode_32 0
		.amdhsa_float_round_mode_16_64 0
		.amdhsa_float_denorm_mode_32 3
		.amdhsa_float_denorm_mode_16_64 3
		.amdhsa_dx10_clamp 1
		.amdhsa_ieee_mode 1
		.amdhsa_fp16_overflow 0
		.amdhsa_tg_split 0
		.amdhsa_exception_fp_ieee_invalid_op 0
		.amdhsa_exception_fp_denorm_src 0
		.amdhsa_exception_fp_ieee_div_zero 0
		.amdhsa_exception_fp_ieee_overflow 0
		.amdhsa_exception_fp_ieee_underflow 0
		.amdhsa_exception_fp_ieee_inexact 0
		.amdhsa_exception_int_div_zero 0
	.end_amdhsa_kernel
	.section	.text._ZN9rocsparseL42csr2bsr_wavefront_per_row_multipass_kernelILj256ELj32ELj8E21rocsparse_complex_numIdEiiEEv20rocsparse_direction_T4_S4_S4_S4_S4_21rocsparse_index_base_PKT2_PKT3_PKS4_S5_PS6_PS9_PS4_,"axG",@progbits,_ZN9rocsparseL42csr2bsr_wavefront_per_row_multipass_kernelILj256ELj32ELj8E21rocsparse_complex_numIdEiiEEv20rocsparse_direction_T4_S4_S4_S4_S4_21rocsparse_index_base_PKT2_PKT3_PKS4_S5_PS6_PS9_PS4_,comdat
.Lfunc_end147:
	.size	_ZN9rocsparseL42csr2bsr_wavefront_per_row_multipass_kernelILj256ELj32ELj8E21rocsparse_complex_numIdEiiEEv20rocsparse_direction_T4_S4_S4_S4_S4_21rocsparse_index_base_PKT2_PKT3_PKS4_S5_PS6_PS9_PS4_, .Lfunc_end147-_ZN9rocsparseL42csr2bsr_wavefront_per_row_multipass_kernelILj256ELj32ELj8E21rocsparse_complex_numIdEiiEEv20rocsparse_direction_T4_S4_S4_S4_S4_21rocsparse_index_base_PKT2_PKT3_PKS4_S5_PS6_PS9_PS4_
                                        ; -- End function
	.section	.AMDGPU.csdata,"",@progbits
; Kernel info:
; codeLenInByte = 1336
; NumSgprs: 38
; NumVgprs: 40
; NumAgprs: 0
; TotalNumVgprs: 40
; ScratchSize: 0
; MemoryBound: 0
; FloatMode: 240
; IeeeMode: 1
; LDSByteSize: 8200 bytes/workgroup (compile time only)
; SGPRBlocks: 4
; VGPRBlocks: 4
; NumSGPRsForWavesPerEU: 38
; NumVGPRsForWavesPerEU: 40
; AccumOffset: 40
; Occupancy: 7
; WaveLimiterHint : 0
; COMPUTE_PGM_RSRC2:SCRATCH_EN: 0
; COMPUTE_PGM_RSRC2:USER_SGPR: 2
; COMPUTE_PGM_RSRC2:TRAP_HANDLER: 0
; COMPUTE_PGM_RSRC2:TGID_X_EN: 1
; COMPUTE_PGM_RSRC2:TGID_Y_EN: 0
; COMPUTE_PGM_RSRC2:TGID_Z_EN: 0
; COMPUTE_PGM_RSRC2:TIDIG_COMP_CNT: 0
; COMPUTE_PGM_RSRC3_GFX90A:ACCUM_OFFSET: 9
; COMPUTE_PGM_RSRC3_GFX90A:TG_SPLIT: 0
	.section	.text._ZN9rocsparseL42csr2bsr_wavefront_per_row_multipass_kernelILj256ELj64ELj16E21rocsparse_complex_numIdEiiEEv20rocsparse_direction_T4_S4_S4_S4_S4_21rocsparse_index_base_PKT2_PKT3_PKS4_S5_PS6_PS9_PS4_,"axG",@progbits,_ZN9rocsparseL42csr2bsr_wavefront_per_row_multipass_kernelILj256ELj64ELj16E21rocsparse_complex_numIdEiiEEv20rocsparse_direction_T4_S4_S4_S4_S4_21rocsparse_index_base_PKT2_PKT3_PKS4_S5_PS6_PS9_PS4_,comdat
	.globl	_ZN9rocsparseL42csr2bsr_wavefront_per_row_multipass_kernelILj256ELj64ELj16E21rocsparse_complex_numIdEiiEEv20rocsparse_direction_T4_S4_S4_S4_S4_21rocsparse_index_base_PKT2_PKT3_PKS4_S5_PS6_PS9_PS4_ ; -- Begin function _ZN9rocsparseL42csr2bsr_wavefront_per_row_multipass_kernelILj256ELj64ELj16E21rocsparse_complex_numIdEiiEEv20rocsparse_direction_T4_S4_S4_S4_S4_21rocsparse_index_base_PKT2_PKT3_PKS4_S5_PS6_PS9_PS4_
	.p2align	8
	.type	_ZN9rocsparseL42csr2bsr_wavefront_per_row_multipass_kernelILj256ELj64ELj16E21rocsparse_complex_numIdEiiEEv20rocsparse_direction_T4_S4_S4_S4_S4_21rocsparse_index_base_PKT2_PKT3_PKS4_S5_PS6_PS9_PS4_,@function
_ZN9rocsparseL42csr2bsr_wavefront_per_row_multipass_kernelILj256ELj64ELj16E21rocsparse_complex_numIdEiiEEv20rocsparse_direction_T4_S4_S4_S4_S4_21rocsparse_index_base_PKT2_PKT3_PKS4_S5_PS6_PS9_PS4_: ; @_ZN9rocsparseL42csr2bsr_wavefront_per_row_multipass_kernelILj256ELj64ELj16E21rocsparse_complex_numIdEiiEEv20rocsparse_direction_T4_S4_S4_S4_S4_21rocsparse_index_base_PKT2_PKT3_PKS4_S5_PS6_PS9_PS4_
; %bb.0:
	s_load_dwordx2 s[4:5], s[0:1], 0x0
	s_load_dwordx4 s[8:11], s[0:1], 0xc
	s_load_dwordx2 s[6:7], s[0:1], 0x28
	v_lshrrev_b32_e32 v26, 6, v0
	v_bfe_u32 v2, v0, 2, 4
	v_lshl_or_b32 v6, s2, 2, v26
	s_waitcnt lgkmcnt(0)
	v_mad_u64_u32 v[4:5], s[2:3], v6, s10, v[2:3]
	v_cmp_gt_i32_e64 s[2:3], s5, v4
	v_cmp_gt_i32_e32 vcc, s10, v2
	s_and_b64 s[2:3], vcc, s[2:3]
	v_mov_b32_e32 v27, 0
	v_mov_b32_e32 v36, 0
	s_and_saveexec_b64 s[12:13], s[2:3]
	s_cbranch_execz .LBB148_2
; %bb.1:
	v_ashrrev_i32_e32 v5, 31, v4
	v_lshl_add_u64 v[8:9], v[4:5], 2, s[6:7]
	global_load_dword v1, v[8:9], off
	s_waitcnt vmcnt(0)
	v_subrev_u32_e32 v36, s11, v1
.LBB148_2:
	s_or_b64 exec, exec, s[12:13]
	s_and_saveexec_b64 s[12:13], s[2:3]
	s_cbranch_execz .LBB148_4
; %bb.3:
	v_ashrrev_i32_e32 v5, 31, v4
	v_lshl_add_u64 v[4:5], v[4:5], 2, s[6:7]
	global_load_dword v1, v[4:5], off offset:4
	s_waitcnt vmcnt(0)
	v_subrev_u32_e32 v27, s11, v1
.LBB148_4:
	s_or_b64 exec, exec, s[12:13]
	s_load_dword s30, s[0:1], 0x38
	v_cmp_gt_i32_e64 s[2:3], s8, v6
	v_mov_b32_e32 v4, 0
	s_and_saveexec_b64 s[6:7], s[2:3]
	s_cbranch_execz .LBB148_6
; %bb.5:
	s_load_dwordx2 s[2:3], s[0:1], 0x48
	v_ashrrev_i32_e32 v7, 31, v6
	s_waitcnt lgkmcnt(0)
	v_lshl_add_u64 v[4:5], v[6:7], 2, s[2:3]
	global_load_dword v1, v[4:5], off
	s_waitcnt vmcnt(0)
	v_subrev_u32_e32 v4, s30, v1
.LBB148_6:
	s_or_b64 exec, exec, s[6:7]
	s_cmp_lt_i32 s9, 1
	s_cbranch_scc1 .LBB148_40
; %bb.7:
	s_load_dwordx2 s[16:17], s[0:1], 0x20
	s_load_dwordx2 s[18:19], s[0:1], 0x50
	;; [unrolled: 1-line block ×4, first 2 shown]
	v_and_b32_e32 v6, 3, v0
	v_mbcnt_lo_u32_b32 v0, -1, 0
	v_lshlrev_b32_e32 v8, 4, v2
	v_mbcnt_hi_u32_b32 v0, -1, v0
	s_cmp_lg_u32 s4, 0
	v_lshl_or_b32 v7, v26, 8, v8
	v_lshlrev_b32_e32 v0, 2, v0
	s_cselect_b64 s[22:23], -1, 0
	s_abs_i32 s33, s10
	v_or_b32_e32 v29, 12, v0
	v_mov_b32_e32 v9, 0
	v_or_b32_e32 v30, 0xfc, v0
	v_or_b32_e32 v0, v7, v6
	v_cvt_f32_u32_e32 v1, s33
	s_waitcnt lgkmcnt(0)
	v_lshl_add_u64 v[10:11], s[2:3], 0, v[8:9]
	v_mul_lo_u32 v8, v2, s10
	v_lshlrev_b32_e32 v31, 4, v0
	v_or_b32_e32 v0, 4, v6
	v_lshl_add_u64 v[12:13], v[8:9], 4, s[2:3]
	v_cmp_gt_u32_e64 s[2:3], s10, v0
	v_or_b32_e32 v0, 8, v6
	v_cmp_gt_u32_e64 s[4:5], s10, v0
	v_or_b32_e32 v0, 12, v6
	v_cmp_gt_u32_e64 s[6:7], s10, v0
	v_rcp_iflag_f32_e32 v0, v1
	v_cmp_gt_u32_e64 s[0:1], s10, v6
	v_mul_lo_u32 v14, v6, s10
	s_lshl_b32 s13, s10, 2
	v_mul_f32_e32 v0, 0x4f7ffffe, v0
	v_cvt_u32_f32_e32 v0, v0
	v_add_u32_e32 v16, s13, v14
	s_and_b64 s[24:25], s[0:1], vcc
	s_sub_i32 s0, 0, s33
	s_mov_b32 s12, 0
	v_add_u32_e32 v18, s13, v16
	v_mul_lo_u32 v1, s0, v0
	v_add_u32_e32 v20, s13, v18
	v_mul_hi_u32 v1, v0, v1
	s_mov_b32 s13, s12
	v_add_u32_e32 v35, v0, v1
	s_mov_b32 s14, s12
	s_mov_b32 s15, s12
	v_mov_b64_e32 v[0:1], s[12:13]
	v_cndmask_b32_e64 v5, 0, 1, s[22:23]
	v_mov_b32_e32 v28, 0
	s_mul_hi_u32 s8, s10, s10
	s_mul_i32 s31, s10, s10
	v_or_b32_e32 v32, 64, v31
	v_or_b32_e32 v33, 0x80, v31
	v_or_b32_e32 v34, 0xc0, v31
	v_mov_b32_e32 v15, v9
	v_mov_b32_e32 v17, v9
	;; [unrolled: 1-line block ×4, first 2 shown]
	s_and_b64 s[26:27], vcc, s[2:3]
	s_and_b64 s[4:5], vcc, s[4:5]
	;; [unrolled: 1-line block ×3, first 2 shown]
	s_ashr_i32 s34, s10, 31
	s_mov_b64 s[28:29], 0
	v_mov_b64_e32 v[2:3], s[14:15]
	v_cmp_ne_u32_e64 s[0:1], 1, v5
	v_mov_b32_e32 v37, 1
	v_lshlrev_b32_e32 v8, 4, v6
	v_mov_b32_e32 v5, 0
	s_branch .LBB148_11
.LBB148_8:                              ;   in Loop: Header=BB148_11 Depth=1
	v_mov_b32_e32 v39, s35
.LBB148_9:                              ;   in Loop: Header=BB148_11 Depth=1
	s_or_b64 exec, exec, s[12:13]
.LBB148_10:                             ;   in Loop: Header=BB148_11 Depth=1
	s_or_b64 exec, exec, s[2:3]
	v_mov_b32_dpp v5, v38 row_shr:1 row_mask:0xf bank_mask:0xf
	v_min_i32_e32 v5, v5, v38
	v_add_u32_e32 v4, v39, v4
	s_waitcnt lgkmcnt(0)
	v_mov_b32_dpp v22, v5 row_shr:2 row_mask:0xf bank_mask:0xf
	v_min_i32_e32 v5, v22, v5
	s_nop 1
	v_mov_b32_dpp v22, v5 row_shr:4 row_mask:0xf bank_mask:0xe
	v_min_i32_e32 v5, v22, v5
	s_nop 1
	;; [unrolled: 3-line block ×3, first 2 shown]
	v_mov_b32_dpp v22, v5 row_bcast:15 row_mask:0xa bank_mask:0xf
	v_min_i32_e32 v5, v22, v5
	s_nop 1
	v_mov_b32_dpp v22, v5 row_bcast:31 row_mask:0xc bank_mask:0xf
	v_min_i32_e32 v5, v22, v5
	ds_bpermute_b32 v5, v30, v5
	s_waitcnt lgkmcnt(0)
	v_cmp_le_i32_e32 vcc, s9, v5
	s_or_b64 s[28:29], vcc, s[28:29]
	s_andn2_b64 exec, exec, s[28:29]
	s_cbranch_execz .LBB148_40
.LBB148_11:                             ; =>This Loop Header: Depth=1
                                        ;     Child Loop BB148_14 Depth 2
	v_add_u32_e32 v22, v36, v6
	v_cmp_lt_i32_e32 vcc, v22, v27
	v_mov_b32_e32 v38, s9
	v_mov_b32_e32 v25, v27
	ds_write_b8 v26, v28 offset:16384
	ds_write_b128 v31, v[0:3]
	ds_write_b128 v31, v[0:3] offset:64
	ds_write_b128 v31, v[0:3] offset:128
	;; [unrolled: 1-line block ×3, first 2 shown]
	s_waitcnt lgkmcnt(0)
	s_and_saveexec_b64 s[12:13], vcc
	s_cbranch_execz .LBB148_19
; %bb.12:                               ;   in Loop: Header=BB148_11 Depth=1
	v_mul_lo_u32 v24, v5, s10
	s_mov_b64 s[14:15], 0
	v_mov_b32_e32 v38, s9
	v_mov_b32_e32 v25, v27
	s_branch .LBB148_14
.LBB148_13:                             ;   in Loop: Header=BB148_14 Depth=2
	s_or_b64 exec, exec, s[2:3]
	v_add_u32_e32 v22, 4, v22
	v_cmp_ge_i32_e64 s[2:3], v22, v27
	s_xor_b64 s[36:37], vcc, -1
	s_or_b64 s[2:3], s[36:37], s[2:3]
	s_and_b64 s[2:3], exec, s[2:3]
	s_or_b64 s[14:15], s[2:3], s[14:15]
	s_andn2_b64 exec, exec, s[14:15]
	s_cbranch_execz .LBB148_18
.LBB148_14:                             ;   Parent Loop BB148_11 Depth=1
                                        ; =>  This Inner Loop Header: Depth=2
	v_ashrrev_i32_e32 v23, 31, v22
	v_lshl_add_u64 v[40:41], v[22:23], 2, s[20:21]
	global_load_dword v36, v[40:41], off
	s_waitcnt vmcnt(0)
	v_subrev_u32_e32 v36, s11, v36
	v_sub_u32_e32 v40, 0, v36
	v_max_i32_e32 v40, v36, v40
	v_mul_hi_u32 v41, v40, v35
	v_mul_lo_u32 v42, v41, s33
	v_sub_u32_e32 v40, v40, v42
	v_add_u32_e32 v43, 1, v41
	v_cmp_le_u32_e32 vcc, s33, v40
	v_subrev_u32_e32 v42, s33, v40
	v_ashrrev_i32_e32 v39, 31, v36
	v_cndmask_b32_e32 v41, v41, v43, vcc
	v_cndmask_b32_e32 v40, v40, v42, vcc
	v_add_u32_e32 v42, 1, v41
	v_cmp_le_u32_e32 vcc, s33, v40
	v_xor_b32_e32 v39, s34, v39
	s_nop 0
	v_cndmask_b32_e32 v40, v41, v42, vcc
	v_xor_b32_e32 v40, v40, v39
	v_sub_u32_e32 v40, v40, v39
	v_cmp_eq_u32_e32 vcc, v40, v5
	v_cmp_ne_u32_e64 s[2:3], v40, v5
	v_mov_b32_e32 v39, v25
	s_and_saveexec_b64 s[36:37], s[2:3]
	s_xor_b64 s[2:3], exec, s[36:37]
; %bb.15:                               ;   in Loop: Header=BB148_14 Depth=2
	v_min_i32_e32 v38, v40, v38
                                        ; implicit-def: $vgpr36
                                        ; implicit-def: $vgpr39
; %bb.16:                               ;   in Loop: Header=BB148_14 Depth=2
	s_or_saveexec_b64 s[2:3], s[2:3]
	v_mov_b32_e32 v25, v22
	s_xor_b64 exec, exec, s[2:3]
	s_cbranch_execz .LBB148_13
; %bb.17:                               ;   in Loop: Header=BB148_14 Depth=2
	v_lshl_add_u64 v[40:41], v[22:23], 4, s[16:17]
	global_load_dwordx4 v[40:43], v[40:41], off
	v_sub_u32_e32 v23, v36, v24
	v_add_lshl_u32 v23, v7, v23, 4
	v_mov_b32_e32 v25, v39
	ds_write_b8 v26, v37 offset:16384
	s_waitcnt vmcnt(0)
	ds_write2_b64 v23, v[40:41], v[42:43] offset1:1
	s_branch .LBB148_13
.LBB148_18:                             ;   in Loop: Header=BB148_11 Depth=1
	s_or_b64 exec, exec, s[14:15]
.LBB148_19:                             ;   in Loop: Header=BB148_11 Depth=1
	s_or_b64 exec, exec, s[12:13]
	v_mov_b32_dpp v22, v25 row_shr:1 row_mask:0xf bank_mask:0xf
	v_min_i32_e32 v22, v22, v25
	s_waitcnt lgkmcnt(0)
	ds_read_u8 v23, v26 offset:16384
	v_mov_b32_dpp v24, v22 row_shr:2 row_mask:0xf bank_mask:0xf
	v_min_i32_e32 v22, v24, v22
	ds_bpermute_b32 v36, v29, v22
	v_mov_b32_e32 v39, 0
	s_waitcnt lgkmcnt(1)
	v_and_b32_e32 v22, 1, v23
	v_cmp_eq_u32_e32 vcc, 1, v22
	s_and_saveexec_b64 s[2:3], vcc
	s_cbranch_execz .LBB148_10
; %bb.20:                               ;   in Loop: Header=BB148_11 Depth=1
	v_add_u32_e32 v24, s30, v5
	v_ashrrev_i32_e32 v5, 31, v4
	v_lshl_add_u64 v[22:23], v[4:5], 2, s[18:19]
	global_store_dword v[22:23], v24, off
	v_mul_lo_u32 v24, s8, v4
	v_mul_lo_u32 v5, s31, v5
	v_mad_u64_u32 v[22:23], s[12:13], s31, v4, 0
	v_add3_u32 v23, v23, v5, v24
	v_lshlrev_b64 v[22:23], 4, v[22:23]
	v_lshl_add_u64 v[24:25], v[10:11], 0, v[22:23]
	v_lshl_add_u64 v[22:23], v[12:13], 0, v[22:23]
	s_and_saveexec_b64 s[12:13], s[24:25]
	s_cbranch_execz .LBB148_24
; %bb.21:                               ;   in Loop: Header=BB148_11 Depth=1
	s_and_b64 vcc, exec, s[22:23]
	s_cbranch_vccz .LBB148_35
; %bb.22:                               ;   in Loop: Header=BB148_11 Depth=1
	ds_read2_b64 v[40:43], v31 offset1:1
	v_lshl_add_u64 v[44:45], v[14:15], 4, v[24:25]
	s_waitcnt lgkmcnt(0)
	global_store_dwordx4 v[44:45], v[40:43], off
	s_cbranch_execnz .LBB148_24
.LBB148_23:                             ;   in Loop: Header=BB148_11 Depth=1
	ds_read2_b64 v[40:43], v31 offset1:1
	v_lshl_add_u64 v[44:45], v[22:23], 0, v[8:9]
	s_waitcnt lgkmcnt(0)
	global_store_dwordx4 v[44:45], v[40:43], off
.LBB148_24:                             ;   in Loop: Header=BB148_11 Depth=1
	s_or_b64 exec, exec, s[12:13]
	s_and_saveexec_b64 s[12:13], s[26:27]
	s_cbranch_execz .LBB148_28
; %bb.25:                               ;   in Loop: Header=BB148_11 Depth=1
	s_and_b64 vcc, exec, s[0:1]
	s_cbranch_vccnz .LBB148_36
; %bb.26:                               ;   in Loop: Header=BB148_11 Depth=1
	ds_read2_b64 v[40:43], v32 offset1:1
	v_lshl_add_u64 v[44:45], v[16:17], 4, v[24:25]
	s_waitcnt lgkmcnt(0)
	global_store_dwordx4 v[44:45], v[40:43], off
	s_cbranch_execnz .LBB148_28
.LBB148_27:                             ;   in Loop: Header=BB148_11 Depth=1
	ds_read2_b64 v[40:43], v32 offset1:1
	v_lshl_add_u64 v[44:45], v[22:23], 0, v[8:9]
	s_waitcnt lgkmcnt(0)
	global_store_dwordx4 v[44:45], v[40:43], off offset:64
.LBB148_28:                             ;   in Loop: Header=BB148_11 Depth=1
	s_or_b64 exec, exec, s[12:13]
	s_and_saveexec_b64 s[12:13], s[4:5]
	s_cbranch_execz .LBB148_32
; %bb.29:                               ;   in Loop: Header=BB148_11 Depth=1
	s_and_b64 vcc, exec, s[0:1]
	s_cbranch_vccnz .LBB148_37
; %bb.30:                               ;   in Loop: Header=BB148_11 Depth=1
	ds_read2_b64 v[40:43], v33 offset1:1
	v_lshl_add_u64 v[44:45], v[18:19], 4, v[24:25]
	s_waitcnt lgkmcnt(0)
	global_store_dwordx4 v[44:45], v[40:43], off
	s_cbranch_execnz .LBB148_32
.LBB148_31:                             ;   in Loop: Header=BB148_11 Depth=1
	ds_read2_b64 v[40:43], v33 offset1:1
	v_lshl_add_u64 v[44:45], v[22:23], 0, v[8:9]
	s_waitcnt lgkmcnt(0)
	global_store_dwordx4 v[44:45], v[40:43], off offset:128
.LBB148_32:                             ;   in Loop: Header=BB148_11 Depth=1
	s_or_b64 exec, exec, s[12:13]
	v_mov_b32_e32 v39, 1
	s_and_saveexec_b64 s[12:13], s[6:7]
	s_cbranch_execz .LBB148_9
; %bb.33:                               ;   in Loop: Header=BB148_11 Depth=1
	s_and_b64 vcc, exec, s[0:1]
	s_cbranch_vccnz .LBB148_38
; %bb.34:                               ;   in Loop: Header=BB148_11 Depth=1
	ds_read2_b64 v[40:43], v34 offset1:1
	v_lshl_add_u64 v[24:25], v[20:21], 4, v[24:25]
	s_mov_b32 s35, 1
	s_waitcnt lgkmcnt(0)
	global_store_dwordx4 v[24:25], v[40:43], off
	s_cbranch_execnz .LBB148_8
	s_branch .LBB148_39
.LBB148_35:                             ;   in Loop: Header=BB148_11 Depth=1
	s_branch .LBB148_23
.LBB148_36:                             ;   in Loop: Header=BB148_11 Depth=1
	s_branch .LBB148_27
.LBB148_37:                             ;   in Loop: Header=BB148_11 Depth=1
	s_branch .LBB148_31
.LBB148_38:                             ;   in Loop: Header=BB148_11 Depth=1
                                        ; implicit-def: $sgpr35
.LBB148_39:                             ;   in Loop: Header=BB148_11 Depth=1
	ds_read2_b64 v[40:43], v34 offset1:1
	v_lshl_add_u64 v[22:23], v[22:23], 0, v[8:9]
	s_mov_b32 s35, 1
	s_waitcnt lgkmcnt(0)
	global_store_dwordx4 v[22:23], v[40:43], off offset:192
	s_branch .LBB148_8
.LBB148_40:
	s_endpgm
	.section	.rodata,"a",@progbits
	.p2align	6, 0x0
	.amdhsa_kernel _ZN9rocsparseL42csr2bsr_wavefront_per_row_multipass_kernelILj256ELj64ELj16E21rocsparse_complex_numIdEiiEEv20rocsparse_direction_T4_S4_S4_S4_S4_21rocsparse_index_base_PKT2_PKT3_PKS4_S5_PS6_PS9_PS4_
		.amdhsa_group_segment_fixed_size 16392
		.amdhsa_private_segment_fixed_size 0
		.amdhsa_kernarg_size 88
		.amdhsa_user_sgpr_count 2
		.amdhsa_user_sgpr_dispatch_ptr 0
		.amdhsa_user_sgpr_queue_ptr 0
		.amdhsa_user_sgpr_kernarg_segment_ptr 1
		.amdhsa_user_sgpr_dispatch_id 0
		.amdhsa_user_sgpr_kernarg_preload_length 0
		.amdhsa_user_sgpr_kernarg_preload_offset 0
		.amdhsa_user_sgpr_private_segment_size 0
		.amdhsa_uses_dynamic_stack 0
		.amdhsa_enable_private_segment 0
		.amdhsa_system_sgpr_workgroup_id_x 1
		.amdhsa_system_sgpr_workgroup_id_y 0
		.amdhsa_system_sgpr_workgroup_id_z 0
		.amdhsa_system_sgpr_workgroup_info 0
		.amdhsa_system_vgpr_workitem_id 0
		.amdhsa_next_free_vgpr 46
		.amdhsa_next_free_sgpr 38
		.amdhsa_accum_offset 48
		.amdhsa_reserve_vcc 1
		.amdhsa_float_round_mode_32 0
		.amdhsa_float_round_mode_16_64 0
		.amdhsa_float_denorm_mode_32 3
		.amdhsa_float_denorm_mode_16_64 3
		.amdhsa_dx10_clamp 1
		.amdhsa_ieee_mode 1
		.amdhsa_fp16_overflow 0
		.amdhsa_tg_split 0
		.amdhsa_exception_fp_ieee_invalid_op 0
		.amdhsa_exception_fp_denorm_src 0
		.amdhsa_exception_fp_ieee_div_zero 0
		.amdhsa_exception_fp_ieee_overflow 0
		.amdhsa_exception_fp_ieee_underflow 0
		.amdhsa_exception_fp_ieee_inexact 0
		.amdhsa_exception_int_div_zero 0
	.end_amdhsa_kernel
	.section	.text._ZN9rocsparseL42csr2bsr_wavefront_per_row_multipass_kernelILj256ELj64ELj16E21rocsparse_complex_numIdEiiEEv20rocsparse_direction_T4_S4_S4_S4_S4_21rocsparse_index_base_PKT2_PKT3_PKS4_S5_PS6_PS9_PS4_,"axG",@progbits,_ZN9rocsparseL42csr2bsr_wavefront_per_row_multipass_kernelILj256ELj64ELj16E21rocsparse_complex_numIdEiiEEv20rocsparse_direction_T4_S4_S4_S4_S4_21rocsparse_index_base_PKT2_PKT3_PKS4_S5_PS6_PS9_PS4_,comdat
.Lfunc_end148:
	.size	_ZN9rocsparseL42csr2bsr_wavefront_per_row_multipass_kernelILj256ELj64ELj16E21rocsparse_complex_numIdEiiEEv20rocsparse_direction_T4_S4_S4_S4_S4_21rocsparse_index_base_PKT2_PKT3_PKS4_S5_PS6_PS9_PS4_, .Lfunc_end148-_ZN9rocsparseL42csr2bsr_wavefront_per_row_multipass_kernelILj256ELj64ELj16E21rocsparse_complex_numIdEiiEEv20rocsparse_direction_T4_S4_S4_S4_S4_21rocsparse_index_base_PKT2_PKT3_PKS4_S5_PS6_PS9_PS4_
                                        ; -- End function
	.section	.AMDGPU.csdata,"",@progbits
; Kernel info:
; codeLenInByte = 1596
; NumSgprs: 44
; NumVgprs: 46
; NumAgprs: 0
; TotalNumVgprs: 46
; ScratchSize: 0
; MemoryBound: 0
; FloatMode: 240
; IeeeMode: 1
; LDSByteSize: 16392 bytes/workgroup (compile time only)
; SGPRBlocks: 5
; VGPRBlocks: 5
; NumSGPRsForWavesPerEU: 44
; NumVGPRsForWavesPerEU: 46
; AccumOffset: 48
; Occupancy: 3
; WaveLimiterHint : 0
; COMPUTE_PGM_RSRC2:SCRATCH_EN: 0
; COMPUTE_PGM_RSRC2:USER_SGPR: 2
; COMPUTE_PGM_RSRC2:TRAP_HANDLER: 0
; COMPUTE_PGM_RSRC2:TGID_X_EN: 1
; COMPUTE_PGM_RSRC2:TGID_Y_EN: 0
; COMPUTE_PGM_RSRC2:TGID_Z_EN: 0
; COMPUTE_PGM_RSRC2:TIDIG_COMP_CNT: 0
; COMPUTE_PGM_RSRC3_GFX90A:ACCUM_OFFSET: 11
; COMPUTE_PGM_RSRC3_GFX90A:TG_SPLIT: 0
	.section	.text._ZN9rocsparseL42csr2bsr_wavefront_per_row_multipass_kernelILj256ELj32ELj16E21rocsparse_complex_numIdEiiEEv20rocsparse_direction_T4_S4_S4_S4_S4_21rocsparse_index_base_PKT2_PKT3_PKS4_S5_PS6_PS9_PS4_,"axG",@progbits,_ZN9rocsparseL42csr2bsr_wavefront_per_row_multipass_kernelILj256ELj32ELj16E21rocsparse_complex_numIdEiiEEv20rocsparse_direction_T4_S4_S4_S4_S4_21rocsparse_index_base_PKT2_PKT3_PKS4_S5_PS6_PS9_PS4_,comdat
	.globl	_ZN9rocsparseL42csr2bsr_wavefront_per_row_multipass_kernelILj256ELj32ELj16E21rocsparse_complex_numIdEiiEEv20rocsparse_direction_T4_S4_S4_S4_S4_21rocsparse_index_base_PKT2_PKT3_PKS4_S5_PS6_PS9_PS4_ ; -- Begin function _ZN9rocsparseL42csr2bsr_wavefront_per_row_multipass_kernelILj256ELj32ELj16E21rocsparse_complex_numIdEiiEEv20rocsparse_direction_T4_S4_S4_S4_S4_21rocsparse_index_base_PKT2_PKT3_PKS4_S5_PS6_PS9_PS4_
	.p2align	8
	.type	_ZN9rocsparseL42csr2bsr_wavefront_per_row_multipass_kernelILj256ELj32ELj16E21rocsparse_complex_numIdEiiEEv20rocsparse_direction_T4_S4_S4_S4_S4_21rocsparse_index_base_PKT2_PKT3_PKS4_S5_PS6_PS9_PS4_,@function
_ZN9rocsparseL42csr2bsr_wavefront_per_row_multipass_kernelILj256ELj32ELj16E21rocsparse_complex_numIdEiiEEv20rocsparse_direction_T4_S4_S4_S4_S4_21rocsparse_index_base_PKT2_PKT3_PKS4_S5_PS6_PS9_PS4_: ; @_ZN9rocsparseL42csr2bsr_wavefront_per_row_multipass_kernelILj256ELj32ELj16E21rocsparse_complex_numIdEiiEEv20rocsparse_direction_T4_S4_S4_S4_S4_21rocsparse_index_base_PKT2_PKT3_PKS4_S5_PS6_PS9_PS4_
; %bb.0:
	s_load_dwordx2 s[4:5], s[0:1], 0x0
	s_load_dwordx4 s[16:19], s[0:1], 0xc
	s_load_dwordx2 s[6:7], s[0:1], 0x28
	v_lshrrev_b32_e32 v34, 5, v0
	v_bfe_u32 v2, v0, 1, 4
	v_lshl_or_b32 v6, s2, 3, v34
	s_waitcnt lgkmcnt(0)
	v_mad_u64_u32 v[4:5], s[2:3], v6, s18, v[2:3]
	v_cmp_gt_i32_e64 s[2:3], s5, v4
	v_cmp_gt_i32_e32 vcc, s18, v2
	s_and_b64 s[2:3], vcc, s[2:3]
	v_mov_b32_e32 v35, 0
	v_mov_b32_e32 v47, 0
	s_and_saveexec_b64 s[8:9], s[2:3]
	s_cbranch_execz .LBB149_2
; %bb.1:
	v_ashrrev_i32_e32 v5, 31, v4
	v_lshl_add_u64 v[8:9], v[4:5], 2, s[6:7]
	global_load_dword v1, v[8:9], off
	s_waitcnt vmcnt(0)
	v_subrev_u32_e32 v47, s19, v1
.LBB149_2:
	s_or_b64 exec, exec, s[8:9]
	s_and_saveexec_b64 s[8:9], s[2:3]
	s_cbranch_execz .LBB149_4
; %bb.3:
	v_ashrrev_i32_e32 v5, 31, v4
	v_lshl_add_u64 v[4:5], v[4:5], 2, s[6:7]
	global_load_dword v1, v[4:5], off offset:4
	s_waitcnt vmcnt(0)
	v_subrev_u32_e32 v35, s19, v1
.LBB149_4:
	s_or_b64 exec, exec, s[8:9]
	s_load_dword s33, s[0:1], 0x38
	v_cmp_gt_i32_e64 s[2:3], s16, v6
	v_mov_b32_e32 v4, 0
	s_and_saveexec_b64 s[6:7], s[2:3]
	s_cbranch_execz .LBB149_6
; %bb.5:
	s_load_dwordx2 s[2:3], s[0:1], 0x48
	v_ashrrev_i32_e32 v7, 31, v6
	s_waitcnt lgkmcnt(0)
	v_lshl_add_u64 v[4:5], v[6:7], 2, s[2:3]
	global_load_dword v1, v[4:5], off
	s_waitcnt vmcnt(0)
	v_subrev_u32_e32 v4, s33, v1
.LBB149_6:
	s_or_b64 exec, exec, s[6:7]
	s_cmp_lt_i32 s17, 1
	s_cbranch_scc1 .LBB149_60
; %bb.7:
	s_load_dwordx2 s[24:25], s[0:1], 0x20
	s_load_dwordx2 s[26:27], s[0:1], 0x50
	;; [unrolled: 1-line block ×4, first 2 shown]
	v_and_b32_e32 v6, 1, v0
	v_mbcnt_lo_u32_b32 v0, -1, 0
	v_lshlrev_b32_e32 v8, 4, v2
	v_mbcnt_hi_u32_b32 v0, -1, v0
	v_lshl_or_b32 v7, v34, 8, v8
	v_lshlrev_b32_e32 v0, 2, v0
	v_or_b32_e32 v37, 4, v0
	v_mov_b32_e32 v9, 0
	v_or_b32_e32 v38, 0x7c, v0
	v_or_b32_e32 v0, v7, v6
	s_waitcnt lgkmcnt(0)
	v_lshl_add_u64 v[10:11], s[2:3], 0, v[8:9]
	v_mul_lo_u32 v8, v2, s18
	v_lshlrev_b32_e32 v39, 4, v0
	v_or_b32_e32 v0, 2, v6
	v_lshl_add_u64 v[12:13], v[8:9], 4, s[2:3]
	v_cmp_gt_u32_e64 s[2:3], s18, v0
	v_or_b32_e32 v0, 4, v6
	s_cmp_lg_u32 s4, 0
	v_cmp_gt_u32_e64 s[4:5], s18, v0
	v_or_b32_e32 v0, 6, v6
	v_cmp_gt_u32_e64 s[6:7], s18, v0
	v_or_b32_e32 v0, 8, v6
	;; [unrolled: 2-line block ×4, first 2 shown]
	s_cselect_b64 s[30:31], -1, 0
	v_cmp_gt_u32_e64 s[12:13], s18, v0
	v_or_b32_e32 v0, 14, v6
	s_abs_i32 s41, s18
	v_cmp_gt_u32_e64 s[14:15], s18, v0
	v_cvt_f32_u32_e32 v0, s41
	v_mul_lo_u32 v14, v6, s18
	s_lshl_b32 s21, s18, 1
	v_add_u32_e32 v16, s21, v14
	v_rcp_iflag_f32_e32 v0, v0
	v_add_u32_e32 v18, s21, v16
	v_add_u32_e32 v20, s21, v18
	v_cmp_gt_u32_e64 s[0:1], s18, v6
	v_mul_f32_e32 v0, 0x4f7ffffe, v0
	v_cvt_u32_f32_e32 v0, v0
	v_add_u32_e32 v22, s21, v20
	v_add_u32_e32 v24, s21, v22
	s_and_b64 s[34:35], s[0:1], vcc
	s_sub_i32 s0, 0, s41
	s_mov_b32 s20, 0
	v_add_u32_e32 v26, s21, v24
	v_mul_lo_u32 v1, s0, v0
	v_add_u32_e32 v28, s21, v26
	v_mul_hi_u32 v1, v0, v1
	s_mov_b32 s21, s20
	v_add_u32_e32 v48, v0, v1
	s_mov_b32 s22, s20
	s_mov_b32 s23, s20
	v_mov_b64_e32 v[0:1], s[20:21]
	v_cndmask_b32_e64 v5, 0, 1, s[30:31]
	v_mov_b32_e32 v36, 0
	s_mul_hi_u32 s16, s18, s18
	s_mul_i32 s40, s18, s18
	v_or_b32_e32 v40, 32, v39
	v_or_b32_e32 v41, 64, v39
	;; [unrolled: 1-line block ×7, first 2 shown]
	v_mov_b32_e32 v15, v9
	v_mov_b32_e32 v17, v9
	;; [unrolled: 1-line block ×8, first 2 shown]
	s_and_b64 s[36:37], vcc, s[2:3]
	s_and_b64 s[4:5], vcc, s[4:5]
	;; [unrolled: 1-line block ×7, first 2 shown]
	s_ashr_i32 s42, s18, 31
	s_mov_b64 s[38:39], 0
	v_mov_b64_e32 v[2:3], s[22:23]
	v_cmp_ne_u32_e64 s[0:1], 1, v5
	v_mov_b32_e32 v49, 1
	v_lshlrev_b32_e32 v8, 4, v6
	v_mov_b32_e32 v5, 0
	s_branch .LBB149_11
.LBB149_8:                              ;   in Loop: Header=BB149_11 Depth=1
	v_mov_b32_e32 v51, s43
.LBB149_9:                              ;   in Loop: Header=BB149_11 Depth=1
	s_or_b64 exec, exec, s[20:21]
.LBB149_10:                             ;   in Loop: Header=BB149_11 Depth=1
	s_or_b64 exec, exec, s[2:3]
	v_mov_b32_dpp v5, v50 row_shr:1 row_mask:0xf bank_mask:0xf
	v_min_i32_e32 v5, v5, v50
	v_add_u32_e32 v4, v51, v4
	s_waitcnt lgkmcnt(0)
	v_mov_b32_dpp v30, v5 row_shr:2 row_mask:0xf bank_mask:0xf
	v_min_i32_e32 v5, v30, v5
	s_nop 1
	v_mov_b32_dpp v30, v5 row_shr:4 row_mask:0xf bank_mask:0xe
	v_min_i32_e32 v5, v30, v5
	s_nop 1
	;; [unrolled: 3-line block ×3, first 2 shown]
	v_mov_b32_dpp v30, v5 row_bcast:15 row_mask:0xa bank_mask:0xf
	v_min_i32_e32 v5, v30, v5
	ds_bpermute_b32 v5, v38, v5
	s_waitcnt lgkmcnt(0)
	v_cmp_le_i32_e32 vcc, s17, v5
	s_or_b64 s[38:39], vcc, s[38:39]
	s_andn2_b64 exec, exec, s[38:39]
	s_cbranch_execz .LBB149_60
.LBB149_11:                             ; =>This Loop Header: Depth=1
                                        ;     Child Loop BB149_14 Depth 2
	v_add_u32_e32 v30, v47, v6
	v_cmp_lt_i32_e32 vcc, v30, v35
	v_mov_b32_e32 v50, s17
	v_mov_b32_e32 v33, v35
	ds_write_b8 v34, v36 offset:32768
	ds_write_b128 v39, v[0:3]
	ds_write_b128 v39, v[0:3] offset:32
	ds_write_b128 v39, v[0:3] offset:64
	;; [unrolled: 1-line block ×7, first 2 shown]
	s_waitcnt lgkmcnt(0)
	s_and_saveexec_b64 s[20:21], vcc
	s_cbranch_execz .LBB149_19
; %bb.12:                               ;   in Loop: Header=BB149_11 Depth=1
	v_mul_lo_u32 v32, v5, s18
	s_mov_b64 s[22:23], 0
	v_mov_b32_e32 v50, s17
	v_mov_b32_e32 v33, v35
	s_branch .LBB149_14
.LBB149_13:                             ;   in Loop: Header=BB149_14 Depth=2
	s_or_b64 exec, exec, s[2:3]
	v_add_u32_e32 v30, 2, v30
	v_cmp_ge_i32_e64 s[2:3], v30, v35
	s_xor_b64 s[44:45], vcc, -1
	s_or_b64 s[2:3], s[44:45], s[2:3]
	s_and_b64 s[2:3], exec, s[2:3]
	s_or_b64 s[22:23], s[2:3], s[22:23]
	s_andn2_b64 exec, exec, s[22:23]
	s_cbranch_execz .LBB149_18
.LBB149_14:                             ;   Parent Loop BB149_11 Depth=1
                                        ; =>  This Inner Loop Header: Depth=2
	v_ashrrev_i32_e32 v31, 31, v30
	v_lshl_add_u64 v[52:53], v[30:31], 2, s[28:29]
	global_load_dword v47, v[52:53], off
	s_waitcnt vmcnt(0)
	v_subrev_u32_e32 v47, s19, v47
	v_sub_u32_e32 v52, 0, v47
	v_max_i32_e32 v52, v47, v52
	v_mul_hi_u32 v53, v52, v48
	v_mul_lo_u32 v54, v53, s41
	v_sub_u32_e32 v52, v52, v54
	v_add_u32_e32 v55, 1, v53
	v_cmp_le_u32_e32 vcc, s41, v52
	v_subrev_u32_e32 v54, s41, v52
	v_ashrrev_i32_e32 v51, 31, v47
	v_cndmask_b32_e32 v53, v53, v55, vcc
	v_cndmask_b32_e32 v52, v52, v54, vcc
	v_add_u32_e32 v54, 1, v53
	v_cmp_le_u32_e32 vcc, s41, v52
	v_xor_b32_e32 v51, s42, v51
	s_nop 0
	v_cndmask_b32_e32 v52, v53, v54, vcc
	v_xor_b32_e32 v52, v52, v51
	v_sub_u32_e32 v52, v52, v51
	v_cmp_eq_u32_e32 vcc, v52, v5
	v_cmp_ne_u32_e64 s[2:3], v52, v5
	v_mov_b32_e32 v51, v33
	s_and_saveexec_b64 s[44:45], s[2:3]
	s_xor_b64 s[2:3], exec, s[44:45]
; %bb.15:                               ;   in Loop: Header=BB149_14 Depth=2
	v_min_i32_e32 v50, v52, v50
                                        ; implicit-def: $vgpr47
                                        ; implicit-def: $vgpr51
; %bb.16:                               ;   in Loop: Header=BB149_14 Depth=2
	s_or_saveexec_b64 s[2:3], s[2:3]
	v_mov_b32_e32 v33, v30
	s_xor_b64 exec, exec, s[2:3]
	s_cbranch_execz .LBB149_13
; %bb.17:                               ;   in Loop: Header=BB149_14 Depth=2
	v_lshl_add_u64 v[52:53], v[30:31], 4, s[24:25]
	global_load_dwordx4 v[52:55], v[52:53], off
	v_sub_u32_e32 v31, v47, v32
	v_add_lshl_u32 v31, v7, v31, 4
	v_mov_b32_e32 v33, v51
	ds_write_b8 v34, v49 offset:32768
	s_waitcnt vmcnt(0)
	ds_write2_b64 v31, v[52:53], v[54:55] offset1:1
	s_branch .LBB149_13
.LBB149_18:                             ;   in Loop: Header=BB149_11 Depth=1
	s_or_b64 exec, exec, s[22:23]
.LBB149_19:                             ;   in Loop: Header=BB149_11 Depth=1
	s_or_b64 exec, exec, s[20:21]
	s_waitcnt lgkmcnt(0)
	ds_read_u8 v30, v34 offset:32768
	v_mov_b32_dpp v31, v33 row_shr:1 row_mask:0xf bank_mask:0xf
	v_min_i32_e32 v31, v31, v33
	ds_bpermute_b32 v47, v37, v31
	v_mov_b32_e32 v51, 0
	s_waitcnt lgkmcnt(1)
	v_and_b32_e32 v30, 1, v30
	v_cmp_eq_u32_e32 vcc, 1, v30
	s_and_saveexec_b64 s[2:3], vcc
	s_cbranch_execz .LBB149_10
; %bb.20:                               ;   in Loop: Header=BB149_11 Depth=1
	v_add_u32_e32 v32, s33, v5
	v_ashrrev_i32_e32 v5, 31, v4
	v_lshl_add_u64 v[30:31], v[4:5], 2, s[26:27]
	global_store_dword v[30:31], v32, off
	v_mul_lo_u32 v32, s16, v4
	v_mul_lo_u32 v5, s40, v5
	v_mad_u64_u32 v[30:31], s[20:21], s40, v4, 0
	v_add3_u32 v31, v31, v5, v32
	v_lshlrev_b64 v[30:31], 4, v[30:31]
	v_lshl_add_u64 v[32:33], v[10:11], 0, v[30:31]
	v_lshl_add_u64 v[30:31], v[12:13], 0, v[30:31]
	s_and_saveexec_b64 s[20:21], s[34:35]
	s_cbranch_execz .LBB149_24
; %bb.21:                               ;   in Loop: Header=BB149_11 Depth=1
	s_and_b64 vcc, exec, s[30:31]
	s_cbranch_vccz .LBB149_51
; %bb.22:                               ;   in Loop: Header=BB149_11 Depth=1
	ds_read2_b64 v[52:55], v39 offset1:1
	v_lshl_add_u64 v[56:57], v[14:15], 4, v[32:33]
	s_waitcnt lgkmcnt(0)
	global_store_dwordx4 v[56:57], v[52:55], off
	s_cbranch_execnz .LBB149_24
.LBB149_23:                             ;   in Loop: Header=BB149_11 Depth=1
	ds_read2_b64 v[52:55], v39 offset1:1
	v_lshl_add_u64 v[56:57], v[30:31], 0, v[8:9]
	s_waitcnt lgkmcnt(0)
	global_store_dwordx4 v[56:57], v[52:55], off
.LBB149_24:                             ;   in Loop: Header=BB149_11 Depth=1
	s_or_b64 exec, exec, s[20:21]
	s_and_saveexec_b64 s[20:21], s[36:37]
	s_cbranch_execz .LBB149_28
; %bb.25:                               ;   in Loop: Header=BB149_11 Depth=1
	s_and_b64 vcc, exec, s[0:1]
	s_cbranch_vccnz .LBB149_52
; %bb.26:                               ;   in Loop: Header=BB149_11 Depth=1
	ds_read2_b64 v[52:55], v40 offset1:1
	v_lshl_add_u64 v[56:57], v[16:17], 4, v[32:33]
	s_waitcnt lgkmcnt(0)
	global_store_dwordx4 v[56:57], v[52:55], off
	s_cbranch_execnz .LBB149_28
.LBB149_27:                             ;   in Loop: Header=BB149_11 Depth=1
	ds_read2_b64 v[52:55], v40 offset1:1
	v_lshl_add_u64 v[56:57], v[30:31], 0, v[8:9]
	s_waitcnt lgkmcnt(0)
	global_store_dwordx4 v[56:57], v[52:55], off offset:32
.LBB149_28:                             ;   in Loop: Header=BB149_11 Depth=1
	s_or_b64 exec, exec, s[20:21]
	s_and_saveexec_b64 s[20:21], s[4:5]
	s_cbranch_execz .LBB149_32
; %bb.29:                               ;   in Loop: Header=BB149_11 Depth=1
	s_and_b64 vcc, exec, s[0:1]
	s_cbranch_vccnz .LBB149_53
; %bb.30:                               ;   in Loop: Header=BB149_11 Depth=1
	ds_read2_b64 v[52:55], v41 offset1:1
	v_lshl_add_u64 v[56:57], v[18:19], 4, v[32:33]
	s_waitcnt lgkmcnt(0)
	global_store_dwordx4 v[56:57], v[52:55], off
	s_cbranch_execnz .LBB149_32
.LBB149_31:                             ;   in Loop: Header=BB149_11 Depth=1
	ds_read2_b64 v[52:55], v41 offset1:1
	v_lshl_add_u64 v[56:57], v[30:31], 0, v[8:9]
	s_waitcnt lgkmcnt(0)
	global_store_dwordx4 v[56:57], v[52:55], off offset:64
.LBB149_32:                             ;   in Loop: Header=BB149_11 Depth=1
	s_or_b64 exec, exec, s[20:21]
	s_and_saveexec_b64 s[20:21], s[6:7]
	s_cbranch_execz .LBB149_36
; %bb.33:                               ;   in Loop: Header=BB149_11 Depth=1
	s_and_b64 vcc, exec, s[0:1]
	s_cbranch_vccnz .LBB149_54
; %bb.34:                               ;   in Loop: Header=BB149_11 Depth=1
	ds_read2_b64 v[52:55], v42 offset1:1
	v_lshl_add_u64 v[56:57], v[20:21], 4, v[32:33]
	s_waitcnt lgkmcnt(0)
	global_store_dwordx4 v[56:57], v[52:55], off
	s_cbranch_execnz .LBB149_36
.LBB149_35:                             ;   in Loop: Header=BB149_11 Depth=1
	ds_read2_b64 v[52:55], v42 offset1:1
	v_lshl_add_u64 v[56:57], v[30:31], 0, v[8:9]
	s_waitcnt lgkmcnt(0)
	global_store_dwordx4 v[56:57], v[52:55], off offset:96
.LBB149_36:                             ;   in Loop: Header=BB149_11 Depth=1
	s_or_b64 exec, exec, s[20:21]
	s_and_saveexec_b64 s[20:21], s[8:9]
	s_cbranch_execz .LBB149_40
; %bb.37:                               ;   in Loop: Header=BB149_11 Depth=1
	s_and_b64 vcc, exec, s[0:1]
	s_cbranch_vccnz .LBB149_55
; %bb.38:                               ;   in Loop: Header=BB149_11 Depth=1
	ds_read2_b64 v[52:55], v43 offset1:1
	v_lshl_add_u64 v[56:57], v[22:23], 4, v[32:33]
	s_waitcnt lgkmcnt(0)
	global_store_dwordx4 v[56:57], v[52:55], off
	s_cbranch_execnz .LBB149_40
.LBB149_39:                             ;   in Loop: Header=BB149_11 Depth=1
	ds_read2_b64 v[52:55], v43 offset1:1
	v_lshl_add_u64 v[56:57], v[30:31], 0, v[8:9]
	s_waitcnt lgkmcnt(0)
	global_store_dwordx4 v[56:57], v[52:55], off offset:128
.LBB149_40:                             ;   in Loop: Header=BB149_11 Depth=1
	s_or_b64 exec, exec, s[20:21]
	s_and_saveexec_b64 s[20:21], s[10:11]
	s_cbranch_execz .LBB149_44
; %bb.41:                               ;   in Loop: Header=BB149_11 Depth=1
	s_and_b64 vcc, exec, s[0:1]
	s_cbranch_vccnz .LBB149_56
; %bb.42:                               ;   in Loop: Header=BB149_11 Depth=1
	ds_read2_b64 v[52:55], v44 offset1:1
	v_lshl_add_u64 v[56:57], v[24:25], 4, v[32:33]
	s_waitcnt lgkmcnt(0)
	global_store_dwordx4 v[56:57], v[52:55], off
	s_cbranch_execnz .LBB149_44
.LBB149_43:                             ;   in Loop: Header=BB149_11 Depth=1
	ds_read2_b64 v[52:55], v44 offset1:1
	v_lshl_add_u64 v[56:57], v[30:31], 0, v[8:9]
	s_waitcnt lgkmcnt(0)
	global_store_dwordx4 v[56:57], v[52:55], off offset:160
.LBB149_44:                             ;   in Loop: Header=BB149_11 Depth=1
	s_or_b64 exec, exec, s[20:21]
	s_and_saveexec_b64 s[20:21], s[12:13]
	s_cbranch_execz .LBB149_48
; %bb.45:                               ;   in Loop: Header=BB149_11 Depth=1
	s_and_b64 vcc, exec, s[0:1]
	s_cbranch_vccnz .LBB149_57
; %bb.46:                               ;   in Loop: Header=BB149_11 Depth=1
	ds_read2_b64 v[52:55], v45 offset1:1
	v_lshl_add_u64 v[56:57], v[26:27], 4, v[32:33]
	s_waitcnt lgkmcnt(0)
	global_store_dwordx4 v[56:57], v[52:55], off
	s_cbranch_execnz .LBB149_48
.LBB149_47:                             ;   in Loop: Header=BB149_11 Depth=1
	ds_read2_b64 v[52:55], v45 offset1:1
	v_lshl_add_u64 v[56:57], v[30:31], 0, v[8:9]
	s_waitcnt lgkmcnt(0)
	global_store_dwordx4 v[56:57], v[52:55], off offset:192
.LBB149_48:                             ;   in Loop: Header=BB149_11 Depth=1
	s_or_b64 exec, exec, s[20:21]
	v_mov_b32_e32 v51, 1
	s_and_saveexec_b64 s[20:21], s[14:15]
	s_cbranch_execz .LBB149_9
; %bb.49:                               ;   in Loop: Header=BB149_11 Depth=1
	s_and_b64 vcc, exec, s[0:1]
	s_cbranch_vccnz .LBB149_58
; %bb.50:                               ;   in Loop: Header=BB149_11 Depth=1
	ds_read2_b64 v[52:55], v46 offset1:1
	v_lshl_add_u64 v[32:33], v[28:29], 4, v[32:33]
	s_mov_b32 s43, 1
	s_waitcnt lgkmcnt(0)
	global_store_dwordx4 v[32:33], v[52:55], off
	s_cbranch_execnz .LBB149_8
	s_branch .LBB149_59
.LBB149_51:                             ;   in Loop: Header=BB149_11 Depth=1
	s_branch .LBB149_23
.LBB149_52:                             ;   in Loop: Header=BB149_11 Depth=1
	s_branch .LBB149_27
.LBB149_53:                             ;   in Loop: Header=BB149_11 Depth=1
	s_branch .LBB149_31
.LBB149_54:                             ;   in Loop: Header=BB149_11 Depth=1
	s_branch .LBB149_35
.LBB149_55:                             ;   in Loop: Header=BB149_11 Depth=1
	s_branch .LBB149_39
.LBB149_56:                             ;   in Loop: Header=BB149_11 Depth=1
	s_branch .LBB149_43
.LBB149_57:                             ;   in Loop: Header=BB149_11 Depth=1
	s_branch .LBB149_47
.LBB149_58:                             ;   in Loop: Header=BB149_11 Depth=1
                                        ; implicit-def: $sgpr43
.LBB149_59:                             ;   in Loop: Header=BB149_11 Depth=1
	ds_read2_b64 v[52:55], v46 offset1:1
	v_lshl_add_u64 v[30:31], v[30:31], 0, v[8:9]
	s_mov_b32 s43, 1
	s_waitcnt lgkmcnt(0)
	global_store_dwordx4 v[30:31], v[52:55], off offset:224
	s_branch .LBB149_8
.LBB149_60:
	s_endpgm
	.section	.rodata,"a",@progbits
	.p2align	6, 0x0
	.amdhsa_kernel _ZN9rocsparseL42csr2bsr_wavefront_per_row_multipass_kernelILj256ELj32ELj16E21rocsparse_complex_numIdEiiEEv20rocsparse_direction_T4_S4_S4_S4_S4_21rocsparse_index_base_PKT2_PKT3_PKS4_S5_PS6_PS9_PS4_
		.amdhsa_group_segment_fixed_size 32776
		.amdhsa_private_segment_fixed_size 0
		.amdhsa_kernarg_size 88
		.amdhsa_user_sgpr_count 2
		.amdhsa_user_sgpr_dispatch_ptr 0
		.amdhsa_user_sgpr_queue_ptr 0
		.amdhsa_user_sgpr_kernarg_segment_ptr 1
		.amdhsa_user_sgpr_dispatch_id 0
		.amdhsa_user_sgpr_kernarg_preload_length 0
		.amdhsa_user_sgpr_kernarg_preload_offset 0
		.amdhsa_user_sgpr_private_segment_size 0
		.amdhsa_uses_dynamic_stack 0
		.amdhsa_enable_private_segment 0
		.amdhsa_system_sgpr_workgroup_id_x 1
		.amdhsa_system_sgpr_workgroup_id_y 0
		.amdhsa_system_sgpr_workgroup_id_z 0
		.amdhsa_system_sgpr_workgroup_info 0
		.amdhsa_system_vgpr_workitem_id 0
		.amdhsa_next_free_vgpr 58
		.amdhsa_next_free_sgpr 46
		.amdhsa_accum_offset 60
		.amdhsa_reserve_vcc 1
		.amdhsa_float_round_mode_32 0
		.amdhsa_float_round_mode_16_64 0
		.amdhsa_float_denorm_mode_32 3
		.amdhsa_float_denorm_mode_16_64 3
		.amdhsa_dx10_clamp 1
		.amdhsa_ieee_mode 1
		.amdhsa_fp16_overflow 0
		.amdhsa_tg_split 0
		.amdhsa_exception_fp_ieee_invalid_op 0
		.amdhsa_exception_fp_denorm_src 0
		.amdhsa_exception_fp_ieee_div_zero 0
		.amdhsa_exception_fp_ieee_overflow 0
		.amdhsa_exception_fp_ieee_underflow 0
		.amdhsa_exception_fp_ieee_inexact 0
		.amdhsa_exception_int_div_zero 0
	.end_amdhsa_kernel
	.section	.text._ZN9rocsparseL42csr2bsr_wavefront_per_row_multipass_kernelILj256ELj32ELj16E21rocsparse_complex_numIdEiiEEv20rocsparse_direction_T4_S4_S4_S4_S4_21rocsparse_index_base_PKT2_PKT3_PKS4_S5_PS6_PS9_PS4_,"axG",@progbits,_ZN9rocsparseL42csr2bsr_wavefront_per_row_multipass_kernelILj256ELj32ELj16E21rocsparse_complex_numIdEiiEEv20rocsparse_direction_T4_S4_S4_S4_S4_21rocsparse_index_base_PKT2_PKT3_PKS4_S5_PS6_PS9_PS4_,comdat
.Lfunc_end149:
	.size	_ZN9rocsparseL42csr2bsr_wavefront_per_row_multipass_kernelILj256ELj32ELj16E21rocsparse_complex_numIdEiiEEv20rocsparse_direction_T4_S4_S4_S4_S4_21rocsparse_index_base_PKT2_PKT3_PKS4_S5_PS6_PS9_PS4_, .Lfunc_end149-_ZN9rocsparseL42csr2bsr_wavefront_per_row_multipass_kernelILj256ELj32ELj16E21rocsparse_complex_numIdEiiEEv20rocsparse_direction_T4_S4_S4_S4_S4_21rocsparse_index_base_PKT2_PKT3_PKS4_S5_PS6_PS9_PS4_
                                        ; -- End function
	.section	.AMDGPU.csdata,"",@progbits
; Kernel info:
; codeLenInByte = 2060
; NumSgprs: 52
; NumVgprs: 58
; NumAgprs: 0
; TotalNumVgprs: 58
; ScratchSize: 0
; MemoryBound: 0
; FloatMode: 240
; IeeeMode: 1
; LDSByteSize: 32776 bytes/workgroup (compile time only)
; SGPRBlocks: 6
; VGPRBlocks: 7
; NumSGPRsForWavesPerEU: 52
; NumVGPRsForWavesPerEU: 58
; AccumOffset: 60
; Occupancy: 1
; WaveLimiterHint : 0
; COMPUTE_PGM_RSRC2:SCRATCH_EN: 0
; COMPUTE_PGM_RSRC2:USER_SGPR: 2
; COMPUTE_PGM_RSRC2:TRAP_HANDLER: 0
; COMPUTE_PGM_RSRC2:TGID_X_EN: 1
; COMPUTE_PGM_RSRC2:TGID_Y_EN: 0
; COMPUTE_PGM_RSRC2:TGID_Z_EN: 0
; COMPUTE_PGM_RSRC2:TIDIG_COMP_CNT: 0
; COMPUTE_PGM_RSRC3_GFX90A:ACCUM_OFFSET: 14
; COMPUTE_PGM_RSRC3_GFX90A:TG_SPLIT: 0
	.section	.text._ZN9rocsparseL38csr2bsr_block_per_row_multipass_kernelILj256ELj32E21rocsparse_complex_numIdEiiEEv20rocsparse_direction_T3_S4_S4_S4_S4_21rocsparse_index_base_PKT1_PKT2_PKS4_S5_PS6_PS9_PS4_,"axG",@progbits,_ZN9rocsparseL38csr2bsr_block_per_row_multipass_kernelILj256ELj32E21rocsparse_complex_numIdEiiEEv20rocsparse_direction_T3_S4_S4_S4_S4_21rocsparse_index_base_PKT1_PKT2_PKS4_S5_PS6_PS9_PS4_,comdat
	.globl	_ZN9rocsparseL38csr2bsr_block_per_row_multipass_kernelILj256ELj32E21rocsparse_complex_numIdEiiEEv20rocsparse_direction_T3_S4_S4_S4_S4_21rocsparse_index_base_PKT1_PKT2_PKS4_S5_PS6_PS9_PS4_ ; -- Begin function _ZN9rocsparseL38csr2bsr_block_per_row_multipass_kernelILj256ELj32E21rocsparse_complex_numIdEiiEEv20rocsparse_direction_T3_S4_S4_S4_S4_21rocsparse_index_base_PKT1_PKT2_PKS4_S5_PS6_PS9_PS4_
	.p2align	8
	.type	_ZN9rocsparseL38csr2bsr_block_per_row_multipass_kernelILj256ELj32E21rocsparse_complex_numIdEiiEEv20rocsparse_direction_T3_S4_S4_S4_S4_21rocsparse_index_base_PKT1_PKT2_PKS4_S5_PS6_PS9_PS4_,@function
_ZN9rocsparseL38csr2bsr_block_per_row_multipass_kernelILj256ELj32E21rocsparse_complex_numIdEiiEEv20rocsparse_direction_T3_S4_S4_S4_S4_21rocsparse_index_base_PKT1_PKT2_PKS4_S5_PS6_PS9_PS4_: ; @_ZN9rocsparseL38csr2bsr_block_per_row_multipass_kernelILj256ELj32E21rocsparse_complex_numIdEiiEEv20rocsparse_direction_T3_S4_S4_S4_S4_21rocsparse_index_base_PKT1_PKT2_PKS4_S5_PS6_PS9_PS4_
; %bb.0:
	s_load_dwordx4 s[20:23], s[0:1], 0x10
	s_load_dwordx2 s[6:7], s[0:1], 0x0
	s_load_dwordx2 s[8:9], s[0:1], 0x28
	v_lshrrev_b32_e32 v1, 3, v0
	v_mov_b32_e32 v20, 0
	s_waitcnt lgkmcnt(0)
	s_mul_i32 s3, s2, s21
	v_add_u32_e32 v2, s3, v1
	v_cmp_gt_i32_e64 s[4:5], s7, v2
	v_cmp_gt_i32_e32 vcc, s21, v1
	s_and_b64 s[4:5], vcc, s[4:5]
	v_mov_b32_e32 v31, 0
	s_and_saveexec_b64 s[10:11], s[4:5]
	s_cbranch_execnz .LBB150_3
; %bb.1:
	s_or_b64 exec, exec, s[10:11]
	s_and_saveexec_b64 s[10:11], s[4:5]
	s_cbranch_execnz .LBB150_4
.LBB150_2:
	s_or_b64 exec, exec, s[10:11]
	s_cmp_lt_i32 s20, 1
	s_cbranch_scc0 .LBB150_5
	s_branch .LBB150_41
.LBB150_3:
	v_ashrrev_i32_e32 v3, 31, v2
	v_lshl_add_u64 v[4:5], v[2:3], 2, s[8:9]
	global_load_dword v3, v[4:5], off
	s_waitcnt vmcnt(0)
	v_subrev_u32_e32 v31, s22, v3
	s_or_b64 exec, exec, s[10:11]
	s_and_saveexec_b64 s[10:11], s[4:5]
	s_cbranch_execz .LBB150_2
.LBB150_4:
	v_ashrrev_i32_e32 v3, 31, v2
	v_lshl_add_u64 v[2:3], v[2:3], 2, s[8:9]
	global_load_dword v2, v[2:3], off offset:4
	s_waitcnt vmcnt(0)
	v_subrev_u32_e32 v20, s22, v2
	s_or_b64 exec, exec, s[10:11]
	s_cmp_lt_i32 s20, 1
	s_cbranch_scc1 .LBB150_41
.LBB150_5:
	s_load_dwordx4 s[8:11], s[0:1], 0x40
	s_load_dwordx2 s[28:29], s[0:1], 0x50
	s_load_dword s23, s[0:1], 0x38
	s_ashr_i32 s3, s2, 31
	s_lshl_b64 s[2:3], s[2:3], 2
	s_waitcnt lgkmcnt(0)
	s_add_u32 s2, s10, s2
	s_addc_u32 s3, s11, s3
	s_load_dword s4, s[2:3], 0x0
	s_load_dwordx2 s[30:31], s[0:1], 0x20
	s_load_dwordx2 s[34:35], s[0:1], 0x30
	v_mbcnt_lo_u32_b32 v2, -1, 0
	v_lshlrev_b32_e32 v4, 4, v1
	v_mov_b32_e32 v5, 0
	v_and_b32_e32 v21, 7, v0
	v_lshlrev_b32_e32 v22, 5, v1
	s_waitcnt lgkmcnt(0)
	s_sub_i32 s36, s4, s23
	v_mbcnt_hi_u32_b32 v2, -1, v2
	v_lshl_add_u64 v[6:7], s[8:9], 0, v[4:5]
	v_mul_lo_u32 v4, v1, s21
	s_movk_i32 s2, 0x80
	v_lshl_or_b32 v24, v2, 2, 28
	s_cmp_eq_u32 s6, 0
	v_lshl_add_u64 v[2:3], v[4:5], 4, s[8:9]
	v_lshlrev_b32_e32 v25, 2, v0
	v_cmp_gt_u32_e64 s[2:3], s2, v0
	v_cmp_gt_u32_e64 s[4:5], 64, v0
	;; [unrolled: 1-line block ×7, first 2 shown]
	v_cmp_eq_u32_e64 s[16:17], 0, v0
	v_or_b32_e32 v0, v22, v21
	v_lshlrev_b32_e32 v26, 4, v0
	v_cmp_gt_u32_e64 s[18:19], s21, v21
	v_or_b32_e32 v0, 8, v21
	s_cselect_b64 s[0:1], -1, 0
	s_and_b64 s[38:39], vcc, s[18:19]
	v_cmp_gt_u32_e64 s[18:19], s21, v0
	v_or_b32_e32 v0, 16, v21
	s_abs_i32 s53, s21
	s_and_b64 s[40:41], vcc, s[18:19]
	v_cmp_gt_u32_e64 s[18:19], s21, v0
	v_cvt_f32_u32_e32 v0, s53
	v_lshlrev_b32_e32 v4, 4, v21
	v_or_b32_e32 v1, 24, v21
	v_lshl_add_u64 v[8:9], v[2:3], 0, v[4:5]
	v_rcp_iflag_f32_e32 v0, v0
	v_mul_lo_u32 v4, v21, s21
	s_lshl_b32 s25, s21, 3
	s_and_b64 s[42:43], vcc, s[18:19]
	v_mul_f32_e32 v0, 0x4f7ffffe, v0
	v_cvt_u32_f32_e32 v0, v0
	v_cmp_gt_u32_e64 s[18:19], s21, v1
	v_add_u32_e32 v10, s25, v4
	s_and_b64 s[44:45], vcc, s[18:19]
	s_sub_i32 s18, 0, s53
	s_mov_b32 s24, 0
	v_add_u32_e32 v12, s25, v10
	v_mul_lo_u32 v1, s18, v0
	v_add_u32_e32 v14, s25, v12
	v_mul_hi_u32 v1, v0, v1
	s_mov_b32 s25, s24
	v_add_u32_e32 v30, v0, v1
	s_mov_b32 s26, s24
	s_mov_b32 s27, s24
	v_mov_b64_e32 v[0:1], s[24:25]
	v_mov_b32_e32 v23, 0
	s_mul_hi_u32 s33, s21, s21
	s_mul_i32 s52, s21, s21
	v_or_b32_e32 v27, 0x80, v26
	v_or_b32_e32 v28, 0x100, v26
	;; [unrolled: 1-line block ×3, first 2 shown]
	v_mov_b32_e32 v11, v5
	v_mov_b32_e32 v13, v5
	;; [unrolled: 1-line block ×3, first 2 shown]
	s_ashr_i32 s54, s21, 31
	v_mov_b64_e32 v[2:3], s[26:27]
	s_mov_b64 s[24:25], 0x80
	s_mov_b64 s[26:27], 0x100
	;; [unrolled: 1-line block ×3, first 2 shown]
	v_mov_b32_e32 v32, 1
	v_mov_b32_e32 v18, 0
	s_branch .LBB150_7
.LBB150_6:                              ;   in Loop: Header=BB150_7 Depth=1
	s_or_b64 exec, exec, s[18:19]
	s_waitcnt lgkmcnt(0)
	s_barrier
	ds_read_b32 v18, v5
	s_add_i32 s36, s37, s36
	s_waitcnt lgkmcnt(0)
	s_barrier
	v_cmp_gt_i32_e32 vcc, s20, v18
	s_cbranch_vccz .LBB150_41
.LBB150_7:                              ; =>This Loop Header: Depth=1
                                        ;     Child Loop BB150_10 Depth 2
	v_add_u32_e32 v16, v31, v21
	v_cmp_lt_i32_e32 vcc, v16, v20
	v_mov_b32_e32 v33, s20
	v_mov_b32_e32 v31, v20
	ds_write_b8 v5, v23 offset:16384
	ds_write_b128 v26, v[0:3]
	ds_write_b128 v26, v[0:3] offset:128
	ds_write_b128 v26, v[0:3] offset:256
	;; [unrolled: 1-line block ×3, first 2 shown]
	s_waitcnt lgkmcnt(0)
	s_barrier
	s_and_saveexec_b64 s[48:49], vcc
	s_cbranch_execz .LBB150_15
; %bb.8:                                ;   in Loop: Header=BB150_7 Depth=1
	v_mul_lo_u32 v19, v18, s21
	s_mov_b64 s[50:51], 0
	v_mov_b32_e32 v33, s20
	v_mov_b32_e32 v31, v20
	s_branch .LBB150_10
.LBB150_9:                              ;   in Loop: Header=BB150_10 Depth=2
	s_or_b64 exec, exec, s[18:19]
	v_add_u32_e32 v16, 8, v16
	v_cmp_ge_i32_e64 s[18:19], v16, v20
	s_xor_b64 s[56:57], vcc, -1
	s_or_b64 s[18:19], s[56:57], s[18:19]
	s_and_b64 s[18:19], exec, s[18:19]
	s_or_b64 s[50:51], s[18:19], s[50:51]
	s_andn2_b64 exec, exec, s[50:51]
	s_cbranch_execz .LBB150_14
.LBB150_10:                             ;   Parent Loop BB150_7 Depth=1
                                        ; =>  This Inner Loop Header: Depth=2
	v_ashrrev_i32_e32 v17, 31, v16
	v_lshl_add_u64 v[34:35], v[16:17], 2, s[34:35]
	global_load_dword v34, v[34:35], off
	s_waitcnt vmcnt(0)
	v_subrev_u32_e32 v34, s22, v34
	v_sub_u32_e32 v36, 0, v34
	v_max_i32_e32 v36, v34, v36
	v_mul_hi_u32 v37, v36, v30
	v_mul_lo_u32 v38, v37, s53
	v_sub_u32_e32 v36, v36, v38
	v_add_u32_e32 v39, 1, v37
	v_cmp_le_u32_e32 vcc, s53, v36
	v_subrev_u32_e32 v38, s53, v36
	v_ashrrev_i32_e32 v35, 31, v34
	v_cndmask_b32_e32 v37, v37, v39, vcc
	v_cndmask_b32_e32 v36, v36, v38, vcc
	v_add_u32_e32 v38, 1, v37
	v_cmp_le_u32_e32 vcc, s53, v36
	v_xor_b32_e32 v35, s54, v35
	s_nop 0
	v_cndmask_b32_e32 v36, v37, v38, vcc
	v_xor_b32_e32 v36, v36, v35
	v_sub_u32_e32 v36, v36, v35
	v_cmp_eq_u32_e32 vcc, v36, v18
	v_cmp_ne_u32_e64 s[18:19], v36, v18
	v_mov_b32_e32 v35, v31
	s_and_saveexec_b64 s[56:57], s[18:19]
	s_xor_b64 s[18:19], exec, s[56:57]
; %bb.11:                               ;   in Loop: Header=BB150_10 Depth=2
	v_min_i32_e32 v33, v36, v33
                                        ; implicit-def: $vgpr34
                                        ; implicit-def: $vgpr35
; %bb.12:                               ;   in Loop: Header=BB150_10 Depth=2
	s_or_saveexec_b64 s[18:19], s[18:19]
	v_mov_b32_e32 v31, v16
	s_xor_b64 exec, exec, s[18:19]
	s_cbranch_execz .LBB150_9
; %bb.13:                               ;   in Loop: Header=BB150_10 Depth=2
	v_lshl_add_u64 v[36:37], v[16:17], 4, s[30:31]
	global_load_dwordx4 v[36:39], v[36:37], off
	v_sub_u32_e32 v17, v34, v19
	v_add_lshl_u32 v17, v17, v22, 4
	v_mov_b32_e32 v31, v35
	ds_write_b8 v5, v32 offset:16384
	s_waitcnt vmcnt(0)
	ds_write2_b64 v17, v[36:37], v[38:39] offset1:1
	s_branch .LBB150_9
.LBB150_14:                             ;   in Loop: Header=BB150_7 Depth=1
	s_or_b64 exec, exec, s[50:51]
.LBB150_15:                             ;   in Loop: Header=BB150_7 Depth=1
	s_or_b64 exec, exec, s[48:49]
	v_mov_b32_dpp v16, v31 row_shr:1 row_mask:0xf bank_mask:0xf
	v_min_i32_e32 v16, v16, v31
	s_waitcnt lgkmcnt(0)
	s_barrier
	v_mov_b32_dpp v17, v16 row_shr:2 row_mask:0xf bank_mask:0xf
	v_min_i32_e32 v16, v17, v16
	ds_read_u8 v17, v5 offset:16384
	s_nop 0
	v_mov_b32_dpp v19, v16 row_shr:4 row_mask:0xf bank_mask:0xe
	v_min_i32_e32 v16, v19, v16
	ds_bpermute_b32 v31, v24, v16
	s_mov_b32 s37, 0
	s_waitcnt lgkmcnt(1)
	v_cmp_eq_u32_e32 vcc, 0, v17
	s_cbranch_vccnz .LBB150_22
; %bb.16:                               ;   in Loop: Header=BB150_7 Depth=1
	s_ashr_i32 s37, s36, 31
	s_lshl_b64 s[18:19], s[36:37], 2
	s_add_u32 s18, s28, s18
	v_add_u32_e32 v16, s23, v18
	s_addc_u32 s19, s29, s19
	global_store_dword v5, v16, s[18:19]
	s_mul_hi_u32 s18, s52, s36
	s_mul_i32 s19, s52, s37
	s_add_i32 s18, s18, s19
	s_mul_i32 s19, s33, s36
	s_add_i32 s19, s18, s19
	s_mul_i32 s18, s52, s36
	s_lshl_b64 s[18:19], s[18:19], 4
	v_lshl_add_u64 v[16:17], v[6:7], 0, s[18:19]
	v_lshl_add_u64 v[18:19], v[8:9], 0, s[18:19]
	s_and_saveexec_b64 s[18:19], s[38:39]
	s_cbranch_execnz .LBB150_38
; %bb.17:                               ;   in Loop: Header=BB150_7 Depth=1
	s_or_b64 exec, exec, s[18:19]
	s_and_saveexec_b64 s[18:19], s[40:41]
	s_cbranch_execnz .LBB150_39
.LBB150_18:                             ;   in Loop: Header=BB150_7 Depth=1
	s_or_b64 exec, exec, s[18:19]
	s_and_saveexec_b64 s[18:19], s[42:43]
	s_cbranch_execnz .LBB150_40
.LBB150_19:                             ;   in Loop: Header=BB150_7 Depth=1
	s_or_b64 exec, exec, s[18:19]
	s_and_saveexec_b64 s[18:19], s[44:45]
	s_cbranch_execz .LBB150_21
.LBB150_20:                             ;   in Loop: Header=BB150_7 Depth=1
	ds_read2_b64 v[34:37], v29 offset1:1
	v_lshl_add_u64 v[18:19], v[18:19], 0, s[46:47]
	v_lshl_add_u64 v[16:17], v[14:15], 4, v[16:17]
	v_cndmask_b32_e64 v17, v17, v19, s[0:1]
	v_cndmask_b32_e64 v16, v16, v18, s[0:1]
	s_waitcnt lgkmcnt(0)
	global_store_dwordx4 v[16:17], v[34:37], off
.LBB150_21:                             ;   in Loop: Header=BB150_7 Depth=1
	s_or_b64 exec, exec, s[18:19]
	s_mov_b32 s37, 1
.LBB150_22:                             ;   in Loop: Header=BB150_7 Depth=1
	s_waitcnt lgkmcnt(0)
	s_barrier
	ds_write_b32 v25, v33
	s_waitcnt lgkmcnt(0)
	s_barrier
	s_and_saveexec_b64 s[18:19], s[2:3]
	s_cbranch_execz .LBB150_24
; %bb.23:                               ;   in Loop: Header=BB150_7 Depth=1
	ds_read2st64_b32 v[16:17], v25 offset1:2
	s_waitcnt lgkmcnt(0)
	v_min_i32_e32 v16, v17, v16
	ds_write_b32 v25, v16
.LBB150_24:                             ;   in Loop: Header=BB150_7 Depth=1
	s_or_b64 exec, exec, s[18:19]
	s_waitcnt lgkmcnt(0)
	s_barrier
	s_and_saveexec_b64 s[18:19], s[4:5]
	s_cbranch_execz .LBB150_26
; %bb.25:                               ;   in Loop: Header=BB150_7 Depth=1
	ds_read2st64_b32 v[16:17], v25 offset1:1
	s_waitcnt lgkmcnt(0)
	v_min_i32_e32 v16, v17, v16
	ds_write_b32 v25, v16
.LBB150_26:                             ;   in Loop: Header=BB150_7 Depth=1
	s_or_b64 exec, exec, s[18:19]
	s_waitcnt lgkmcnt(0)
	s_barrier
	s_and_saveexec_b64 s[18:19], s[6:7]
	s_cbranch_execz .LBB150_28
; %bb.27:                               ;   in Loop: Header=BB150_7 Depth=1
	ds_read2_b32 v[16:17], v25 offset1:32
	s_waitcnt lgkmcnt(0)
	v_min_i32_e32 v16, v17, v16
	ds_write_b32 v25, v16
.LBB150_28:                             ;   in Loop: Header=BB150_7 Depth=1
	s_or_b64 exec, exec, s[18:19]
	s_waitcnt lgkmcnt(0)
	s_barrier
	s_and_saveexec_b64 s[18:19], s[8:9]
	s_cbranch_execz .LBB150_30
; %bb.29:                               ;   in Loop: Header=BB150_7 Depth=1
	ds_read2_b32 v[16:17], v25 offset1:16
	s_waitcnt lgkmcnt(0)
	v_min_i32_e32 v16, v17, v16
	ds_write_b32 v25, v16
.LBB150_30:                             ;   in Loop: Header=BB150_7 Depth=1
	;; [unrolled: 11-line block ×5, first 2 shown]
	s_or_b64 exec, exec, s[18:19]
	s_waitcnt lgkmcnt(0)
	s_barrier
	s_and_saveexec_b64 s[18:19], s[16:17]
	s_cbranch_execz .LBB150_6
; %bb.37:                               ;   in Loop: Header=BB150_7 Depth=1
	ds_read_b64 v[16:17], v5
	s_waitcnt lgkmcnt(0)
	v_min_i32_e32 v16, v17, v16
	ds_write_b32 v5, v16
	s_branch .LBB150_6
.LBB150_38:                             ;   in Loop: Header=BB150_7 Depth=1
	ds_read2_b64 v[34:37], v26 offset1:1
	v_lshl_add_u64 v[38:39], v[4:5], 4, v[16:17]
	v_cndmask_b32_e64 v39, v39, v19, s[0:1]
	v_cndmask_b32_e64 v38, v38, v18, s[0:1]
	s_waitcnt lgkmcnt(0)
	global_store_dwordx4 v[38:39], v[34:37], off
	s_or_b64 exec, exec, s[18:19]
	s_and_saveexec_b64 s[18:19], s[40:41]
	s_cbranch_execz .LBB150_18
.LBB150_39:                             ;   in Loop: Header=BB150_7 Depth=1
	ds_read2_b64 v[34:37], v27 offset1:1
	v_lshl_add_u64 v[38:39], v[18:19], 0, s[24:25]
	v_lshl_add_u64 v[40:41], v[10:11], 4, v[16:17]
	v_cndmask_b32_e64 v39, v41, v39, s[0:1]
	v_cndmask_b32_e64 v38, v40, v38, s[0:1]
	s_waitcnt lgkmcnt(0)
	global_store_dwordx4 v[38:39], v[34:37], off
	s_or_b64 exec, exec, s[18:19]
	s_and_saveexec_b64 s[18:19], s[42:43]
	s_cbranch_execz .LBB150_19
.LBB150_40:                             ;   in Loop: Header=BB150_7 Depth=1
	ds_read2_b64 v[34:37], v28 offset1:1
	v_lshl_add_u64 v[38:39], v[18:19], 0, s[26:27]
	v_lshl_add_u64 v[40:41], v[12:13], 4, v[16:17]
	v_cndmask_b32_e64 v39, v41, v39, s[0:1]
	v_cndmask_b32_e64 v38, v40, v38, s[0:1]
	s_waitcnt lgkmcnt(0)
	global_store_dwordx4 v[38:39], v[34:37], off
	s_or_b64 exec, exec, s[18:19]
	s_and_saveexec_b64 s[18:19], s[44:45]
	s_cbranch_execnz .LBB150_20
	s_branch .LBB150_21
.LBB150_41:
	s_endpgm
	.section	.rodata,"a",@progbits
	.p2align	6, 0x0
	.amdhsa_kernel _ZN9rocsparseL38csr2bsr_block_per_row_multipass_kernelILj256ELj32E21rocsparse_complex_numIdEiiEEv20rocsparse_direction_T3_S4_S4_S4_S4_21rocsparse_index_base_PKT1_PKT2_PKS4_S5_PS6_PS9_PS4_
		.amdhsa_group_segment_fixed_size 16392
		.amdhsa_private_segment_fixed_size 0
		.amdhsa_kernarg_size 88
		.amdhsa_user_sgpr_count 2
		.amdhsa_user_sgpr_dispatch_ptr 0
		.amdhsa_user_sgpr_queue_ptr 0
		.amdhsa_user_sgpr_kernarg_segment_ptr 1
		.amdhsa_user_sgpr_dispatch_id 0
		.amdhsa_user_sgpr_kernarg_preload_length 0
		.amdhsa_user_sgpr_kernarg_preload_offset 0
		.amdhsa_user_sgpr_private_segment_size 0
		.amdhsa_uses_dynamic_stack 0
		.amdhsa_enable_private_segment 0
		.amdhsa_system_sgpr_workgroup_id_x 1
		.amdhsa_system_sgpr_workgroup_id_y 0
		.amdhsa_system_sgpr_workgroup_id_z 0
		.amdhsa_system_sgpr_workgroup_info 0
		.amdhsa_system_vgpr_workitem_id 0
		.amdhsa_next_free_vgpr 42
		.amdhsa_next_free_sgpr 58
		.amdhsa_accum_offset 44
		.amdhsa_reserve_vcc 1
		.amdhsa_float_round_mode_32 0
		.amdhsa_float_round_mode_16_64 0
		.amdhsa_float_denorm_mode_32 3
		.amdhsa_float_denorm_mode_16_64 3
		.amdhsa_dx10_clamp 1
		.amdhsa_ieee_mode 1
		.amdhsa_fp16_overflow 0
		.amdhsa_tg_split 0
		.amdhsa_exception_fp_ieee_invalid_op 0
		.amdhsa_exception_fp_denorm_src 0
		.amdhsa_exception_fp_ieee_div_zero 0
		.amdhsa_exception_fp_ieee_overflow 0
		.amdhsa_exception_fp_ieee_underflow 0
		.amdhsa_exception_fp_ieee_inexact 0
		.amdhsa_exception_int_div_zero 0
	.end_amdhsa_kernel
	.section	.text._ZN9rocsparseL38csr2bsr_block_per_row_multipass_kernelILj256ELj32E21rocsparse_complex_numIdEiiEEv20rocsparse_direction_T3_S4_S4_S4_S4_21rocsparse_index_base_PKT1_PKT2_PKS4_S5_PS6_PS9_PS4_,"axG",@progbits,_ZN9rocsparseL38csr2bsr_block_per_row_multipass_kernelILj256ELj32E21rocsparse_complex_numIdEiiEEv20rocsparse_direction_T3_S4_S4_S4_S4_21rocsparse_index_base_PKT1_PKT2_PKS4_S5_PS6_PS9_PS4_,comdat
.Lfunc_end150:
	.size	_ZN9rocsparseL38csr2bsr_block_per_row_multipass_kernelILj256ELj32E21rocsparse_complex_numIdEiiEEv20rocsparse_direction_T3_S4_S4_S4_S4_21rocsparse_index_base_PKT1_PKT2_PKS4_S5_PS6_PS9_PS4_, .Lfunc_end150-_ZN9rocsparseL38csr2bsr_block_per_row_multipass_kernelILj256ELj32E21rocsparse_complex_numIdEiiEEv20rocsparse_direction_T3_S4_S4_S4_S4_21rocsparse_index_base_PKT1_PKT2_PKS4_S5_PS6_PS9_PS4_
                                        ; -- End function
	.section	.AMDGPU.csdata,"",@progbits
; Kernel info:
; codeLenInByte = 1872
; NumSgprs: 64
; NumVgprs: 42
; NumAgprs: 0
; TotalNumVgprs: 42
; ScratchSize: 0
; MemoryBound: 0
; FloatMode: 240
; IeeeMode: 1
; LDSByteSize: 16392 bytes/workgroup (compile time only)
; SGPRBlocks: 7
; VGPRBlocks: 5
; NumSGPRsForWavesPerEU: 64
; NumVGPRsForWavesPerEU: 42
; AccumOffset: 44
; Occupancy: 3
; WaveLimiterHint : 0
; COMPUTE_PGM_RSRC2:SCRATCH_EN: 0
; COMPUTE_PGM_RSRC2:USER_SGPR: 2
; COMPUTE_PGM_RSRC2:TRAP_HANDLER: 0
; COMPUTE_PGM_RSRC2:TGID_X_EN: 1
; COMPUTE_PGM_RSRC2:TGID_Y_EN: 0
; COMPUTE_PGM_RSRC2:TGID_Z_EN: 0
; COMPUTE_PGM_RSRC2:TIDIG_COMP_CNT: 0
; COMPUTE_PGM_RSRC3_GFX90A:ACCUM_OFFSET: 10
; COMPUTE_PGM_RSRC3_GFX90A:TG_SPLIT: 0
	.section	.text._ZN9rocsparseL21csr2bsr_65_inf_kernelILj32E21rocsparse_complex_numIdEiiEEv20rocsparse_direction_T2_S4_S4_S4_S4_S4_21rocsparse_index_base_PKT0_PKT1_PKS4_S5_PS6_PS9_PS4_SF_SG_SE_,"axG",@progbits,_ZN9rocsparseL21csr2bsr_65_inf_kernelILj32E21rocsparse_complex_numIdEiiEEv20rocsparse_direction_T2_S4_S4_S4_S4_S4_21rocsparse_index_base_PKT0_PKT1_PKS4_S5_PS6_PS9_PS4_SF_SG_SE_,comdat
	.globl	_ZN9rocsparseL21csr2bsr_65_inf_kernelILj32E21rocsparse_complex_numIdEiiEEv20rocsparse_direction_T2_S4_S4_S4_S4_S4_21rocsparse_index_base_PKT0_PKT1_PKS4_S5_PS6_PS9_PS4_SF_SG_SE_ ; -- Begin function _ZN9rocsparseL21csr2bsr_65_inf_kernelILj32E21rocsparse_complex_numIdEiiEEv20rocsparse_direction_T2_S4_S4_S4_S4_S4_21rocsparse_index_base_PKT0_PKT1_PKS4_S5_PS6_PS9_PS4_SF_SG_SE_
	.p2align	8
	.type	_ZN9rocsparseL21csr2bsr_65_inf_kernelILj32E21rocsparse_complex_numIdEiiEEv20rocsparse_direction_T2_S4_S4_S4_S4_S4_21rocsparse_index_base_PKT0_PKT1_PKS4_S5_PS6_PS9_PS4_SF_SG_SE_,@function
_ZN9rocsparseL21csr2bsr_65_inf_kernelILj32E21rocsparse_complex_numIdEiiEEv20rocsparse_direction_T2_S4_S4_S4_S4_S4_21rocsparse_index_base_PKT0_PKT1_PKS4_S5_PS6_PS9_PS4_SF_SG_SE_: ; @_ZN9rocsparseL21csr2bsr_65_inf_kernelILj32E21rocsparse_complex_numIdEiiEEv20rocsparse_direction_T2_S4_S4_S4_S4_S4_21rocsparse_index_base_PKT0_PKT1_PKS4_S5_PS6_PS9_PS4_SF_SG_SE_
; %bb.0:
	s_load_dwordx4 s[8:11], s[0:1], 0x0
	s_load_dwordx2 s[4:5], s[0:1], 0x58
	s_load_dword s33, s[0:1], 0x38
	s_mov_b32 s21, 0
	s_waitcnt lgkmcnt(0)
	s_cmp_ge_i32 s2, s11
	s_mov_b32 s11, 0
	s_cbranch_scc1 .LBB151_2
; %bb.1:
	s_load_dwordx2 s[6:7], s[0:1], 0x48
	s_ashr_i32 s3, s2, 31
	s_lshl_b64 s[12:13], s[2:3], 2
	s_waitcnt lgkmcnt(0)
	s_add_u32 s6, s6, s12
	s_addc_u32 s7, s7, s13
	s_load_dword s3, s[6:7], 0x0
	s_waitcnt lgkmcnt(0)
	s_sub_i32 s11, s3, s33
.LBB151_2:
	s_load_dwordx4 s[12:15], s[0:1], 0x14
	s_waitcnt lgkmcnt(0)
	s_mul_i32 s3, s2, s13
	s_lshl_b32 s20, s3, 6
	s_lshl_b64 s[6:7], s[20:21], 2
	s_add_u32 s22, s4, s6
	v_mul_lo_u32 v2, v0, s13
	s_addc_u32 s23, s5, s7
	s_lshl_b32 s20, s13, 5
	v_ashrrev_i32_e32 v3, 31, v2
	s_cmp_gt_i32 s13, 0
	s_cselect_b64 s[24:25], -1, 0
	s_cmp_lt_i32 s13, 1
	v_lshl_add_u64 v[6:7], v[2:3], 2, s[22:23]
	s_cbranch_scc1 .LBB151_7
; %bb.3:
	s_load_dwordx2 s[6:7], s[0:1], 0x28
	s_mul_i32 s3, s2, s12
	s_lshl_b64 s[16:17], s[20:21], 2
	v_mov_b32_e32 v1, 0
	v_mov_b32_e32 v12, v0
	v_mov_b64_e32 v[4:5], v[6:7]
	s_mov_b32 s15, s13
	s_branch .LBB151_5
.LBB151_4:                              ;   in Loop: Header=BB151_5 Depth=1
	s_or_b64 exec, exec, s[4:5]
	s_add_i32 s15, s15, -1
	v_lshl_add_u64 v[4:5], v[4:5], 0, 4
	s_cmp_eq_u32 s15, 0
	v_add_u32_e32 v12, 32, v12
	s_cbranch_scc1 .LBB151_7
.LBB151_5:                              ; =>This Inner Loop Header: Depth=1
	v_add_u32_e32 v10, s3, v12
	v_cmp_gt_i32_e32 vcc, s9, v10
	v_cmp_gt_u32_e64 s[4:5], s12, v12
	v_lshl_add_u64 v[8:9], v[4:5], 0, s[16:17]
	s_and_b64 s[18:19], s[4:5], vcc
	global_store_dword v[4:5], v1, off
	global_store_dword v[8:9], v1, off
	s_and_saveexec_b64 s[4:5], s[18:19]
	s_cbranch_execz .LBB151_4
; %bb.6:                                ;   in Loop: Header=BB151_5 Depth=1
	v_ashrrev_i32_e32 v11, 31, v10
	s_waitcnt lgkmcnt(0)
	v_lshl_add_u64 v[10:11], v[10:11], 2, s[6:7]
	global_load_dwordx2 v[10:11], v[10:11], off
	s_waitcnt vmcnt(0)
	v_subrev_u32_e32 v10, s14, v10
	v_subrev_u32_e32 v11, s14, v11
	global_store_dword v[4:5], v10, off
	global_store_dword v[8:9], v11, off
	s_branch .LBB151_4
.LBB151_7:
	s_cmp_lt_i32 s10, 1
	s_cbranch_scc1 .LBB151_37
; %bb.8:
	s_load_dwordx4 s[28:31], s[0:1], 0x60
	s_load_dwordx2 s[4:5], s[0:1], 0x20
	s_waitcnt lgkmcnt(0)
	s_load_dwordx2 s[6:7], s[0:1], 0x50
	s_load_dwordx2 s[16:17], s[0:1], 0x40
	;; [unrolled: 1-line block ×3, first 2 shown]
	s_lshl_b64 s[0:1], s[20:21], 2
	s_add_u32 s0, s22, s0
	s_addc_u32 s1, s23, s1
	v_lshlrev_b64 v[4:5], 2, v[2:3]
	s_mul_i32 s20, s20, s2
	s_mov_b32 s21, 0
	v_lshl_add_u64 v[8:9], s[0:1], 0, v[4:5]
	s_lshl_b64 s[0:1], s[20:21], 2
	s_add_u32 s0, s28, s0
	s_addc_u32 s1, s29, s1
	v_lshl_add_u64 v[10:11], s[0:1], 0, v[4:5]
	s_lshl_b64 s[0:1], s[20:21], 4
	s_add_u32 s0, s30, s0
	s_addc_u32 s1, s31, s1
	s_cmp_lg_u32 s8, 0
	s_cselect_b64 s[8:9], -1, 0
	s_abs_i32 s15, s12
	v_cvt_f32_u32_e32 v1, s15
	v_lshl_add_u64 v[12:13], v[2:3], 4, s[0:1]
	v_mbcnt_lo_u32_b32 v3, -1, 0
	v_mbcnt_hi_u32_b32 v3, -1, v3
	v_rcp_iflag_f32_e32 v5, v1
	v_mov_b32_e32 v4, 0x7c
	v_lshl_or_b32 v1, v3, 2, v4
	s_sub_i32 s2, 0, s15
	v_mul_f32_e32 v3, 0x4f7ffffe, v5
	v_cvt_u32_f32_e32 v3, v3
	v_cmp_eq_u32_e64 s[0:1], 31, v0
	v_mov_b32_e32 v2, 0
	s_add_i32 s38, s11, -1
	v_mul_lo_u32 v4, s2, v3
	v_mul_hi_u32 v4, v3, v4
	v_add_u32_e32 v26, v3, v4
	v_cndmask_b32_e64 v3, 0, 1, s[24:25]
	s_mul_hi_i32 s39, s12, s12
	s_mul_i32 s40, s12, s12
	s_ashr_i32 s41, s12, 31
	v_mul_lo_u32 v27, v0, s12
	s_lshl_b32 s42, s12, 5
	s_mov_b64 s[22:23], 0
	v_cmp_ne_u32_e64 s[2:3], 1, v3
	v_mov_b32_e32 v15, 0
	v_mov_b32_e32 v14, 0
	;; [unrolled: 1-line block ×4, first 2 shown]
	s_branch .LBB151_10
.LBB151_9:                              ;   in Loop: Header=BB151_10 Depth=1
	s_waitcnt lgkmcnt(0)
	v_add_u32_e32 v14, 1, v3
	v_cmp_le_i32_e32 vcc, s10, v14
	s_or_b64 s[22:23], vcc, s[22:23]
	s_andn2_b64 exec, exec, s[22:23]
	s_cbranch_execz .LBB151_37
.LBB151_10:                             ; =>This Loop Header: Depth=1
                                        ;     Child Loop BB151_14 Depth 2
                                        ;       Child Loop BB151_17 Depth 3
                                        ;     Child Loop BB151_31 Depth 2
	s_and_b64 vcc, exec, s[2:3]
	v_mov_b32_e32 v30, s10
	s_cbranch_vccnz .LBB151_23
; %bb.11:                               ;   in Loop: Header=BB151_10 Depth=1
	s_mov_b32 s20, 0
	v_mov_b32_e32 v30, s10
	s_branch .LBB151_14
.LBB151_12:                             ;   in Loop: Header=BB151_14 Depth=2
	s_or_b64 exec, exec, s[26:27]
.LBB151_13:                             ;   in Loop: Header=BB151_14 Depth=2
	s_or_b64 exec, exec, s[24:25]
	s_add_i32 s20, s20, 1
	s_cmp_eq_u32 s20, s13
	s_cbranch_scc1 .LBB151_23
.LBB151_14:                             ;   Parent Loop BB151_10 Depth=1
                                        ; =>  This Loop Header: Depth=2
                                        ;       Child Loop BB151_17 Depth 3
	s_lshl_b64 s[24:25], s[20:21], 2
	v_lshl_add_u64 v[16:17], v[6:7], 0, s[24:25]
	v_lshl_add_u64 v[4:5], v[8:9], 0, s[24:25]
	global_load_dword v20, v[16:17], off
	global_load_dword v31, v[4:5], off
	v_lshl_add_u64 v[18:19], s[20:21], 4, v[12:13]
	v_mov_b32_e32 v3, v2
	v_mov_b32_e32 v4, v2
	;; [unrolled: 1-line block ×3, first 2 shown]
	global_store_dwordx4 v[18:19], v[2:5], off
	s_waitcnt vmcnt(1)
	v_cmp_lt_i32_e32 vcc, v20, v31
	v_lshl_add_u64 v[4:5], v[10:11], 0, s[24:25]
	v_mov_b32_e32 v3, s10
	global_store_dword v[4:5], v3, off
	s_and_saveexec_b64 s[24:25], vcc
	s_cbranch_execz .LBB151_13
; %bb.15:                               ;   in Loop: Header=BB151_14 Depth=2
	v_ashrrev_i32_e32 v21, 31, v20
	v_lshl_add_u64 v[22:23], v[20:21], 4, s[4:5]
	s_waitcnt lgkmcnt(0)
	v_lshl_add_u64 v[24:25], v[20:21], 2, s[18:19]
	s_mov_b64 s[26:27], 0
                                        ; implicit-def: $sgpr28_sgpr29
                                        ; implicit-def: $sgpr34_sgpr35
                                        ; implicit-def: $sgpr30_sgpr31
	s_branch .LBB151_17
.LBB151_16:                             ;   in Loop: Header=BB151_17 Depth=3
	s_or_b64 exec, exec, s[36:37]
	s_and_b64 s[36:37], exec, s[34:35]
	s_or_b64 s[26:27], s[36:37], s[26:27]
	s_andn2_b64 s[28:29], s[28:29], exec
	s_and_b64 s[36:37], s[30:31], exec
	s_or_b64 s[28:29], s[28:29], s[36:37]
	s_andn2_b64 exec, exec, s[26:27]
	s_cbranch_execz .LBB151_19
.LBB151_17:                             ;   Parent Loop BB151_10 Depth=1
                                        ;     Parent Loop BB151_14 Depth=2
                                        ; =>    This Inner Loop Header: Depth=3
	global_load_dwordx4 v[32:35], v[22:23], off
	v_mov_b32_e32 v3, v20
	s_or_b64 s[30:31], s[30:31], exec
	s_or_b64 s[34:35], s[34:35], exec
                                        ; implicit-def: $vgpr20
	s_waitcnt vmcnt(0)
	global_store_dwordx4 v[18:19], v[32:35], off
	global_load_dword v21, v[24:25], off
	s_waitcnt vmcnt(0)
	v_subrev_u32_e32 v21, s14, v21
	v_cmp_lt_i32_e32 vcc, v21, v14
	s_and_saveexec_b64 s[36:37], vcc
	s_cbranch_execz .LBB151_16
; %bb.18:                               ;   in Loop: Header=BB151_17 Depth=3
	v_add_u32_e32 v20, 1, v3
	v_cmp_ge_i32_e32 vcc, v20, v31
	s_andn2_b64 s[34:35], s[34:35], exec
	s_and_b64 s[44:45], vcc, exec
	v_lshl_add_u64 v[22:23], v[22:23], 0, 16
	v_lshl_add_u64 v[24:25], v[24:25], 0, 4
	s_andn2_b64 s[30:31], s[30:31], exec
	s_or_b64 s[34:35], s[34:35], s[44:45]
	s_branch .LBB151_16
.LBB151_19:                             ;   in Loop: Header=BB151_14 Depth=2
	s_or_b64 exec, exec, s[26:27]
	s_xor_b64 s[26:27], s[28:29], -1
	s_and_saveexec_b64 s[28:29], s[26:27]
	s_xor_b64 s[26:27], exec, s[28:29]
	s_cbranch_execz .LBB151_21
; %bb.20:                               ;   in Loop: Header=BB151_14 Depth=2
	global_store_dword v[4:5], v21, off
                                        ; implicit-def: $vgpr4_vgpr5
                                        ; implicit-def: $vgpr16_vgpr17
.LBB151_21:                             ;   in Loop: Header=BB151_14 Depth=2
	s_andn2_saveexec_b64 s[26:27], s[26:27]
	s_cbranch_execz .LBB151_12
; %bb.22:                               ;   in Loop: Header=BB151_14 Depth=2
	v_min_i32_e32 v30, v21, v30
	global_store_dword v[4:5], v21, off
	global_store_dword v[16:17], v3, off
	s_branch .LBB151_12
.LBB151_23:                             ;   in Loop: Header=BB151_10 Depth=1
	s_nop 0
	v_mov_b32_dpp v3, v30 row_shr:1 row_mask:0xf bank_mask:0xf
	v_min_i32_e32 v3, v3, v30
	s_nop 1
	v_mov_b32_dpp v4, v3 row_shr:2 row_mask:0xf bank_mask:0xf
	v_min_i32_e32 v3, v4, v3
	;; [unrolled: 3-line block ×4, first 2 shown]
	s_nop 1
	v_mov_b32_dpp v4, v3 row_bcast:15 row_mask:0xa bank_mask:0xf
	v_min_i32_e32 v3, v4, v3
	v_cmp_gt_i32_e32 vcc, s10, v3
	s_and_b64 s[26:27], s[0:1], vcc
	s_and_saveexec_b64 s[24:25], s[26:27]
	s_cbranch_execz .LBB151_27
; %bb.24:                               ;   in Loop: Header=BB151_10 Depth=1
	v_sub_u32_e32 v5, 0, v3
	v_max_i32_e32 v5, v3, v5
	v_mul_hi_u32 v14, v5, v26
	v_mul_lo_u32 v16, v14, s15
	v_sub_u32_e32 v5, v5, v16
	v_add_u32_e32 v16, 1, v14
	v_cmp_le_u32_e32 vcc, s15, v5
	v_ashrrev_i32_e32 v4, 31, v3
	v_xor_b32_e32 v4, s41, v4
	v_cndmask_b32_e32 v14, v14, v16, vcc
	v_subrev_u32_e32 v16, s15, v5
	v_cndmask_b32_e32 v5, v5, v16, vcc
	v_add_u32_e32 v16, 1, v14
	v_cmp_le_u32_e32 vcc, s15, v5
	s_nop 1
	v_cndmask_b32_e32 v5, v14, v16, vcc
	v_xor_b32_e32 v5, v5, v4
	v_sub_u32_e32 v4, v5, v4
	v_cmp_ge_i32_e32 vcc, v4, v28
	s_and_saveexec_b64 s[26:27], vcc
	s_cbranch_execz .LBB151_26
; %bb.25:                               ;   in Loop: Header=BB151_10 Depth=1
	v_add_u32_e32 v16, s11, v29
	v_add_u32_e32 v5, 1, v29
	v_ashrrev_i32_e32 v17, 31, v16
	v_add_u32_e32 v28, 1, v4
	s_waitcnt lgkmcnt(0)
	v_lshl_add_u64 v[16:17], v[16:17], 2, s[6:7]
	v_add_u32_e32 v4, s33, v4
	v_mov_b32_e32 v29, v5
	global_store_dword v[16:17], v4, off
.LBB151_26:                             ;   in Loop: Header=BB151_10 Depth=1
	s_or_b64 exec, exec, s[26:27]
.LBB151_27:                             ;   in Loop: Header=BB151_10 Depth=1
	s_or_b64 exec, exec, s[24:25]
	ds_bpermute_b32 v3, v1, v3
	ds_bpermute_b32 v29, v1, v29
	s_and_b64 vcc, exec, s[2:3]
	s_cbranch_vccnz .LBB151_9
; %bb.28:                               ;   in Loop: Header=BB151_10 Depth=1
	s_waitcnt lgkmcnt(0)
	v_add_u32_e32 v4, s38, v29
	v_ashrrev_i32_e32 v5, 31, v4
	v_mul_lo_u32 v14, s40, v5
	v_mul_lo_u32 v16, s39, v4
	v_mad_u64_u32 v[4:5], s[24:25], s40, v4, 0
	v_add3_u32 v5, v5, v14, v16
	v_sub_u32_e32 v16, 0, v3
	v_max_i32_e32 v16, v3, v16
	v_mul_hi_u32 v17, v16, v26
	v_mul_lo_u32 v18, v17, s15
	v_sub_u32_e32 v16, v16, v18
	v_add_u32_e32 v18, 1, v17
	v_cmp_le_u32_e32 vcc, s15, v16
	v_ashrrev_i32_e32 v14, 31, v3
	v_xor_b32_e32 v14, s41, v14
	v_cndmask_b32_e32 v17, v17, v18, vcc
	v_subrev_u32_e32 v18, s15, v16
	v_cndmask_b32_e32 v16, v16, v18, vcc
	v_add_u32_e32 v18, 1, v17
	v_cmp_le_u32_e32 vcc, s15, v16
	v_lshl_add_u64 v[4:5], v[4:5], 4, s[16:17]
	s_mov_b32 s20, s13
	v_cndmask_b32_e32 v16, v17, v18, vcc
	v_xor_b32_e32 v16, v16, v14
	v_sub_u32_e32 v30, v16, v14
	v_mov_b64_e32 v[16:17], v[12:13]
	v_mov_b64_e32 v[18:19], v[10:11]
	v_mov_b32_e32 v20, v0
	v_mov_b32_e32 v14, v27
	s_branch .LBB151_31
.LBB151_29:                             ;   in Loop: Header=BB151_31 Depth=2
	global_load_dwordx4 v[32:35], v[16:17], off
	v_lshl_add_u64 v[22:23], v[22:23], 4, v[4:5]
	v_lshl_add_u64 v[22:23], v[24:25], 4, v[22:23]
	s_waitcnt vmcnt(0)
	global_store_dwordx4 v[22:23], v[32:35], off
.LBB151_30:                             ;   in Loop: Header=BB151_31 Depth=2
	s_or_b64 exec, exec, s[24:25]
	s_add_i32 s20, s20, -1
	v_add_u32_e32 v14, s42, v14
	v_add_u32_e32 v20, 32, v20
	v_lshl_add_u64 v[18:19], v[18:19], 0, 4
	s_cmp_eq_u32 s20, 0
	v_lshl_add_u64 v[16:17], v[16:17], 0, 16
	s_cbranch_scc1 .LBB151_9
.LBB151_31:                             ;   Parent Loop BB151_10 Depth=1
                                        ; =>  This Inner Loop Header: Depth=2
	global_load_dword v21, v[18:19], off
	s_waitcnt vmcnt(0)
	v_cmp_gt_i32_e32 vcc, s10, v21
	s_and_saveexec_b64 s[24:25], vcc
	s_cbranch_execz .LBB151_30
; %bb.32:                               ;   in Loop: Header=BB151_31 Depth=2
	v_sub_u32_e32 v23, 0, v21
	v_max_i32_e32 v23, v21, v23
	v_mul_hi_u32 v24, v23, v26
	v_mul_lo_u32 v25, v24, s15
	v_sub_u32_e32 v32, v23, v25
	v_add_u32_e32 v23, 1, v24
	v_cmp_le_u32_e32 vcc, s15, v32
	v_subrev_u32_e32 v33, s15, v32
	v_ashrrev_i32_e32 v31, 31, v21
	v_cndmask_b32_e32 v23, v24, v23, vcc
	v_cndmask_b32_e32 v24, v32, v33, vcc
	v_add_u32_e32 v25, 1, v23
	v_cmp_le_u32_e32 vcc, s15, v24
	v_xor_b32_e32 v22, s41, v31
	s_nop 0
	v_cndmask_b32_e32 v23, v23, v25, vcc
	v_xor_b32_e32 v23, v23, v22
	v_sub_u32_e32 v22, v23, v22
	v_cmp_eq_u32_e32 vcc, v22, v30
	s_and_b64 exec, exec, vcc
	s_cbranch_execz .LBB151_30
; %bb.33:                               ;   in Loop: Header=BB151_31 Depth=2
	s_and_b64 vcc, exec, s[8:9]
	s_cbranch_vccz .LBB151_35
; %bb.34:                               ;   in Loop: Header=BB151_31 Depth=2
	v_mul_lo_u32 v22, v30, s12
	v_sub_u32_e32 v21, v21, v22
	v_mul_lo_u32 v22, v21, s12
	v_mov_b32_e32 v21, v15
	v_ashrrev_i32_e32 v23, 31, v22
	v_mov_b64_e32 v[24:25], v[20:21]
	s_cbranch_execnz .LBB151_29
	s_branch .LBB151_36
.LBB151_35:                             ;   in Loop: Header=BB151_31 Depth=2
                                        ; implicit-def: $vgpr24_vgpr25
                                        ; implicit-def: $vgpr22_vgpr23
.LBB151_36:                             ;   in Loop: Header=BB151_31 Depth=2
	v_cmp_le_u32_e32 vcc, s15, v32
	s_nop 1
	v_cndmask_b32_e32 v21, v32, v33, vcc
	v_subrev_u32_e32 v22, s15, v21
	v_cmp_le_u32_e32 vcc, s15, v21
	s_nop 1
	v_cndmask_b32_e32 v21, v21, v22, vcc
	v_xor_b32_e32 v21, v21, v31
	v_sub_u32_e32 v24, v21, v31
	v_ashrrev_i32_e32 v25, 31, v24
	v_mov_b64_e32 v[22:23], v[14:15]
	s_branch .LBB151_29
.LBB151_37:
	s_endpgm
	.section	.rodata,"a",@progbits
	.p2align	6, 0x0
	.amdhsa_kernel _ZN9rocsparseL21csr2bsr_65_inf_kernelILj32E21rocsparse_complex_numIdEiiEEv20rocsparse_direction_T2_S4_S4_S4_S4_S4_21rocsparse_index_base_PKT0_PKT1_PKS4_S5_PS6_PS9_PS4_SF_SG_SE_
		.amdhsa_group_segment_fixed_size 0
		.amdhsa_private_segment_fixed_size 0
		.amdhsa_kernarg_size 112
		.amdhsa_user_sgpr_count 2
		.amdhsa_user_sgpr_dispatch_ptr 0
		.amdhsa_user_sgpr_queue_ptr 0
		.amdhsa_user_sgpr_kernarg_segment_ptr 1
		.amdhsa_user_sgpr_dispatch_id 0
		.amdhsa_user_sgpr_kernarg_preload_length 0
		.amdhsa_user_sgpr_kernarg_preload_offset 0
		.amdhsa_user_sgpr_private_segment_size 0
		.amdhsa_uses_dynamic_stack 0
		.amdhsa_enable_private_segment 0
		.amdhsa_system_sgpr_workgroup_id_x 1
		.amdhsa_system_sgpr_workgroup_id_y 0
		.amdhsa_system_sgpr_workgroup_id_z 0
		.amdhsa_system_sgpr_workgroup_info 0
		.amdhsa_system_vgpr_workitem_id 0
		.amdhsa_next_free_vgpr 36
		.amdhsa_next_free_sgpr 46
		.amdhsa_accum_offset 36
		.amdhsa_reserve_vcc 1
		.amdhsa_float_round_mode_32 0
		.amdhsa_float_round_mode_16_64 0
		.amdhsa_float_denorm_mode_32 3
		.amdhsa_float_denorm_mode_16_64 3
		.amdhsa_dx10_clamp 1
		.amdhsa_ieee_mode 1
		.amdhsa_fp16_overflow 0
		.amdhsa_tg_split 0
		.amdhsa_exception_fp_ieee_invalid_op 0
		.amdhsa_exception_fp_denorm_src 0
		.amdhsa_exception_fp_ieee_div_zero 0
		.amdhsa_exception_fp_ieee_overflow 0
		.amdhsa_exception_fp_ieee_underflow 0
		.amdhsa_exception_fp_ieee_inexact 0
		.amdhsa_exception_int_div_zero 0
	.end_amdhsa_kernel
	.section	.text._ZN9rocsparseL21csr2bsr_65_inf_kernelILj32E21rocsparse_complex_numIdEiiEEv20rocsparse_direction_T2_S4_S4_S4_S4_S4_21rocsparse_index_base_PKT0_PKT1_PKS4_S5_PS6_PS9_PS4_SF_SG_SE_,"axG",@progbits,_ZN9rocsparseL21csr2bsr_65_inf_kernelILj32E21rocsparse_complex_numIdEiiEEv20rocsparse_direction_T2_S4_S4_S4_S4_S4_21rocsparse_index_base_PKT0_PKT1_PKS4_S5_PS6_PS9_PS4_SF_SG_SE_,comdat
.Lfunc_end151:
	.size	_ZN9rocsparseL21csr2bsr_65_inf_kernelILj32E21rocsparse_complex_numIdEiiEEv20rocsparse_direction_T2_S4_S4_S4_S4_S4_21rocsparse_index_base_PKT0_PKT1_PKS4_S5_PS6_PS9_PS4_SF_SG_SE_, .Lfunc_end151-_ZN9rocsparseL21csr2bsr_65_inf_kernelILj32E21rocsparse_complex_numIdEiiEEv20rocsparse_direction_T2_S4_S4_S4_S4_S4_21rocsparse_index_base_PKT0_PKT1_PKS4_S5_PS6_PS9_PS4_SF_SG_SE_
                                        ; -- End function
	.section	.AMDGPU.csdata,"",@progbits
; Kernel info:
; codeLenInByte = 1732
; NumSgprs: 52
; NumVgprs: 36
; NumAgprs: 0
; TotalNumVgprs: 36
; ScratchSize: 0
; MemoryBound: 0
; FloatMode: 240
; IeeeMode: 1
; LDSByteSize: 0 bytes/workgroup (compile time only)
; SGPRBlocks: 6
; VGPRBlocks: 4
; NumSGPRsForWavesPerEU: 52
; NumVGPRsForWavesPerEU: 36
; AccumOffset: 36
; Occupancy: 8
; WaveLimiterHint : 0
; COMPUTE_PGM_RSRC2:SCRATCH_EN: 0
; COMPUTE_PGM_RSRC2:USER_SGPR: 2
; COMPUTE_PGM_RSRC2:TRAP_HANDLER: 0
; COMPUTE_PGM_RSRC2:TGID_X_EN: 1
; COMPUTE_PGM_RSRC2:TGID_Y_EN: 0
; COMPUTE_PGM_RSRC2:TGID_Z_EN: 0
; COMPUTE_PGM_RSRC2:TIDIG_COMP_CNT: 0
; COMPUTE_PGM_RSRC3_GFX90A:ACCUM_OFFSET: 8
; COMPUTE_PGM_RSRC3_GFX90A:TG_SPLIT: 0
	.section	.text._ZN9rocsparseL35csr2bsr_block_dim_equals_one_kernelILj256E21rocsparse_complex_numIdEliEEvT2_S3_S3_S3_21rocsparse_index_base_PKT0_PKT1_PKS3_S4_PS5_PS8_PS3_,"axG",@progbits,_ZN9rocsparseL35csr2bsr_block_dim_equals_one_kernelILj256E21rocsparse_complex_numIdEliEEvT2_S3_S3_S3_21rocsparse_index_base_PKT0_PKT1_PKS3_S4_PS5_PS8_PS3_,comdat
	.globl	_ZN9rocsparseL35csr2bsr_block_dim_equals_one_kernelILj256E21rocsparse_complex_numIdEliEEvT2_S3_S3_S3_21rocsparse_index_base_PKT0_PKT1_PKS3_S4_PS5_PS8_PS3_ ; -- Begin function _ZN9rocsparseL35csr2bsr_block_dim_equals_one_kernelILj256E21rocsparse_complex_numIdEliEEvT2_S3_S3_S3_21rocsparse_index_base_PKT0_PKT1_PKS3_S4_PS5_PS8_PS3_
	.p2align	8
	.type	_ZN9rocsparseL35csr2bsr_block_dim_equals_one_kernelILj256E21rocsparse_complex_numIdEliEEvT2_S3_S3_S3_21rocsparse_index_base_PKT0_PKT1_PKS3_S4_PS5_PS8_PS3_,@function
_ZN9rocsparseL35csr2bsr_block_dim_equals_one_kernelILj256E21rocsparse_complex_numIdEliEEvT2_S3_S3_S3_21rocsparse_index_base_PKT0_PKT1_PKS3_S4_PS5_PS8_PS3_: ; @_ZN9rocsparseL35csr2bsr_block_dim_equals_one_kernelILj256E21rocsparse_complex_numIdEliEEvT2_S3_S3_S3_21rocsparse_index_base_PKT0_PKT1_PKS3_S4_PS5_PS8_PS3_
; %bb.0:
	s_load_dword s8, s[0:1], 0x0
	s_load_dwordx4 s[4:7], s[0:1], 0x18
	v_lshl_or_b32 v0, s2, 8, v0
	v_ashrrev_i32_e32 v1, 31, v0
	s_waitcnt lgkmcnt(0)
	s_ashr_i32 s9, s8, 31
	s_lshl_b64 s[8:9], s[8:9], 3
	s_add_u32 s8, s6, s8
	s_addc_u32 s9, s7, s9
	s_load_dwordx2 s[10:11], s[8:9], 0x0
	s_load_dwordx2 s[12:13], s[6:7], 0x0
	s_waitcnt lgkmcnt(0)
	s_sub_u32 s2, s10, s12
	s_subb_u32 s3, s11, s13
	v_cmp_gt_i64_e32 vcc, s[2:3], v[0:1]
	s_and_saveexec_b64 s[6:7], vcc
	s_cbranch_execz .LBB152_3
; %bb.1:
	s_load_dword s12, s[0:1], 0x30
	s_load_dwordx2 s[6:7], s[0:1], 0x38
	s_load_dword s13, s[0:1], 0x10
	s_load_dword s14, s[0:1], 0x50
	s_load_dwordx2 s[8:9], s[0:1], 0x28
	s_load_dwordx2 s[10:11], s[0:1], 0x48
	s_mov_b32 s1, 0
	s_waitcnt lgkmcnt(0)
	s_sub_i32 s18, s12, s13
	s_lshl_b32 s0, s14, 8
	v_lshlrev_b64 v[2:3], 4, v[0:1]
	s_lshl_b64 s[12:13], s[0:1], 4
	v_lshlrev_b64 v[4:5], 2, v[0:1]
	s_lshl_b64 s[14:15], s[0:1], 2
	s_mov_b64 s[16:17], 0
.LBB152_2:                              ; =>This Inner Loop Header: Depth=1
	v_lshl_add_u64 v[6:7], s[8:9], 0, v[4:5]
	global_load_dword v10, v[6:7], off
	v_lshl_add_u64 v[6:7], s[10:11], 0, v[4:5]
	v_lshl_add_u64 v[8:9], s[4:5], 0, v[2:3]
	;; [unrolled: 1-line block ×3, first 2 shown]
	v_cmp_le_i64_e32 vcc, s[2:3], v[0:1]
	v_lshl_add_u64 v[4:5], v[4:5], 0, s[14:15]
	s_or_b64 s[16:17], vcc, s[16:17]
	s_waitcnt vmcnt(0)
	v_add_u32_e32 v10, s18, v10
	global_store_dword v[6:7], v10, off
	global_load_dwordx4 v[6:9], v[8:9], off
	v_lshl_add_u64 v[10:11], s[6:7], 0, v[2:3]
	v_lshl_add_u64 v[2:3], v[2:3], 0, s[12:13]
	s_waitcnt vmcnt(0)
	global_store_dwordx4 v[10:11], v[6:9], off
	s_andn2_b64 exec, exec, s[16:17]
	s_cbranch_execnz .LBB152_2
.LBB152_3:
	s_endpgm
	.section	.rodata,"a",@progbits
	.p2align	6, 0x0
	.amdhsa_kernel _ZN9rocsparseL35csr2bsr_block_dim_equals_one_kernelILj256E21rocsparse_complex_numIdEliEEvT2_S3_S3_S3_21rocsparse_index_base_PKT0_PKT1_PKS3_S4_PS5_PS8_PS3_
		.amdhsa_group_segment_fixed_size 0
		.amdhsa_private_segment_fixed_size 0
		.amdhsa_kernarg_size 336
		.amdhsa_user_sgpr_count 2
		.amdhsa_user_sgpr_dispatch_ptr 0
		.amdhsa_user_sgpr_queue_ptr 0
		.amdhsa_user_sgpr_kernarg_segment_ptr 1
		.amdhsa_user_sgpr_dispatch_id 0
		.amdhsa_user_sgpr_kernarg_preload_length 0
		.amdhsa_user_sgpr_kernarg_preload_offset 0
		.amdhsa_user_sgpr_private_segment_size 0
		.amdhsa_uses_dynamic_stack 0
		.amdhsa_enable_private_segment 0
		.amdhsa_system_sgpr_workgroup_id_x 1
		.amdhsa_system_sgpr_workgroup_id_y 0
		.amdhsa_system_sgpr_workgroup_id_z 0
		.amdhsa_system_sgpr_workgroup_info 0
		.amdhsa_system_vgpr_workitem_id 0
		.amdhsa_next_free_vgpr 12
		.amdhsa_next_free_sgpr 19
		.amdhsa_accum_offset 12
		.amdhsa_reserve_vcc 1
		.amdhsa_float_round_mode_32 0
		.amdhsa_float_round_mode_16_64 0
		.amdhsa_float_denorm_mode_32 3
		.amdhsa_float_denorm_mode_16_64 3
		.amdhsa_dx10_clamp 1
		.amdhsa_ieee_mode 1
		.amdhsa_fp16_overflow 0
		.amdhsa_tg_split 0
		.amdhsa_exception_fp_ieee_invalid_op 0
		.amdhsa_exception_fp_denorm_src 0
		.amdhsa_exception_fp_ieee_div_zero 0
		.amdhsa_exception_fp_ieee_overflow 0
		.amdhsa_exception_fp_ieee_underflow 0
		.amdhsa_exception_fp_ieee_inexact 0
		.amdhsa_exception_int_div_zero 0
	.end_amdhsa_kernel
	.section	.text._ZN9rocsparseL35csr2bsr_block_dim_equals_one_kernelILj256E21rocsparse_complex_numIdEliEEvT2_S3_S3_S3_21rocsparse_index_base_PKT0_PKT1_PKS3_S4_PS5_PS8_PS3_,"axG",@progbits,_ZN9rocsparseL35csr2bsr_block_dim_equals_one_kernelILj256E21rocsparse_complex_numIdEliEEvT2_S3_S3_S3_21rocsparse_index_base_PKT0_PKT1_PKS3_S4_PS5_PS8_PS3_,comdat
.Lfunc_end152:
	.size	_ZN9rocsparseL35csr2bsr_block_dim_equals_one_kernelILj256E21rocsparse_complex_numIdEliEEvT2_S3_S3_S3_21rocsparse_index_base_PKT0_PKT1_PKS3_S4_PS5_PS8_PS3_, .Lfunc_end152-_ZN9rocsparseL35csr2bsr_block_dim_equals_one_kernelILj256E21rocsparse_complex_numIdEliEEvT2_S3_S3_S3_21rocsparse_index_base_PKT0_PKT1_PKS3_S4_PS5_PS8_PS3_
                                        ; -- End function
	.section	.AMDGPU.csdata,"",@progbits
; Kernel info:
; codeLenInByte = 300
; NumSgprs: 25
; NumVgprs: 12
; NumAgprs: 0
; TotalNumVgprs: 12
; ScratchSize: 0
; MemoryBound: 0
; FloatMode: 240
; IeeeMode: 1
; LDSByteSize: 0 bytes/workgroup (compile time only)
; SGPRBlocks: 3
; VGPRBlocks: 1
; NumSGPRsForWavesPerEU: 25
; NumVGPRsForWavesPerEU: 12
; AccumOffset: 12
; Occupancy: 8
; WaveLimiterHint : 0
; COMPUTE_PGM_RSRC2:SCRATCH_EN: 0
; COMPUTE_PGM_RSRC2:USER_SGPR: 2
; COMPUTE_PGM_RSRC2:TRAP_HANDLER: 0
; COMPUTE_PGM_RSRC2:TGID_X_EN: 1
; COMPUTE_PGM_RSRC2:TGID_Y_EN: 0
; COMPUTE_PGM_RSRC2:TGID_Z_EN: 0
; COMPUTE_PGM_RSRC2:TIDIG_COMP_CNT: 0
; COMPUTE_PGM_RSRC3_GFX90A:ACCUM_OFFSET: 2
; COMPUTE_PGM_RSRC3_GFX90A:TG_SPLIT: 0
	.section	.text._ZN9rocsparseL42csr2bsr_wavefront_per_row_multipass_kernelILj256ELj16ELj4E21rocsparse_complex_numIdEliEEv20rocsparse_direction_T4_S4_S4_S4_S4_21rocsparse_index_base_PKT2_PKT3_PKS4_S5_PS6_PS9_PS4_,"axG",@progbits,_ZN9rocsparseL42csr2bsr_wavefront_per_row_multipass_kernelILj256ELj16ELj4E21rocsparse_complex_numIdEliEEv20rocsparse_direction_T4_S4_S4_S4_S4_21rocsparse_index_base_PKT2_PKT3_PKS4_S5_PS6_PS9_PS4_,comdat
	.globl	_ZN9rocsparseL42csr2bsr_wavefront_per_row_multipass_kernelILj256ELj16ELj4E21rocsparse_complex_numIdEliEEv20rocsparse_direction_T4_S4_S4_S4_S4_21rocsparse_index_base_PKT2_PKT3_PKS4_S5_PS6_PS9_PS4_ ; -- Begin function _ZN9rocsparseL42csr2bsr_wavefront_per_row_multipass_kernelILj256ELj16ELj4E21rocsparse_complex_numIdEliEEv20rocsparse_direction_T4_S4_S4_S4_S4_21rocsparse_index_base_PKT2_PKT3_PKS4_S5_PS6_PS9_PS4_
	.p2align	8
	.type	_ZN9rocsparseL42csr2bsr_wavefront_per_row_multipass_kernelILj256ELj16ELj4E21rocsparse_complex_numIdEliEEv20rocsparse_direction_T4_S4_S4_S4_S4_21rocsparse_index_base_PKT2_PKT3_PKS4_S5_PS6_PS9_PS4_,@function
_ZN9rocsparseL42csr2bsr_wavefront_per_row_multipass_kernelILj256ELj16ELj4E21rocsparse_complex_numIdEliEEv20rocsparse_direction_T4_S4_S4_S4_S4_21rocsparse_index_base_PKT2_PKT3_PKS4_S5_PS6_PS9_PS4_: ; @_ZN9rocsparseL42csr2bsr_wavefront_per_row_multipass_kernelILj256ELj16ELj4E21rocsparse_complex_numIdEliEEv20rocsparse_direction_T4_S4_S4_S4_S4_21rocsparse_index_base_PKT2_PKT3_PKS4_S5_PS6_PS9_PS4_
; %bb.0:
	s_load_dwordx2 s[14:15], s[0:1], 0x0
	s_load_dwordx4 s[4:7], s[0:1], 0xc
	s_load_dwordx2 s[8:9], s[0:1], 0x28
	v_lshrrev_b32_e32 v26, 4, v0
	v_bfe_u32 v2, v0, 2, 2
	v_lshl_or_b32 v8, s2, 4, v26
	s_waitcnt lgkmcnt(0)
	v_mad_u64_u32 v[6:7], s[2:3], v8, s6, v[2:3]
	v_cmp_gt_i32_e64 s[2:3], s15, v6
	v_cmp_gt_i32_e32 vcc, s6, v2
	v_mov_b64_e32 v[4:5], 0
	s_and_b64 s[10:11], vcc, s[2:3]
	v_mov_b64_e32 v[12:13], v[4:5]
	s_and_saveexec_b64 s[12:13], s[10:11]
	s_cbranch_execz .LBB153_2
; %bb.1:
	v_ashrrev_i32_e32 v7, 31, v6
	v_lshl_add_u64 v[10:11], v[6:7], 3, s[8:9]
	global_load_dwordx2 v[10:11], v[10:11], off
	s_waitcnt vmcnt(0)
	v_subrev_co_u32_e64 v12, s[2:3], s7, v10
	s_nop 1
	v_subbrev_co_u32_e64 v13, s[2:3], 0, v11, s[2:3]
.LBB153_2:
	s_or_b64 exec, exec, s[12:13]
	s_and_saveexec_b64 s[12:13], s[10:11]
	s_cbranch_execz .LBB153_4
; %bb.3:
	v_ashrrev_i32_e32 v7, 31, v6
	v_lshl_add_u64 v[4:5], v[6:7], 3, s[8:9]
	global_load_dwordx2 v[4:5], v[4:5], off offset:8
	s_waitcnt vmcnt(0)
	v_subrev_co_u32_e64 v4, s[2:3], s7, v4
	s_nop 1
	v_subbrev_co_u32_e64 v5, s[2:3], 0, v5, s[2:3]
.LBB153_4:
	s_or_b64 exec, exec, s[12:13]
	s_load_dword s20, s[0:1], 0x38
	v_cmp_gt_i32_e64 s[2:3], s4, v8
	v_mov_b64_e32 v[6:7], 0
	s_and_saveexec_b64 s[8:9], s[2:3]
	s_cbranch_execz .LBB153_6
; %bb.5:
	s_load_dwordx2 s[2:3], s[0:1], 0x48
	v_ashrrev_i32_e32 v9, 31, v8
	s_waitcnt lgkmcnt(0)
	v_lshl_add_u64 v[6:7], v[8:9], 3, s[2:3]
	global_load_dwordx2 v[6:7], v[6:7], off
	s_waitcnt vmcnt(0)
	v_subrev_co_u32_e64 v6, s[2:3], s20, v6
	s_nop 1
	v_subbrev_co_u32_e64 v7, s[2:3], 0, v7, s[2:3]
.LBB153_6:
	s_or_b64 exec, exec, s[8:9]
	s_cmp_lt_i32 s5, 1
	s_cbranch_scc1 .LBB153_21
; %bb.7:
	v_and_b32_e32 v8, 3, v0
	v_and_b32_e32 v0, 0xf0, v0
	s_load_dwordx2 s[2:3], s[0:1], 0x20
	s_load_dwordx2 s[8:9], s[0:1], 0x50
	s_load_dwordx2 s[16:17], s[0:1], 0x40
	s_load_dwordx2 s[10:11], s[0:1], 0x30
	v_lshl_or_b32 v27, v2, 2, v0
	v_or_b32_e32 v0, v27, v8
	v_lshlrev_b32_e32 v28, 4, v0
	v_mov_b32_e32 v9, 0
	v_mbcnt_lo_u32_b32 v0, -1, 0
	v_cmp_gt_u32_e64 s[0:1], s6, v8
	v_mbcnt_hi_u32_b32 v14, -1, v0
	s_and_b64 s[12:13], vcc, s[0:1]
	v_mul_lo_u32 v0, v8, s6
	v_mov_b32_e32 v1, v9
	s_cmp_eq_u32 s14, 0
	s_waitcnt lgkmcnt(0)
	v_lshl_add_u64 v[0:1], v[0:1], 4, s[16:17]
	v_lshlrev_b32_e32 v10, 4, v2
	v_mov_b32_e32 v11, v9
	v_mul_lo_u32 v2, v2, s6
	v_mov_b32_e32 v3, v9
	v_lshl_add_u64 v[0:1], v[0:1], 0, v[10:11]
	v_lshl_add_u64 v[2:3], v[2:3], 4, s[16:17]
	v_lshlrev_b32_e32 v10, 4, v8
	s_cselect_b64 vcc, -1, 0
	s_abs_i32 s4, s6
	v_lshl_add_u64 v[2:3], v[2:3], 0, v[10:11]
	v_cvt_f32_u32_e32 v10, s4
	v_lshlrev_b32_e32 v11, 2, v14
	v_or_b32_e32 v29, 12, v11
	v_or_b32_e32 v30, 60, v11
	v_rcp_iflag_f32_e32 v10, v10
	v_cndmask_b32_e32 v11, v1, v3, vcc
	s_sub_i32 s0, 0, s4
	s_mul_hi_u32 s21, s6, s6
	v_mul_f32_e32 v1, 0x4f7ffffe, v10
	v_cvt_u32_f32_e32 v1, v1
	v_cndmask_b32_e32 v10, v0, v2, vcc
	s_mul_i32 s22, s6, s6
	s_ashr_i32 s23, s6, 31
	v_mul_lo_u32 v0, s0, v1
	v_mul_hi_u32 v0, v1, v0
	v_add_u32_e32 v31, v1, v0
	s_mov_b64 s[14:15], 0
	v_mov_b64_e32 v[14:15], 0
	v_mov_b32_e32 v0, v9
	v_mov_b32_e32 v1, v9
	;; [unrolled: 1-line block ×5, first 2 shown]
	s_branch .LBB153_10
.LBB153_8:                              ;   in Loop: Header=BB153_10 Depth=1
	s_or_b64 exec, exec, s[16:17]
	v_mov_b64_e32 v[16:17], 1
.LBB153_9:                              ;   in Loop: Header=BB153_10 Depth=1
	s_or_b64 exec, exec, s[0:1]
	v_mov_b32_dpp v14, v33 row_shr:1 row_mask:0xf bank_mask:0xf
	v_min_i32_e32 v14, v14, v33
	v_lshl_add_u64 v[6:7], v[16:17], 0, v[6:7]
	s_waitcnt lgkmcnt(0)
	v_mov_b32_dpp v15, v14 row_shr:2 row_mask:0xf bank_mask:0xf
	v_min_i32_e32 v14, v15, v14
	s_nop 1
	v_mov_b32_dpp v15, v14 row_shr:4 row_mask:0xf bank_mask:0xe
	v_min_i32_e32 v14, v15, v14
	s_nop 1
	v_mov_b32_dpp v15, v14 row_shr:8 row_mask:0xf bank_mask:0xc
	v_min_i32_e32 v14, v15, v14
	ds_bpermute_b32 v14, v30, v14
	s_waitcnt lgkmcnt(0)
	v_cmp_le_i32_e32 vcc, s5, v14
	v_ashrrev_i32_e32 v15, 31, v14
	s_or_b64 s[14:15], vcc, s[14:15]
	s_andn2_b64 exec, exec, s[14:15]
	s_cbranch_execz .LBB153_21
.LBB153_10:                             ; =>This Loop Header: Depth=1
                                        ;     Child Loop BB153_13 Depth 2
	v_lshl_add_u64 v[12:13], v[12:13], 0, v[8:9]
	v_cmp_lt_i64_e32 vcc, v[12:13], v[4:5]
	v_mov_b32_e32 v33, s5
	v_mov_b64_e32 v[20:21], v[4:5]
	ds_write_b8 v26, v9 offset:4096
	ds_write_b128 v28, v[0:3]
	s_waitcnt lgkmcnt(0)
	s_and_saveexec_b64 s[16:17], vcc
	s_cbranch_execz .LBB153_18
; %bb.11:                               ;   in Loop: Header=BB153_10 Depth=1
	v_lshl_add_u64 v[16:17], v[12:13], 4, s[2:3]
	v_lshl_add_u64 v[18:19], v[12:13], 2, s[10:11]
	s_mov_b64 s[18:19], 0
	v_mov_b32_e32 v33, s5
	v_mov_b64_e32 v[20:21], v[4:5]
	s_branch .LBB153_13
.LBB153_12:                             ;   in Loop: Header=BB153_13 Depth=2
	s_or_b64 exec, exec, s[0:1]
	v_lshl_add_u64 v[12:13], v[12:13], 0, 4
	v_cmp_ge_i64_e64 s[0:1], v[12:13], v[4:5]
	s_xor_b64 s[24:25], vcc, -1
	s_or_b64 s[0:1], s[24:25], s[0:1]
	s_and_b64 s[0:1], exec, s[0:1]
	v_lshl_add_u64 v[16:17], v[16:17], 0, 64
	s_or_b64 s[18:19], s[0:1], s[18:19]
	v_lshl_add_u64 v[18:19], v[18:19], 0, 16
	s_andn2_b64 exec, exec, s[18:19]
	s_cbranch_execz .LBB153_17
.LBB153_13:                             ;   Parent Loop BB153_10 Depth=1
                                        ; =>  This Inner Loop Header: Depth=2
	global_load_dword v22, v[18:19], off
	s_waitcnt vmcnt(0)
	v_subrev_u32_e32 v34, s7, v22
	v_sub_u32_e32 v23, 0, v34
	v_max_i32_e32 v23, v34, v23
	v_mul_hi_u32 v24, v23, v31
	v_mul_lo_u32 v25, v24, s4
	v_sub_u32_e32 v23, v23, v25
	v_add_u32_e32 v35, 1, v24
	v_cmp_le_u32_e32 vcc, s4, v23
	v_subrev_u32_e32 v25, s4, v23
	v_ashrrev_i32_e32 v22, 31, v34
	v_cndmask_b32_e32 v24, v24, v35, vcc
	v_cndmask_b32_e32 v23, v23, v25, vcc
	v_add_u32_e32 v25, 1, v24
	v_cmp_le_u32_e32 vcc, s4, v23
	v_xor_b32_e32 v22, s23, v22
	s_nop 0
	v_cndmask_b32_e32 v23, v24, v25, vcc
	v_xor_b32_e32 v23, v23, v22
	v_sub_u32_e32 v22, v23, v22
	v_ashrrev_i32_e32 v23, 31, v22
	v_cmp_eq_u64_e32 vcc, v[14:15], v[22:23]
	v_cmp_ne_u64_e64 s[0:1], v[14:15], v[22:23]
	v_mov_b64_e32 v[24:25], v[20:21]
	s_and_saveexec_b64 s[24:25], s[0:1]
	s_xor_b64 s[0:1], exec, s[24:25]
; %bb.14:                               ;   in Loop: Header=BB153_13 Depth=2
	v_min_i32_e32 v33, v22, v33
                                        ; implicit-def: $vgpr22
                                        ; implicit-def: $vgpr34
                                        ; implicit-def: $vgpr24_vgpr25
; %bb.15:                               ;   in Loop: Header=BB153_13 Depth=2
	s_or_saveexec_b64 s[0:1], s[0:1]
	v_mov_b64_e32 v[20:21], v[12:13]
	s_xor_b64 exec, exec, s[0:1]
	s_cbranch_execz .LBB153_12
; %bb.16:                               ;   in Loop: Header=BB153_13 Depth=2
	global_load_dwordx4 v[36:39], v[16:17], off
	v_mul_lo_u32 v20, v22, s6
	v_sub_u32_e32 v20, v34, v20
	v_add_lshl_u32 v20, v20, v27, 4
	ds_write_b8 v26, v32 offset:4096
	s_waitcnt vmcnt(0)
	ds_write2_b64 v20, v[36:37], v[38:39] offset1:1
	v_mov_b64_e32 v[20:21], v[24:25]
	s_branch .LBB153_12
.LBB153_17:                             ;   in Loop: Header=BB153_10 Depth=1
	s_or_b64 exec, exec, s[18:19]
.LBB153_18:                             ;   in Loop: Header=BB153_10 Depth=1
	s_or_b64 exec, exec, s[16:17]
	v_mov_b32_dpp v12, v20 row_shr:1 row_mask:0xf bank_mask:0xf
	v_mov_b32_dpp v13, v21 row_shr:1 row_mask:0xf bank_mask:0xf
	v_cmp_lt_i64_e32 vcc, v[12:13], v[20:21]
	s_waitcnt lgkmcnt(0)
	ds_read_u8 v15, v26 offset:4096
	v_cndmask_b32_e32 v13, v21, v13, vcc
	v_cndmask_b32_e32 v12, v20, v12, vcc
	s_waitcnt lgkmcnt(0)
	v_and_b32_e32 v15, 1, v15
	v_mov_b32_dpp v16, v12 row_shr:2 row_mask:0xf bank_mask:0xf
	v_mov_b32_dpp v17, v13 row_shr:2 row_mask:0xf bank_mask:0xf
	v_cmp_lt_i64_e32 vcc, v[16:17], v[12:13]
	s_nop 1
	v_cndmask_b32_e32 v13, v13, v17, vcc
	v_cndmask_b32_e32 v12, v12, v16, vcc
	ds_bpermute_b32 v12, v29, v12
	ds_bpermute_b32 v13, v29, v13
	v_cmp_eq_u32_e32 vcc, 1, v15
	v_mov_b64_e32 v[16:17], 0
	s_and_saveexec_b64 s[0:1], vcc
	s_cbranch_execz .LBB153_9
; %bb.19:                               ;   in Loop: Header=BB153_10 Depth=1
	v_add_u32_e32 v16, s20, v14
	v_lshl_add_u64 v[14:15], v[6:7], 2, s[8:9]
	global_store_dword v[14:15], v16, off
	s_and_saveexec_b64 s[16:17], s[12:13]
	s_cbranch_execz .LBB153_8
; %bb.20:                               ;   in Loop: Header=BB153_10 Depth=1
	ds_read2_b64 v[14:17], v28 offset1:1
	v_mul_lo_u32 v20, s21, v6
	v_mul_lo_u32 v21, s22, v7
	v_mad_u64_u32 v[18:19], s[18:19], s22, v6, 0
	v_add3_u32 v19, v19, v21, v20
	v_lshl_add_u64 v[18:19], v[18:19], 4, v[10:11]
	s_waitcnt lgkmcnt(0)
	global_store_dwordx4 v[18:19], v[14:17], off
	s_branch .LBB153_8
.LBB153_21:
	s_endpgm
	.section	.rodata,"a",@progbits
	.p2align	6, 0x0
	.amdhsa_kernel _ZN9rocsparseL42csr2bsr_wavefront_per_row_multipass_kernelILj256ELj16ELj4E21rocsparse_complex_numIdEliEEv20rocsparse_direction_T4_S4_S4_S4_S4_21rocsparse_index_base_PKT2_PKT3_PKS4_S5_PS6_PS9_PS4_
		.amdhsa_group_segment_fixed_size 4112
		.amdhsa_private_segment_fixed_size 0
		.amdhsa_kernarg_size 88
		.amdhsa_user_sgpr_count 2
		.amdhsa_user_sgpr_dispatch_ptr 0
		.amdhsa_user_sgpr_queue_ptr 0
		.amdhsa_user_sgpr_kernarg_segment_ptr 1
		.amdhsa_user_sgpr_dispatch_id 0
		.amdhsa_user_sgpr_kernarg_preload_length 0
		.amdhsa_user_sgpr_kernarg_preload_offset 0
		.amdhsa_user_sgpr_private_segment_size 0
		.amdhsa_uses_dynamic_stack 0
		.amdhsa_enable_private_segment 0
		.amdhsa_system_sgpr_workgroup_id_x 1
		.amdhsa_system_sgpr_workgroup_id_y 0
		.amdhsa_system_sgpr_workgroup_id_z 0
		.amdhsa_system_sgpr_workgroup_info 0
		.amdhsa_system_vgpr_workitem_id 0
		.amdhsa_next_free_vgpr 40
		.amdhsa_next_free_sgpr 26
		.amdhsa_accum_offset 40
		.amdhsa_reserve_vcc 1
		.amdhsa_float_round_mode_32 0
		.amdhsa_float_round_mode_16_64 0
		.amdhsa_float_denorm_mode_32 3
		.amdhsa_float_denorm_mode_16_64 3
		.amdhsa_dx10_clamp 1
		.amdhsa_ieee_mode 1
		.amdhsa_fp16_overflow 0
		.amdhsa_tg_split 0
		.amdhsa_exception_fp_ieee_invalid_op 0
		.amdhsa_exception_fp_denorm_src 0
		.amdhsa_exception_fp_ieee_div_zero 0
		.amdhsa_exception_fp_ieee_overflow 0
		.amdhsa_exception_fp_ieee_underflow 0
		.amdhsa_exception_fp_ieee_inexact 0
		.amdhsa_exception_int_div_zero 0
	.end_amdhsa_kernel
	.section	.text._ZN9rocsparseL42csr2bsr_wavefront_per_row_multipass_kernelILj256ELj16ELj4E21rocsparse_complex_numIdEliEEv20rocsparse_direction_T4_S4_S4_S4_S4_21rocsparse_index_base_PKT2_PKT3_PKS4_S5_PS6_PS9_PS4_,"axG",@progbits,_ZN9rocsparseL42csr2bsr_wavefront_per_row_multipass_kernelILj256ELj16ELj4E21rocsparse_complex_numIdEliEEv20rocsparse_direction_T4_S4_S4_S4_S4_21rocsparse_index_base_PKT2_PKT3_PKS4_S5_PS6_PS9_PS4_,comdat
.Lfunc_end153:
	.size	_ZN9rocsparseL42csr2bsr_wavefront_per_row_multipass_kernelILj256ELj16ELj4E21rocsparse_complex_numIdEliEEv20rocsparse_direction_T4_S4_S4_S4_S4_21rocsparse_index_base_PKT2_PKT3_PKS4_S5_PS6_PS9_PS4_, .Lfunc_end153-_ZN9rocsparseL42csr2bsr_wavefront_per_row_multipass_kernelILj256ELj16ELj4E21rocsparse_complex_numIdEliEEv20rocsparse_direction_T4_S4_S4_S4_S4_21rocsparse_index_base_PKT2_PKT3_PKS4_S5_PS6_PS9_PS4_
                                        ; -- End function
	.section	.AMDGPU.csdata,"",@progbits
; Kernel info:
; codeLenInByte = 1240
; NumSgprs: 32
; NumVgprs: 40
; NumAgprs: 0
; TotalNumVgprs: 40
; ScratchSize: 0
; MemoryBound: 0
; FloatMode: 240
; IeeeMode: 1
; LDSByteSize: 4112 bytes/workgroup (compile time only)
; SGPRBlocks: 3
; VGPRBlocks: 4
; NumSGPRsForWavesPerEU: 32
; NumVGPRsForWavesPerEU: 40
; AccumOffset: 40
; Occupancy: 8
; WaveLimiterHint : 0
; COMPUTE_PGM_RSRC2:SCRATCH_EN: 0
; COMPUTE_PGM_RSRC2:USER_SGPR: 2
; COMPUTE_PGM_RSRC2:TRAP_HANDLER: 0
; COMPUTE_PGM_RSRC2:TGID_X_EN: 1
; COMPUTE_PGM_RSRC2:TGID_Y_EN: 0
; COMPUTE_PGM_RSRC2:TGID_Z_EN: 0
; COMPUTE_PGM_RSRC2:TIDIG_COMP_CNT: 0
; COMPUTE_PGM_RSRC3_GFX90A:ACCUM_OFFSET: 9
; COMPUTE_PGM_RSRC3_GFX90A:TG_SPLIT: 0
	.section	.text._ZN9rocsparseL42csr2bsr_wavefront_per_row_multipass_kernelILj256ELj64ELj8E21rocsparse_complex_numIdEliEEv20rocsparse_direction_T4_S4_S4_S4_S4_21rocsparse_index_base_PKT2_PKT3_PKS4_S5_PS6_PS9_PS4_,"axG",@progbits,_ZN9rocsparseL42csr2bsr_wavefront_per_row_multipass_kernelILj256ELj64ELj8E21rocsparse_complex_numIdEliEEv20rocsparse_direction_T4_S4_S4_S4_S4_21rocsparse_index_base_PKT2_PKT3_PKS4_S5_PS6_PS9_PS4_,comdat
	.globl	_ZN9rocsparseL42csr2bsr_wavefront_per_row_multipass_kernelILj256ELj64ELj8E21rocsparse_complex_numIdEliEEv20rocsparse_direction_T4_S4_S4_S4_S4_21rocsparse_index_base_PKT2_PKT3_PKS4_S5_PS6_PS9_PS4_ ; -- Begin function _ZN9rocsparseL42csr2bsr_wavefront_per_row_multipass_kernelILj256ELj64ELj8E21rocsparse_complex_numIdEliEEv20rocsparse_direction_T4_S4_S4_S4_S4_21rocsparse_index_base_PKT2_PKT3_PKS4_S5_PS6_PS9_PS4_
	.p2align	8
	.type	_ZN9rocsparseL42csr2bsr_wavefront_per_row_multipass_kernelILj256ELj64ELj8E21rocsparse_complex_numIdEliEEv20rocsparse_direction_T4_S4_S4_S4_S4_21rocsparse_index_base_PKT2_PKT3_PKS4_S5_PS6_PS9_PS4_,@function
_ZN9rocsparseL42csr2bsr_wavefront_per_row_multipass_kernelILj256ELj64ELj8E21rocsparse_complex_numIdEliEEv20rocsparse_direction_T4_S4_S4_S4_S4_21rocsparse_index_base_PKT2_PKT3_PKS4_S5_PS6_PS9_PS4_: ; @_ZN9rocsparseL42csr2bsr_wavefront_per_row_multipass_kernelILj256ELj64ELj8E21rocsparse_complex_numIdEliEEv20rocsparse_direction_T4_S4_S4_S4_S4_21rocsparse_index_base_PKT2_PKT3_PKS4_S5_PS6_PS9_PS4_
; %bb.0:
	s_load_dwordx2 s[14:15], s[0:1], 0x0
	s_load_dwordx4 s[4:7], s[0:1], 0xc
	s_load_dwordx2 s[8:9], s[0:1], 0x28
	v_lshrrev_b32_e32 v26, 6, v0
	v_bfe_u32 v2, v0, 3, 3
	v_lshl_or_b32 v8, s2, 2, v26
	s_waitcnt lgkmcnt(0)
	v_mad_u64_u32 v[6:7], s[2:3], v8, s6, v[2:3]
	v_cmp_gt_i32_e64 s[2:3], s15, v6
	v_cmp_gt_i32_e32 vcc, s6, v2
	v_mov_b64_e32 v[4:5], 0
	s_and_b64 s[10:11], vcc, s[2:3]
	v_mov_b64_e32 v[12:13], v[4:5]
	s_and_saveexec_b64 s[12:13], s[10:11]
	s_cbranch_execz .LBB154_2
; %bb.1:
	v_ashrrev_i32_e32 v7, 31, v6
	v_lshl_add_u64 v[10:11], v[6:7], 3, s[8:9]
	global_load_dwordx2 v[10:11], v[10:11], off
	s_waitcnt vmcnt(0)
	v_subrev_co_u32_e64 v12, s[2:3], s7, v10
	s_nop 1
	v_subbrev_co_u32_e64 v13, s[2:3], 0, v11, s[2:3]
.LBB154_2:
	s_or_b64 exec, exec, s[12:13]
	s_and_saveexec_b64 s[12:13], s[10:11]
	s_cbranch_execz .LBB154_4
; %bb.3:
	v_ashrrev_i32_e32 v7, 31, v6
	v_lshl_add_u64 v[4:5], v[6:7], 3, s[8:9]
	global_load_dwordx2 v[4:5], v[4:5], off offset:8
	s_waitcnt vmcnt(0)
	v_subrev_co_u32_e64 v4, s[2:3], s7, v4
	s_nop 1
	v_subbrev_co_u32_e64 v5, s[2:3], 0, v5, s[2:3]
.LBB154_4:
	s_or_b64 exec, exec, s[12:13]
	s_load_dword s22, s[0:1], 0x38
	v_cmp_gt_i32_e64 s[2:3], s4, v8
	v_mov_b64_e32 v[6:7], 0
	s_and_saveexec_b64 s[8:9], s[2:3]
	s_cbranch_execz .LBB154_6
; %bb.5:
	s_load_dwordx2 s[2:3], s[0:1], 0x48
	v_ashrrev_i32_e32 v9, 31, v8
	s_waitcnt lgkmcnt(0)
	v_lshl_add_u64 v[6:7], v[8:9], 3, s[2:3]
	global_load_dwordx2 v[6:7], v[6:7], off
	s_waitcnt vmcnt(0)
	v_subrev_co_u32_e64 v6, s[2:3], s22, v6
	s_nop 1
	v_subbrev_co_u32_e64 v7, s[2:3], 0, v7, s[2:3]
.LBB154_6:
	s_or_b64 exec, exec, s[8:9]
	s_cmp_lt_i32 s5, 1
	s_cbranch_scc1 .LBB154_21
; %bb.7:
	v_and_b32_e32 v8, 7, v0
	v_and_b32_e32 v0, 0xc0, v0
	s_load_dwordx2 s[2:3], s[0:1], 0x20
	s_load_dwordx2 s[8:9], s[0:1], 0x50
	;; [unrolled: 1-line block ×4, first 2 shown]
	v_lshl_or_b32 v27, v2, 3, v0
	v_or_b32_e32 v0, v27, v8
	v_lshlrev_b32_e32 v28, 4, v0
	v_mov_b32_e32 v9, 0
	v_mbcnt_lo_u32_b32 v0, -1, 0
	v_cmp_gt_u32_e64 s[0:1], s6, v8
	v_mbcnt_hi_u32_b32 v14, -1, v0
	s_and_b64 s[12:13], vcc, s[0:1]
	v_mul_lo_u32 v0, v8, s6
	v_mov_b32_e32 v1, v9
	s_cmp_eq_u32 s14, 0
	s_waitcnt lgkmcnt(0)
	v_lshl_add_u64 v[0:1], v[0:1], 4, s[16:17]
	v_lshlrev_b32_e32 v10, 4, v2
	v_mov_b32_e32 v11, v9
	v_mul_lo_u32 v2, v2, s6
	v_mov_b32_e32 v3, v9
	v_lshl_add_u64 v[0:1], v[0:1], 0, v[10:11]
	v_lshl_add_u64 v[2:3], v[2:3], 4, s[16:17]
	v_lshlrev_b32_e32 v10, 4, v8
	s_cselect_b64 vcc, -1, 0
	s_abs_i32 s4, s6
	v_lshl_add_u64 v[2:3], v[2:3], 0, v[10:11]
	v_cvt_f32_u32_e32 v10, s4
	v_lshlrev_b32_e32 v11, 2, v14
	v_or_b32_e32 v29, 28, v11
	v_or_b32_e32 v30, 0xfc, v11
	v_rcp_iflag_f32_e32 v10, v10
	v_cndmask_b32_e32 v11, v1, v3, vcc
	s_sub_i32 s0, 0, s4
	s_mul_hi_u32 s23, s6, s6
	v_mul_f32_e32 v1, 0x4f7ffffe, v10
	v_cvt_u32_f32_e32 v1, v1
	v_cndmask_b32_e32 v10, v0, v2, vcc
	s_mul_i32 s24, s6, s6
	s_ashr_i32 s25, s6, 31
	v_mul_lo_u32 v0, s0, v1
	v_mul_hi_u32 v0, v1, v0
	v_add_u32_e32 v31, v1, v0
	s_mov_b64 s[14:15], 0
	v_mov_b64_e32 v[14:15], 0
	v_mov_b32_e32 v0, v9
	v_mov_b32_e32 v1, v9
	;; [unrolled: 1-line block ×4, first 2 shown]
	s_mov_b64 s[16:17], 0x80
	v_mov_b32_e32 v32, 1
	s_branch .LBB154_10
.LBB154_8:                              ;   in Loop: Header=BB154_10 Depth=1
	s_or_b64 exec, exec, s[18:19]
	v_mov_b64_e32 v[16:17], 1
.LBB154_9:                              ;   in Loop: Header=BB154_10 Depth=1
	s_or_b64 exec, exec, s[0:1]
	v_mov_b32_dpp v14, v33 row_shr:1 row_mask:0xf bank_mask:0xf
	v_min_i32_e32 v14, v14, v33
	v_lshl_add_u64 v[6:7], v[16:17], 0, v[6:7]
	s_waitcnt lgkmcnt(0)
	v_mov_b32_dpp v15, v14 row_shr:2 row_mask:0xf bank_mask:0xf
	v_min_i32_e32 v14, v15, v14
	s_nop 1
	v_mov_b32_dpp v15, v14 row_shr:4 row_mask:0xf bank_mask:0xe
	v_min_i32_e32 v14, v15, v14
	s_nop 1
	;; [unrolled: 3-line block ×3, first 2 shown]
	v_mov_b32_dpp v15, v14 row_bcast:15 row_mask:0xa bank_mask:0xf
	v_min_i32_e32 v14, v15, v14
	s_nop 1
	v_mov_b32_dpp v15, v14 row_bcast:31 row_mask:0xc bank_mask:0xf
	v_min_i32_e32 v14, v15, v14
	ds_bpermute_b32 v14, v30, v14
	s_waitcnt lgkmcnt(0)
	v_cmp_le_i32_e32 vcc, s5, v14
	v_ashrrev_i32_e32 v15, 31, v14
	s_or_b64 s[14:15], vcc, s[14:15]
	s_andn2_b64 exec, exec, s[14:15]
	s_cbranch_execz .LBB154_21
.LBB154_10:                             ; =>This Loop Header: Depth=1
                                        ;     Child Loop BB154_13 Depth 2
	v_lshl_add_u64 v[12:13], v[12:13], 0, v[8:9]
	v_cmp_lt_i64_e32 vcc, v[12:13], v[4:5]
	v_mov_b32_e32 v33, s5
	v_mov_b64_e32 v[20:21], v[4:5]
	ds_write_b8 v26, v9 offset:4096
	ds_write_b128 v28, v[0:3]
	s_waitcnt lgkmcnt(0)
	s_and_saveexec_b64 s[18:19], vcc
	s_cbranch_execz .LBB154_18
; %bb.11:                               ;   in Loop: Header=BB154_10 Depth=1
	v_lshl_add_u64 v[16:17], v[12:13], 4, s[2:3]
	v_lshl_add_u64 v[18:19], v[12:13], 2, s[10:11]
	s_mov_b64 s[20:21], 0
	v_mov_b32_e32 v33, s5
	v_mov_b64_e32 v[20:21], v[4:5]
	s_branch .LBB154_13
.LBB154_12:                             ;   in Loop: Header=BB154_13 Depth=2
	s_or_b64 exec, exec, s[0:1]
	v_lshl_add_u64 v[12:13], v[12:13], 0, 8
	v_cmp_ge_i64_e64 s[0:1], v[12:13], v[4:5]
	s_xor_b64 s[26:27], vcc, -1
	s_or_b64 s[0:1], s[26:27], s[0:1]
	s_and_b64 s[0:1], exec, s[0:1]
	v_lshl_add_u64 v[16:17], v[16:17], 0, s[16:17]
	s_or_b64 s[20:21], s[0:1], s[20:21]
	v_lshl_add_u64 v[18:19], v[18:19], 0, 32
	s_andn2_b64 exec, exec, s[20:21]
	s_cbranch_execz .LBB154_17
.LBB154_13:                             ;   Parent Loop BB154_10 Depth=1
                                        ; =>  This Inner Loop Header: Depth=2
	global_load_dword v22, v[18:19], off
	s_waitcnt vmcnt(0)
	v_subrev_u32_e32 v34, s7, v22
	v_sub_u32_e32 v23, 0, v34
	v_max_i32_e32 v23, v34, v23
	v_mul_hi_u32 v24, v23, v31
	v_mul_lo_u32 v25, v24, s4
	v_sub_u32_e32 v23, v23, v25
	v_add_u32_e32 v35, 1, v24
	v_cmp_le_u32_e32 vcc, s4, v23
	v_subrev_u32_e32 v25, s4, v23
	v_ashrrev_i32_e32 v22, 31, v34
	v_cndmask_b32_e32 v24, v24, v35, vcc
	v_cndmask_b32_e32 v23, v23, v25, vcc
	v_add_u32_e32 v25, 1, v24
	v_cmp_le_u32_e32 vcc, s4, v23
	v_xor_b32_e32 v22, s25, v22
	s_nop 0
	v_cndmask_b32_e32 v23, v24, v25, vcc
	v_xor_b32_e32 v23, v23, v22
	v_sub_u32_e32 v22, v23, v22
	v_ashrrev_i32_e32 v23, 31, v22
	v_cmp_eq_u64_e32 vcc, v[14:15], v[22:23]
	v_cmp_ne_u64_e64 s[0:1], v[14:15], v[22:23]
	v_mov_b64_e32 v[24:25], v[20:21]
	s_and_saveexec_b64 s[26:27], s[0:1]
	s_xor_b64 s[0:1], exec, s[26:27]
; %bb.14:                               ;   in Loop: Header=BB154_13 Depth=2
	v_min_i32_e32 v33, v22, v33
                                        ; implicit-def: $vgpr22
                                        ; implicit-def: $vgpr34
                                        ; implicit-def: $vgpr24_vgpr25
; %bb.15:                               ;   in Loop: Header=BB154_13 Depth=2
	s_or_saveexec_b64 s[0:1], s[0:1]
	v_mov_b64_e32 v[20:21], v[12:13]
	s_xor_b64 exec, exec, s[0:1]
	s_cbranch_execz .LBB154_12
; %bb.16:                               ;   in Loop: Header=BB154_13 Depth=2
	global_load_dwordx4 v[36:39], v[16:17], off
	v_mul_lo_u32 v20, v22, s6
	v_sub_u32_e32 v20, v34, v20
	v_add_lshl_u32 v20, v20, v27, 4
	ds_write_b8 v26, v32 offset:4096
	s_waitcnt vmcnt(0)
	ds_write2_b64 v20, v[36:37], v[38:39] offset1:1
	v_mov_b64_e32 v[20:21], v[24:25]
	s_branch .LBB154_12
.LBB154_17:                             ;   in Loop: Header=BB154_10 Depth=1
	s_or_b64 exec, exec, s[20:21]
.LBB154_18:                             ;   in Loop: Header=BB154_10 Depth=1
	s_or_b64 exec, exec, s[18:19]
	v_mov_b32_dpp v12, v20 row_shr:1 row_mask:0xf bank_mask:0xf
	v_mov_b32_dpp v13, v21 row_shr:1 row_mask:0xf bank_mask:0xf
	v_cmp_lt_i64_e32 vcc, v[12:13], v[20:21]
	s_waitcnt lgkmcnt(0)
	ds_read_u8 v15, v26 offset:4096
	v_cndmask_b32_e32 v13, v21, v13, vcc
	v_cndmask_b32_e32 v12, v20, v12, vcc
	s_waitcnt lgkmcnt(0)
	v_and_b32_e32 v15, 1, v15
	v_mov_b32_dpp v16, v12 row_shr:2 row_mask:0xf bank_mask:0xf
	v_mov_b32_dpp v17, v13 row_shr:2 row_mask:0xf bank_mask:0xf
	v_cmp_lt_i64_e32 vcc, v[16:17], v[12:13]
	s_nop 1
	v_cndmask_b32_e32 v13, v13, v17, vcc
	v_cndmask_b32_e32 v12, v12, v16, vcc
	s_nop 0
	v_mov_b32_dpp v17, v13 row_shr:4 row_mask:0xf bank_mask:0xe
	v_mov_b32_dpp v16, v12 row_shr:4 row_mask:0xf bank_mask:0xe
	v_cmp_lt_i64_e32 vcc, v[16:17], v[12:13]
	s_nop 1
	v_cndmask_b32_e32 v13, v13, v17, vcc
	v_cndmask_b32_e32 v12, v12, v16, vcc
	ds_bpermute_b32 v12, v29, v12
	ds_bpermute_b32 v13, v29, v13
	v_cmp_eq_u32_e32 vcc, 1, v15
	v_mov_b64_e32 v[16:17], 0
	s_and_saveexec_b64 s[0:1], vcc
	s_cbranch_execz .LBB154_9
; %bb.19:                               ;   in Loop: Header=BB154_10 Depth=1
	v_add_u32_e32 v16, s22, v14
	v_lshl_add_u64 v[14:15], v[6:7], 2, s[8:9]
	global_store_dword v[14:15], v16, off
	s_and_saveexec_b64 s[18:19], s[12:13]
	s_cbranch_execz .LBB154_8
; %bb.20:                               ;   in Loop: Header=BB154_10 Depth=1
	ds_read2_b64 v[14:17], v28 offset1:1
	v_mul_lo_u32 v20, s23, v6
	v_mul_lo_u32 v21, s24, v7
	v_mad_u64_u32 v[18:19], s[20:21], s24, v6, 0
	v_add3_u32 v19, v19, v21, v20
	v_lshl_add_u64 v[18:19], v[18:19], 4, v[10:11]
	s_waitcnt lgkmcnt(0)
	global_store_dwordx4 v[18:19], v[14:17], off
	s_branch .LBB154_8
.LBB154_21:
	s_endpgm
	.section	.rodata,"a",@progbits
	.p2align	6, 0x0
	.amdhsa_kernel _ZN9rocsparseL42csr2bsr_wavefront_per_row_multipass_kernelILj256ELj64ELj8E21rocsparse_complex_numIdEliEEv20rocsparse_direction_T4_S4_S4_S4_S4_21rocsparse_index_base_PKT2_PKT3_PKS4_S5_PS6_PS9_PS4_
		.amdhsa_group_segment_fixed_size 4104
		.amdhsa_private_segment_fixed_size 0
		.amdhsa_kernarg_size 88
		.amdhsa_user_sgpr_count 2
		.amdhsa_user_sgpr_dispatch_ptr 0
		.amdhsa_user_sgpr_queue_ptr 0
		.amdhsa_user_sgpr_kernarg_segment_ptr 1
		.amdhsa_user_sgpr_dispatch_id 0
		.amdhsa_user_sgpr_kernarg_preload_length 0
		.amdhsa_user_sgpr_kernarg_preload_offset 0
		.amdhsa_user_sgpr_private_segment_size 0
		.amdhsa_uses_dynamic_stack 0
		.amdhsa_enable_private_segment 0
		.amdhsa_system_sgpr_workgroup_id_x 1
		.amdhsa_system_sgpr_workgroup_id_y 0
		.amdhsa_system_sgpr_workgroup_id_z 0
		.amdhsa_system_sgpr_workgroup_info 0
		.amdhsa_system_vgpr_workitem_id 0
		.amdhsa_next_free_vgpr 40
		.amdhsa_next_free_sgpr 28
		.amdhsa_accum_offset 40
		.amdhsa_reserve_vcc 1
		.amdhsa_float_round_mode_32 0
		.amdhsa_float_round_mode_16_64 0
		.amdhsa_float_denorm_mode_32 3
		.amdhsa_float_denorm_mode_16_64 3
		.amdhsa_dx10_clamp 1
		.amdhsa_ieee_mode 1
		.amdhsa_fp16_overflow 0
		.amdhsa_tg_split 0
		.amdhsa_exception_fp_ieee_invalid_op 0
		.amdhsa_exception_fp_denorm_src 0
		.amdhsa_exception_fp_ieee_div_zero 0
		.amdhsa_exception_fp_ieee_overflow 0
		.amdhsa_exception_fp_ieee_underflow 0
		.amdhsa_exception_fp_ieee_inexact 0
		.amdhsa_exception_int_div_zero 0
	.end_amdhsa_kernel
	.section	.text._ZN9rocsparseL42csr2bsr_wavefront_per_row_multipass_kernelILj256ELj64ELj8E21rocsparse_complex_numIdEliEEv20rocsparse_direction_T4_S4_S4_S4_S4_21rocsparse_index_base_PKT2_PKT3_PKS4_S5_PS6_PS9_PS4_,"axG",@progbits,_ZN9rocsparseL42csr2bsr_wavefront_per_row_multipass_kernelILj256ELj64ELj8E21rocsparse_complex_numIdEliEEv20rocsparse_direction_T4_S4_S4_S4_S4_21rocsparse_index_base_PKT2_PKT3_PKS4_S5_PS6_PS9_PS4_,comdat
.Lfunc_end154:
	.size	_ZN9rocsparseL42csr2bsr_wavefront_per_row_multipass_kernelILj256ELj64ELj8E21rocsparse_complex_numIdEliEEv20rocsparse_direction_T4_S4_S4_S4_S4_21rocsparse_index_base_PKT2_PKT3_PKS4_S5_PS6_PS9_PS4_, .Lfunc_end154-_ZN9rocsparseL42csr2bsr_wavefront_per_row_multipass_kernelILj256ELj64ELj8E21rocsparse_complex_numIdEliEEv20rocsparse_direction_T4_S4_S4_S4_S4_21rocsparse_index_base_PKT2_PKT3_PKS4_S5_PS6_PS9_PS4_
                                        ; -- End function
	.section	.AMDGPU.csdata,"",@progbits
; Kernel info:
; codeLenInByte = 1320
; NumSgprs: 34
; NumVgprs: 40
; NumAgprs: 0
; TotalNumVgprs: 40
; ScratchSize: 0
; MemoryBound: 0
; FloatMode: 240
; IeeeMode: 1
; LDSByteSize: 4104 bytes/workgroup (compile time only)
; SGPRBlocks: 4
; VGPRBlocks: 4
; NumSGPRsForWavesPerEU: 34
; NumVGPRsForWavesPerEU: 40
; AccumOffset: 40
; Occupancy: 8
; WaveLimiterHint : 0
; COMPUTE_PGM_RSRC2:SCRATCH_EN: 0
; COMPUTE_PGM_RSRC2:USER_SGPR: 2
; COMPUTE_PGM_RSRC2:TRAP_HANDLER: 0
; COMPUTE_PGM_RSRC2:TGID_X_EN: 1
; COMPUTE_PGM_RSRC2:TGID_Y_EN: 0
; COMPUTE_PGM_RSRC2:TGID_Z_EN: 0
; COMPUTE_PGM_RSRC2:TIDIG_COMP_CNT: 0
; COMPUTE_PGM_RSRC3_GFX90A:ACCUM_OFFSET: 9
; COMPUTE_PGM_RSRC3_GFX90A:TG_SPLIT: 0
	.section	.text._ZN9rocsparseL42csr2bsr_wavefront_per_row_multipass_kernelILj256ELj32ELj8E21rocsparse_complex_numIdEliEEv20rocsparse_direction_T4_S4_S4_S4_S4_21rocsparse_index_base_PKT2_PKT3_PKS4_S5_PS6_PS9_PS4_,"axG",@progbits,_ZN9rocsparseL42csr2bsr_wavefront_per_row_multipass_kernelILj256ELj32ELj8E21rocsparse_complex_numIdEliEEv20rocsparse_direction_T4_S4_S4_S4_S4_21rocsparse_index_base_PKT2_PKT3_PKS4_S5_PS6_PS9_PS4_,comdat
	.globl	_ZN9rocsparseL42csr2bsr_wavefront_per_row_multipass_kernelILj256ELj32ELj8E21rocsparse_complex_numIdEliEEv20rocsparse_direction_T4_S4_S4_S4_S4_21rocsparse_index_base_PKT2_PKT3_PKS4_S5_PS6_PS9_PS4_ ; -- Begin function _ZN9rocsparseL42csr2bsr_wavefront_per_row_multipass_kernelILj256ELj32ELj8E21rocsparse_complex_numIdEliEEv20rocsparse_direction_T4_S4_S4_S4_S4_21rocsparse_index_base_PKT2_PKT3_PKS4_S5_PS6_PS9_PS4_
	.p2align	8
	.type	_ZN9rocsparseL42csr2bsr_wavefront_per_row_multipass_kernelILj256ELj32ELj8E21rocsparse_complex_numIdEliEEv20rocsparse_direction_T4_S4_S4_S4_S4_21rocsparse_index_base_PKT2_PKT3_PKS4_S5_PS6_PS9_PS4_,@function
_ZN9rocsparseL42csr2bsr_wavefront_per_row_multipass_kernelILj256ELj32ELj8E21rocsparse_complex_numIdEliEEv20rocsparse_direction_T4_S4_S4_S4_S4_21rocsparse_index_base_PKT2_PKT3_PKS4_S5_PS6_PS9_PS4_: ; @_ZN9rocsparseL42csr2bsr_wavefront_per_row_multipass_kernelILj256ELj32ELj8E21rocsparse_complex_numIdEliEEv20rocsparse_direction_T4_S4_S4_S4_S4_21rocsparse_index_base_PKT2_PKT3_PKS4_S5_PS6_PS9_PS4_
; %bb.0:
	s_load_dwordx2 s[10:11], s[0:1], 0x0
	s_load_dwordx4 s[4:7], s[0:1], 0xc
	s_load_dwordx2 s[8:9], s[0:1], 0x28
	v_lshrrev_b32_e32 v34, 5, v0
	v_bfe_u32 v2, v0, 2, 3
	v_lshl_or_b32 v8, s2, 3, v34
	s_waitcnt lgkmcnt(0)
	v_mad_u64_u32 v[6:7], s[2:3], v8, s6, v[2:3]
	v_cmp_gt_i32_e64 s[2:3], s11, v6
	v_cmp_gt_i32_e32 vcc, s6, v2
	v_mov_b64_e32 v[4:5], 0
	s_and_b64 s[12:13], vcc, s[2:3]
	v_mov_b64_e32 v[20:21], v[4:5]
	s_and_saveexec_b64 s[14:15], s[12:13]
	s_cbranch_execz .LBB155_2
; %bb.1:
	v_ashrrev_i32_e32 v7, 31, v6
	v_lshl_add_u64 v[10:11], v[6:7], 3, s[8:9]
	global_load_dwordx2 v[10:11], v[10:11], off
	s_waitcnt vmcnt(0)
	v_subrev_co_u32_e64 v20, s[2:3], s7, v10
	s_nop 1
	v_subbrev_co_u32_e64 v21, s[2:3], 0, v11, s[2:3]
.LBB155_2:
	s_or_b64 exec, exec, s[14:15]
	s_and_saveexec_b64 s[14:15], s[12:13]
	s_cbranch_execz .LBB155_4
; %bb.3:
	v_ashrrev_i32_e32 v7, 31, v6
	v_lshl_add_u64 v[4:5], v[6:7], 3, s[8:9]
	global_load_dwordx2 v[4:5], v[4:5], off offset:8
	s_waitcnt vmcnt(0)
	v_subrev_co_u32_e64 v4, s[2:3], s7, v4
	s_nop 1
	v_subbrev_co_u32_e64 v5, s[2:3], 0, v5, s[2:3]
.LBB155_4:
	s_or_b64 exec, exec, s[14:15]
	s_load_dword s26, s[0:1], 0x38
	v_cmp_gt_i32_e64 s[2:3], s4, v8
	v_mov_b64_e32 v[6:7], 0
	s_and_saveexec_b64 s[8:9], s[2:3]
	s_cbranch_execz .LBB155_6
; %bb.5:
	s_load_dwordx2 s[2:3], s[0:1], 0x48
	v_ashrrev_i32_e32 v9, 31, v8
	s_waitcnt lgkmcnt(0)
	v_lshl_add_u64 v[6:7], v[8:9], 3, s[2:3]
	global_load_dwordx2 v[6:7], v[6:7], off
	s_waitcnt vmcnt(0)
	v_subrev_co_u32_e64 v6, s[2:3], s26, v6
	s_nop 1
	v_subbrev_co_u32_e64 v7, s[2:3], 0, v7, s[2:3]
.LBB155_6:
	s_or_b64 exec, exec, s[8:9]
	s_cmp_lt_i32 s5, 1
	s_cbranch_scc1 .LBB155_30
; %bb.7:
	v_and_b32_e32 v8, 3, v0
	v_lshlrev_b32_e32 v0, 6, v34
	v_lshl_or_b32 v35, v2, 3, v0
	v_mbcnt_lo_u32_b32 v0, -1, 0
	v_mbcnt_hi_u32_b32 v0, -1, v0
	v_lshlrev_b32_e32 v0, 2, v0
	s_cmp_lg_u32 s10, 0
	v_or_b32_e32 v36, 12, v0
	s_cselect_b64 s[18:19], -1, 0
	v_or_b32_e32 v37, 0x7c, v0
	v_or_b32_e32 v0, v35, v8
	s_abs_i32 s28, s6
	v_lshlrev_b32_e32 v38, 4, v0
	v_cvt_f32_u32_e32 v0, s28
	s_load_dwordx2 s[12:13], s[0:1], 0x20
	s_load_dwordx2 s[14:15], s[0:1], 0x50
	;; [unrolled: 1-line block ×4, first 2 shown]
	v_mov_b32_e32 v11, 0
	v_lshlrev_b32_e32 v10, 4, v2
	v_rcp_iflag_f32_e32 v0, v0
	v_cmp_gt_u32_e64 s[0:1], s6, v8
	s_waitcnt lgkmcnt(0)
	v_lshl_add_u64 v[12:13], s[2:3], 0, v[10:11]
	v_mul_lo_u32 v10, v2, s6
	v_mul_f32_e32 v0, 0x4f7ffffe, v0
	v_cvt_u32_f32_e32 v0, v0
	v_or_b32_e32 v1, 4, v8
	s_and_b64 s[20:21], s[0:1], vcc
	s_sub_i32 s0, 0, s28
	s_mov_b32 s8, 0
	v_lshl_add_u64 v[14:15], v[10:11], 4, s[2:3]
	v_cmp_gt_u32_e64 s[2:3], s6, v1
	v_mul_lo_u32 v1, s0, v0
	v_mul_hi_u32 v1, v0, v1
	s_mov_b32 s9, s8
	v_mul_lo_u32 v16, v8, s6
	v_add_u32_e32 v40, v0, v1
	s_mov_b32 s10, s8
	s_mov_b32 s11, s8
	v_mov_b64_e32 v[0:1], s[8:9]
	v_mov_b32_e32 v9, v11
	s_mul_hi_u32 s4, s6, s6
	s_mul_i32 s27, s6, s6
	v_or_b32_e32 v39, 64, v38
	v_mov_b32_e32 v17, v11
	v_lshl_add_u32 v18, s6, 2, v16
	v_mov_b32_e32 v19, v11
	s_and_b64 s[2:3], vcc, s[2:3]
	s_ashr_i32 s29, s6, 31
	s_mov_b64 s[22:23], 0
	v_mov_b64_e32 v[22:23], 0
	v_mov_b64_e32 v[2:3], s[10:11]
	v_mov_b32_e32 v41, 1
	s_branch .LBB155_11
.LBB155_8:                              ;   in Loop: Header=BB155_11 Depth=1
	s_nop 0
	v_mov_b64_e32 v[26:27], s[10:11]
.LBB155_9:                              ;   in Loop: Header=BB155_11 Depth=1
	s_or_b64 exec, exec, s[8:9]
.LBB155_10:                             ;   in Loop: Header=BB155_11 Depth=1
	s_or_b64 exec, exec, s[0:1]
	v_mov_b32_dpp v10, v42 row_shr:1 row_mask:0xf bank_mask:0xf
	v_min_i32_e32 v10, v10, v42
	v_lshl_add_u64 v[6:7], v[26:27], 0, v[6:7]
	s_waitcnt lgkmcnt(0)
	v_mov_b32_dpp v22, v10 row_shr:2 row_mask:0xf bank_mask:0xf
	v_min_i32_e32 v10, v22, v10
	s_nop 1
	v_mov_b32_dpp v22, v10 row_shr:4 row_mask:0xf bank_mask:0xe
	v_min_i32_e32 v10, v22, v10
	s_nop 1
	;; [unrolled: 3-line block ×3, first 2 shown]
	v_mov_b32_dpp v22, v10 row_bcast:15 row_mask:0xa bank_mask:0xf
	v_min_i32_e32 v10, v22, v10
	ds_bpermute_b32 v22, v37, v10
	s_waitcnt lgkmcnt(0)
	v_cmp_le_i32_e32 vcc, s5, v22
	v_ashrrev_i32_e32 v23, 31, v22
	s_or_b64 s[22:23], vcc, s[22:23]
	s_andn2_b64 exec, exec, s[22:23]
	s_cbranch_execz .LBB155_30
.LBB155_11:                             ; =>This Loop Header: Depth=1
                                        ;     Child Loop BB155_14 Depth 2
	v_lshl_add_u64 v[20:21], v[20:21], 0, v[8:9]
	v_cmp_lt_i64_e32 vcc, v[20:21], v[4:5]
	v_mov_b32_e32 v42, s5
	v_mov_b64_e32 v[28:29], v[4:5]
	ds_write_b8 v34, v11 offset:8192
	ds_write_b128 v38, v[0:3]
	ds_write_b128 v38, v[0:3] offset:64
	s_waitcnt lgkmcnt(0)
	s_and_saveexec_b64 s[8:9], vcc
	s_cbranch_execz .LBB155_19
; %bb.12:                               ;   in Loop: Header=BB155_11 Depth=1
	v_lshl_add_u64 v[24:25], v[20:21], 4, s[12:13]
	v_lshl_add_u64 v[26:27], v[20:21], 2, s[16:17]
	s_mov_b64 s[10:11], 0
	v_mov_b32_e32 v42, s5
	v_mov_b64_e32 v[28:29], v[4:5]
	s_branch .LBB155_14
.LBB155_13:                             ;   in Loop: Header=BB155_14 Depth=2
	s_or_b64 exec, exec, s[0:1]
	v_lshl_add_u64 v[20:21], v[20:21], 0, 4
	v_cmp_ge_i64_e64 s[0:1], v[20:21], v[4:5]
	s_xor_b64 s[24:25], vcc, -1
	s_or_b64 s[0:1], s[24:25], s[0:1]
	s_and_b64 s[0:1], exec, s[0:1]
	v_lshl_add_u64 v[24:25], v[24:25], 0, 64
	s_or_b64 s[10:11], s[0:1], s[10:11]
	v_lshl_add_u64 v[26:27], v[26:27], 0, 16
	s_andn2_b64 exec, exec, s[10:11]
	s_cbranch_execz .LBB155_18
.LBB155_14:                             ;   Parent Loop BB155_11 Depth=1
                                        ; =>  This Inner Loop Header: Depth=2
	global_load_dword v10, v[26:27], off
	s_waitcnt vmcnt(0)
	v_subrev_u32_e32 v10, s7, v10
	v_sub_u32_e32 v31, 0, v10
	v_max_i32_e32 v31, v10, v31
	v_mul_hi_u32 v32, v31, v40
	v_mul_lo_u32 v33, v32, s28
	v_sub_u32_e32 v31, v31, v33
	v_add_u32_e32 v43, 1, v32
	v_cmp_le_u32_e32 vcc, s28, v31
	v_subrev_u32_e32 v33, s28, v31
	v_ashrrev_i32_e32 v30, 31, v10
	v_cndmask_b32_e32 v32, v32, v43, vcc
	v_cndmask_b32_e32 v31, v31, v33, vcc
	v_add_u32_e32 v33, 1, v32
	v_cmp_le_u32_e32 vcc, s28, v31
	v_xor_b32_e32 v30, s29, v30
	s_nop 0
	v_cndmask_b32_e32 v31, v32, v33, vcc
	v_xor_b32_e32 v31, v31, v30
	v_sub_u32_e32 v30, v31, v30
	v_ashrrev_i32_e32 v31, 31, v30
	v_cmp_eq_u64_e32 vcc, v[22:23], v[30:31]
	v_cmp_ne_u64_e64 s[0:1], v[22:23], v[30:31]
	v_mov_b64_e32 v[32:33], v[28:29]
	s_and_saveexec_b64 s[24:25], s[0:1]
	s_xor_b64 s[0:1], exec, s[24:25]
; %bb.15:                               ;   in Loop: Header=BB155_14 Depth=2
	v_min_i32_e32 v42, v30, v42
                                        ; implicit-def: $vgpr30
                                        ; implicit-def: $vgpr10
                                        ; implicit-def: $vgpr32_vgpr33
; %bb.16:                               ;   in Loop: Header=BB155_14 Depth=2
	s_or_saveexec_b64 s[0:1], s[0:1]
	v_mov_b64_e32 v[28:29], v[20:21]
	s_xor_b64 exec, exec, s[0:1]
	s_cbranch_execz .LBB155_13
; %bb.17:                               ;   in Loop: Header=BB155_14 Depth=2
	global_load_dwordx4 v[44:47], v[24:25], off
	v_mul_lo_u32 v28, v30, s6
	v_sub_u32_e32 v10, v10, v28
	v_add_lshl_u32 v10, v35, v10, 4
	v_mov_b64_e32 v[28:29], v[32:33]
	ds_write_b8 v34, v41 offset:8192
	s_waitcnt vmcnt(0)
	ds_write2_b64 v10, v[44:45], v[46:47] offset1:1
	s_branch .LBB155_13
.LBB155_18:                             ;   in Loop: Header=BB155_11 Depth=1
	s_or_b64 exec, exec, s[10:11]
.LBB155_19:                             ;   in Loop: Header=BB155_11 Depth=1
	s_or_b64 exec, exec, s[8:9]
	v_mov_b32_dpp v20, v28 row_shr:1 row_mask:0xf bank_mask:0xf
	v_mov_b32_dpp v21, v29 row_shr:1 row_mask:0xf bank_mask:0xf
	v_cmp_lt_i64_e32 vcc, v[20:21], v[28:29]
	s_waitcnt lgkmcnt(0)
	ds_read_u8 v23, v34 offset:8192
	v_cndmask_b32_e32 v21, v29, v21, vcc
	v_cndmask_b32_e32 v20, v28, v20, vcc
	v_mov_b64_e32 v[26:27], 0
	v_mov_b32_dpp v25, v21 row_shr:2 row_mask:0xf bank_mask:0xf
	v_mov_b32_dpp v24, v20 row_shr:2 row_mask:0xf bank_mask:0xf
	v_cmp_lt_i64_e32 vcc, v[24:25], v[20:21]
	s_nop 1
	v_cndmask_b32_e32 v10, v21, v25, vcc
	v_cndmask_b32_e32 v20, v20, v24, vcc
	ds_bpermute_b32 v20, v36, v20
	ds_bpermute_b32 v21, v36, v10
	s_waitcnt lgkmcnt(2)
	v_and_b32_e32 v10, 1, v23
	v_cmp_eq_u32_e32 vcc, 1, v10
	s_and_saveexec_b64 s[0:1], vcc
	s_cbranch_execz .LBB155_10
; %bb.20:                               ;   in Loop: Header=BB155_11 Depth=1
	v_add_u32_e32 v10, s26, v22
	v_lshl_add_u64 v[22:23], v[6:7], 2, s[14:15]
	global_store_dword v[22:23], v10, off
	v_mul_lo_u32 v10, s4, v6
	v_mul_lo_u32 v24, s27, v7
	v_mad_u64_u32 v[22:23], s[8:9], s27, v6, 0
	v_add3_u32 v23, v23, v24, v10
	v_lshlrev_b64 v[22:23], 4, v[22:23]
	v_lshl_add_u64 v[24:25], v[12:13], 0, v[22:23]
	v_lshl_add_u64 v[22:23], v[14:15], 0, v[22:23]
	s_and_saveexec_b64 s[8:9], s[20:21]
	s_cbranch_execz .LBB155_24
; %bb.21:                               ;   in Loop: Header=BB155_11 Depth=1
	s_and_b64 vcc, exec, s[18:19]
	s_cbranch_vccz .LBB155_27
; %bb.22:                               ;   in Loop: Header=BB155_11 Depth=1
	ds_read2_b64 v[26:29], v38 offset1:1
	v_lshl_add_u64 v[30:31], v[16:17], 4, v[24:25]
	s_waitcnt lgkmcnt(0)
	global_store_dwordx4 v[30:31], v[26:29], off
	s_cbranch_execnz .LBB155_24
.LBB155_23:                             ;   in Loop: Header=BB155_11 Depth=1
	ds_read2_b64 v[26:29], v38 offset1:1
	v_lshlrev_b32_e32 v10, 4, v8
	v_lshl_add_u64 v[30:31], v[22:23], 0, v[10:11]
	s_waitcnt lgkmcnt(0)
	global_store_dwordx4 v[30:31], v[26:29], off
.LBB155_24:                             ;   in Loop: Header=BB155_11 Depth=1
	s_or_b64 exec, exec, s[8:9]
	s_nop 0
	v_mov_b64_e32 v[26:27], 1
	s_and_saveexec_b64 s[8:9], s[2:3]
	s_cbranch_execz .LBB155_9
; %bb.25:                               ;   in Loop: Header=BB155_11 Depth=1
	s_andn2_b64 vcc, exec, s[18:19]
	s_cbranch_vccnz .LBB155_28
; %bb.26:                               ;   in Loop: Header=BB155_11 Depth=1
	ds_read2_b64 v[26:29], v39 offset1:1
	v_lshl_add_u64 v[24:25], v[18:19], 4, v[24:25]
	s_mov_b64 s[10:11], 1
	s_waitcnt lgkmcnt(0)
	global_store_dwordx4 v[24:25], v[26:29], off
	s_cbranch_execnz .LBB155_8
	s_branch .LBB155_29
.LBB155_27:                             ;   in Loop: Header=BB155_11 Depth=1
	s_branch .LBB155_23
.LBB155_28:                             ;   in Loop: Header=BB155_11 Depth=1
                                        ; implicit-def: $sgpr10_sgpr11
.LBB155_29:                             ;   in Loop: Header=BB155_11 Depth=1
	ds_read2_b64 v[24:27], v39 offset1:1
	v_lshlrev_b32_e32 v10, 4, v8
	v_lshl_add_u64 v[22:23], v[22:23], 0, v[10:11]
	s_mov_b64 s[10:11], 1
	s_waitcnt lgkmcnt(0)
	global_store_dwordx4 v[22:23], v[24:27], off offset:64
	s_branch .LBB155_8
.LBB155_30:
	s_endpgm
	.section	.rodata,"a",@progbits
	.p2align	6, 0x0
	.amdhsa_kernel _ZN9rocsparseL42csr2bsr_wavefront_per_row_multipass_kernelILj256ELj32ELj8E21rocsparse_complex_numIdEliEEv20rocsparse_direction_T4_S4_S4_S4_S4_21rocsparse_index_base_PKT2_PKT3_PKS4_S5_PS6_PS9_PS4_
		.amdhsa_group_segment_fixed_size 8200
		.amdhsa_private_segment_fixed_size 0
		.amdhsa_kernarg_size 88
		.amdhsa_user_sgpr_count 2
		.amdhsa_user_sgpr_dispatch_ptr 0
		.amdhsa_user_sgpr_queue_ptr 0
		.amdhsa_user_sgpr_kernarg_segment_ptr 1
		.amdhsa_user_sgpr_dispatch_id 0
		.amdhsa_user_sgpr_kernarg_preload_length 0
		.amdhsa_user_sgpr_kernarg_preload_offset 0
		.amdhsa_user_sgpr_private_segment_size 0
		.amdhsa_uses_dynamic_stack 0
		.amdhsa_enable_private_segment 0
		.amdhsa_system_sgpr_workgroup_id_x 1
		.amdhsa_system_sgpr_workgroup_id_y 0
		.amdhsa_system_sgpr_workgroup_id_z 0
		.amdhsa_system_sgpr_workgroup_info 0
		.amdhsa_system_vgpr_workitem_id 0
		.amdhsa_next_free_vgpr 48
		.amdhsa_next_free_sgpr 30
		.amdhsa_accum_offset 48
		.amdhsa_reserve_vcc 1
		.amdhsa_float_round_mode_32 0
		.amdhsa_float_round_mode_16_64 0
		.amdhsa_float_denorm_mode_32 3
		.amdhsa_float_denorm_mode_16_64 3
		.amdhsa_dx10_clamp 1
		.amdhsa_ieee_mode 1
		.amdhsa_fp16_overflow 0
		.amdhsa_tg_split 0
		.amdhsa_exception_fp_ieee_invalid_op 0
		.amdhsa_exception_fp_denorm_src 0
		.amdhsa_exception_fp_ieee_div_zero 0
		.amdhsa_exception_fp_ieee_overflow 0
		.amdhsa_exception_fp_ieee_underflow 0
		.amdhsa_exception_fp_ieee_inexact 0
		.amdhsa_exception_int_div_zero 0
	.end_amdhsa_kernel
	.section	.text._ZN9rocsparseL42csr2bsr_wavefront_per_row_multipass_kernelILj256ELj32ELj8E21rocsparse_complex_numIdEliEEv20rocsparse_direction_T4_S4_S4_S4_S4_21rocsparse_index_base_PKT2_PKT3_PKS4_S5_PS6_PS9_PS4_,"axG",@progbits,_ZN9rocsparseL42csr2bsr_wavefront_per_row_multipass_kernelILj256ELj32ELj8E21rocsparse_complex_numIdEliEEv20rocsparse_direction_T4_S4_S4_S4_S4_21rocsparse_index_base_PKT2_PKT3_PKS4_S5_PS6_PS9_PS4_,comdat
.Lfunc_end155:
	.size	_ZN9rocsparseL42csr2bsr_wavefront_per_row_multipass_kernelILj256ELj32ELj8E21rocsparse_complex_numIdEliEEv20rocsparse_direction_T4_S4_S4_S4_S4_21rocsparse_index_base_PKT2_PKT3_PKS4_S5_PS6_PS9_PS4_, .Lfunc_end155-_ZN9rocsparseL42csr2bsr_wavefront_per_row_multipass_kernelILj256ELj32ELj8E21rocsparse_complex_numIdEliEEv20rocsparse_direction_T4_S4_S4_S4_S4_21rocsparse_index_base_PKT2_PKT3_PKS4_S5_PS6_PS9_PS4_
                                        ; -- End function
	.section	.AMDGPU.csdata,"",@progbits
; Kernel info:
; codeLenInByte = 1452
; NumSgprs: 36
; NumVgprs: 48
; NumAgprs: 0
; TotalNumVgprs: 48
; ScratchSize: 0
; MemoryBound: 0
; FloatMode: 240
; IeeeMode: 1
; LDSByteSize: 8200 bytes/workgroup (compile time only)
; SGPRBlocks: 4
; VGPRBlocks: 5
; NumSGPRsForWavesPerEU: 36
; NumVGPRsForWavesPerEU: 48
; AccumOffset: 48
; Occupancy: 7
; WaveLimiterHint : 0
; COMPUTE_PGM_RSRC2:SCRATCH_EN: 0
; COMPUTE_PGM_RSRC2:USER_SGPR: 2
; COMPUTE_PGM_RSRC2:TRAP_HANDLER: 0
; COMPUTE_PGM_RSRC2:TGID_X_EN: 1
; COMPUTE_PGM_RSRC2:TGID_Y_EN: 0
; COMPUTE_PGM_RSRC2:TGID_Z_EN: 0
; COMPUTE_PGM_RSRC2:TIDIG_COMP_CNT: 0
; COMPUTE_PGM_RSRC3_GFX90A:ACCUM_OFFSET: 11
; COMPUTE_PGM_RSRC3_GFX90A:TG_SPLIT: 0
	.section	.text._ZN9rocsparseL42csr2bsr_wavefront_per_row_multipass_kernelILj256ELj64ELj16E21rocsparse_complex_numIdEliEEv20rocsparse_direction_T4_S4_S4_S4_S4_21rocsparse_index_base_PKT2_PKT3_PKS4_S5_PS6_PS9_PS4_,"axG",@progbits,_ZN9rocsparseL42csr2bsr_wavefront_per_row_multipass_kernelILj256ELj64ELj16E21rocsparse_complex_numIdEliEEv20rocsparse_direction_T4_S4_S4_S4_S4_21rocsparse_index_base_PKT2_PKT3_PKS4_S5_PS6_PS9_PS4_,comdat
	.globl	_ZN9rocsparseL42csr2bsr_wavefront_per_row_multipass_kernelILj256ELj64ELj16E21rocsparse_complex_numIdEliEEv20rocsparse_direction_T4_S4_S4_S4_S4_21rocsparse_index_base_PKT2_PKT3_PKS4_S5_PS6_PS9_PS4_ ; -- Begin function _ZN9rocsparseL42csr2bsr_wavefront_per_row_multipass_kernelILj256ELj64ELj16E21rocsparse_complex_numIdEliEEv20rocsparse_direction_T4_S4_S4_S4_S4_21rocsparse_index_base_PKT2_PKT3_PKS4_S5_PS6_PS9_PS4_
	.p2align	8
	.type	_ZN9rocsparseL42csr2bsr_wavefront_per_row_multipass_kernelILj256ELj64ELj16E21rocsparse_complex_numIdEliEEv20rocsparse_direction_T4_S4_S4_S4_S4_21rocsparse_index_base_PKT2_PKT3_PKS4_S5_PS6_PS9_PS4_,@function
_ZN9rocsparseL42csr2bsr_wavefront_per_row_multipass_kernelILj256ELj64ELj16E21rocsparse_complex_numIdEliEEv20rocsparse_direction_T4_S4_S4_S4_S4_21rocsparse_index_base_PKT2_PKT3_PKS4_S5_PS6_PS9_PS4_: ; @_ZN9rocsparseL42csr2bsr_wavefront_per_row_multipass_kernelILj256ELj64ELj16E21rocsparse_complex_numIdEliEEv20rocsparse_direction_T4_S4_S4_S4_S4_21rocsparse_index_base_PKT2_PKT3_PKS4_S5_PS6_PS9_PS4_
; %bb.0:
	s_load_dwordx2 s[4:5], s[0:1], 0x0
	s_load_dwordx4 s[8:11], s[0:1], 0xc
	s_load_dwordx2 s[6:7], s[0:1], 0x28
	v_lshrrev_b32_e32 v38, 6, v0
	v_bfe_u32 v2, v0, 2, 4
	v_lshl_or_b32 v8, s2, 2, v38
	s_waitcnt lgkmcnt(0)
	v_mad_u64_u32 v[6:7], s[2:3], v8, s10, v[2:3]
	v_cmp_gt_i32_e64 s[2:3], s5, v6
	v_cmp_gt_i32_e32 vcc, s10, v2
	v_mov_b64_e32 v[4:5], 0
	s_and_b64 s[12:13], vcc, s[2:3]
	v_mov_b64_e32 v[24:25], v[4:5]
	s_and_saveexec_b64 s[14:15], s[12:13]
	s_cbranch_execz .LBB156_2
; %bb.1:
	v_ashrrev_i32_e32 v7, 31, v6
	v_lshl_add_u64 v[10:11], v[6:7], 3, s[6:7]
	global_load_dwordx2 v[10:11], v[10:11], off
	s_waitcnt vmcnt(0)
	v_subrev_co_u32_e64 v24, s[2:3], s11, v10
	s_nop 1
	v_subbrev_co_u32_e64 v25, s[2:3], 0, v11, s[2:3]
.LBB156_2:
	s_or_b64 exec, exec, s[14:15]
	s_and_saveexec_b64 s[14:15], s[12:13]
	s_cbranch_execz .LBB156_4
; %bb.3:
	v_ashrrev_i32_e32 v7, 31, v6
	v_lshl_add_u64 v[4:5], v[6:7], 3, s[6:7]
	global_load_dwordx2 v[4:5], v[4:5], off offset:8
	s_waitcnt vmcnt(0)
	v_subrev_co_u32_e64 v4, s[2:3], s11, v4
	s_nop 1
	v_subbrev_co_u32_e64 v5, s[2:3], 0, v5, s[2:3]
.LBB156_4:
	s_or_b64 exec, exec, s[14:15]
	s_load_dword s33, s[0:1], 0x38
	v_cmp_gt_i32_e64 s[2:3], s8, v8
	v_mov_b64_e32 v[6:7], 0
	s_and_saveexec_b64 s[6:7], s[2:3]
	s_cbranch_execz .LBB156_6
; %bb.5:
	s_load_dwordx2 s[2:3], s[0:1], 0x48
	v_ashrrev_i32_e32 v9, 31, v8
	s_waitcnt lgkmcnt(0)
	v_lshl_add_u64 v[6:7], v[8:9], 3, s[2:3]
	global_load_dwordx2 v[6:7], v[6:7], off
	s_waitcnt vmcnt(0)
	v_subrev_co_u32_e64 v6, s[2:3], s33, v6
	s_nop 1
	v_subbrev_co_u32_e64 v7, s[2:3], 0, v7, s[2:3]
.LBB156_6:
	s_or_b64 exec, exec, s[6:7]
	s_cmp_lt_i32 s9, 1
	s_cbranch_scc1 .LBB156_40
; %bb.7:
	s_load_dwordx2 s[16:17], s[0:1], 0x20
	s_load_dwordx2 s[18:19], s[0:1], 0x50
	;; [unrolled: 1-line block ×4, first 2 shown]
	v_and_b32_e32 v8, 3, v0
	v_mbcnt_lo_u32_b32 v0, -1, 0
	v_lshlrev_b32_e32 v10, 4, v2
	v_mbcnt_hi_u32_b32 v0, -1, v0
	s_cmp_lg_u32 s4, 0
	v_lshl_or_b32 v39, v38, 8, v10
	v_lshlrev_b32_e32 v0, 2, v0
	s_cselect_b64 s[22:23], -1, 0
	s_abs_i32 s35, s10
	v_mov_b32_e32 v11, 0
	v_or_b32_e32 v40, 12, v0
	v_or_b32_e32 v41, 0xfc, v0
	v_or_b32_e32 v0, v39, v8
	v_cvt_f32_u32_e32 v1, s35
	s_waitcnt lgkmcnt(0)
	v_lshl_add_u64 v[12:13], s[2:3], 0, v[10:11]
	v_mul_lo_u32 v10, v2, s10
	v_lshlrev_b32_e32 v42, 4, v0
	v_or_b32_e32 v0, 4, v8
	v_lshl_add_u64 v[14:15], v[10:11], 4, s[2:3]
	v_cmp_gt_u32_e64 s[2:3], s10, v0
	v_or_b32_e32 v0, 8, v8
	v_cmp_gt_u32_e64 s[4:5], s10, v0
	v_or_b32_e32 v0, 12, v8
	v_cmp_gt_u32_e64 s[6:7], s10, v0
	v_rcp_iflag_f32_e32 v0, v1
	v_cmp_gt_u32_e64 s[0:1], s10, v8
	v_mul_lo_u32 v16, v8, s10
	s_lshl_b32 s13, s10, 2
	v_mul_f32_e32 v0, 0x4f7ffffe, v0
	v_cvt_u32_f32_e32 v0, v0
	v_add_u32_e32 v18, s13, v16
	s_and_b64 s[24:25], s[0:1], vcc
	s_sub_i32 s0, 0, s35
	s_mov_b32 s12, 0
	v_add_u32_e32 v20, s13, v18
	v_mul_lo_u32 v1, s0, v0
	v_add_u32_e32 v22, s13, v20
	v_mul_hi_u32 v1, v0, v1
	s_mov_b32 s13, s12
	v_add_u32_e32 v46, v0, v1
	s_mov_b32 s14, s12
	s_mov_b32 s15, s12
	v_mov_b64_e32 v[0:1], s[12:13]
	v_cndmask_b32_e64 v10, 0, 1, s[22:23]
	v_mov_b32_e32 v9, v11
	s_mul_hi_u32 s8, s10, s10
	s_mul_i32 s34, s10, s10
	v_or_b32_e32 v43, 64, v42
	v_or_b32_e32 v44, 0x80, v42
	;; [unrolled: 1-line block ×3, first 2 shown]
	v_mov_b32_e32 v17, v11
	v_mov_b32_e32 v19, v11
	;; [unrolled: 1-line block ×4, first 2 shown]
	s_and_b64 s[26:27], vcc, s[2:3]
	s_and_b64 s[4:5], vcc, s[4:5]
	;; [unrolled: 1-line block ×3, first 2 shown]
	s_ashr_i32 s36, s10, 31
	s_mov_b64 s[28:29], 0
	v_mov_b64_e32 v[26:27], 0
	v_mov_b64_e32 v[2:3], s[14:15]
	v_cmp_ne_u32_e64 s[0:1], 1, v10
	v_mov_b32_e32 v47, 1
	v_lshlrev_b32_e32 v10, 4, v8
	s_branch .LBB156_11
.LBB156_8:                              ;   in Loop: Header=BB156_11 Depth=1
	s_nop 0
	v_mov_b64_e32 v[30:31], s[14:15]
.LBB156_9:                              ;   in Loop: Header=BB156_11 Depth=1
	s_or_b64 exec, exec, s[12:13]
.LBB156_10:                             ;   in Loop: Header=BB156_11 Depth=1
	s_or_b64 exec, exec, s[2:3]
	v_mov_b32_dpp v26, v48 row_shr:1 row_mask:0xf bank_mask:0xf
	v_min_i32_e32 v26, v26, v48
	v_lshl_add_u64 v[6:7], v[30:31], 0, v[6:7]
	s_waitcnt lgkmcnt(0)
	v_mov_b32_dpp v27, v26 row_shr:2 row_mask:0xf bank_mask:0xf
	v_min_i32_e32 v26, v27, v26
	s_nop 1
	v_mov_b32_dpp v27, v26 row_shr:4 row_mask:0xf bank_mask:0xe
	v_min_i32_e32 v26, v27, v26
	s_nop 1
	;; [unrolled: 3-line block ×3, first 2 shown]
	v_mov_b32_dpp v27, v26 row_bcast:15 row_mask:0xa bank_mask:0xf
	v_min_i32_e32 v26, v27, v26
	s_nop 1
	v_mov_b32_dpp v27, v26 row_bcast:31 row_mask:0xc bank_mask:0xf
	v_min_i32_e32 v26, v27, v26
	ds_bpermute_b32 v26, v41, v26
	s_waitcnt lgkmcnt(0)
	v_cmp_le_i32_e32 vcc, s9, v26
	v_ashrrev_i32_e32 v27, 31, v26
	s_or_b64 s[28:29], vcc, s[28:29]
	s_andn2_b64 exec, exec, s[28:29]
	s_cbranch_execz .LBB156_40
.LBB156_11:                             ; =>This Loop Header: Depth=1
                                        ;     Child Loop BB156_14 Depth 2
	v_lshl_add_u64 v[24:25], v[24:25], 0, v[8:9]
	v_cmp_lt_i64_e32 vcc, v[24:25], v[4:5]
	v_mov_b32_e32 v48, s9
	v_mov_b64_e32 v[32:33], v[4:5]
	ds_write_b8 v38, v11 offset:16384
	ds_write_b128 v42, v[0:3]
	ds_write_b128 v42, v[0:3] offset:64
	ds_write_b128 v42, v[0:3] offset:128
	;; [unrolled: 1-line block ×3, first 2 shown]
	s_waitcnt lgkmcnt(0)
	s_and_saveexec_b64 s[12:13], vcc
	s_cbranch_execz .LBB156_19
; %bb.12:                               ;   in Loop: Header=BB156_11 Depth=1
	v_lshl_add_u64 v[28:29], v[24:25], 4, s[16:17]
	v_lshl_add_u64 v[30:31], v[24:25], 2, s[20:21]
	s_mov_b64 s[14:15], 0
	v_mov_b32_e32 v48, s9
	v_mov_b64_e32 v[32:33], v[4:5]
	s_branch .LBB156_14
.LBB156_13:                             ;   in Loop: Header=BB156_14 Depth=2
	s_or_b64 exec, exec, s[2:3]
	v_lshl_add_u64 v[24:25], v[24:25], 0, 4
	v_cmp_ge_i64_e64 s[2:3], v[24:25], v[4:5]
	s_xor_b64 s[30:31], vcc, -1
	s_or_b64 s[2:3], s[30:31], s[2:3]
	s_and_b64 s[2:3], exec, s[2:3]
	v_lshl_add_u64 v[28:29], v[28:29], 0, 64
	s_or_b64 s[14:15], s[2:3], s[14:15]
	v_lshl_add_u64 v[30:31], v[30:31], 0, 16
	s_andn2_b64 exec, exec, s[14:15]
	s_cbranch_execz .LBB156_18
.LBB156_14:                             ;   Parent Loop BB156_11 Depth=1
                                        ; =>  This Inner Loop Header: Depth=2
	global_load_dword v34, v[30:31], off
	s_waitcnt vmcnt(0)
	v_subrev_u32_e32 v49, s11, v34
	v_sub_u32_e32 v35, 0, v49
	v_max_i32_e32 v35, v49, v35
	v_mul_hi_u32 v36, v35, v46
	v_mul_lo_u32 v37, v36, s35
	v_sub_u32_e32 v35, v35, v37
	v_add_u32_e32 v50, 1, v36
	v_cmp_le_u32_e32 vcc, s35, v35
	v_subrev_u32_e32 v37, s35, v35
	v_ashrrev_i32_e32 v34, 31, v49
	v_cndmask_b32_e32 v36, v36, v50, vcc
	v_cndmask_b32_e32 v35, v35, v37, vcc
	v_add_u32_e32 v37, 1, v36
	v_cmp_le_u32_e32 vcc, s35, v35
	v_xor_b32_e32 v34, s36, v34
	s_nop 0
	v_cndmask_b32_e32 v35, v36, v37, vcc
	v_xor_b32_e32 v35, v35, v34
	v_sub_u32_e32 v34, v35, v34
	v_ashrrev_i32_e32 v35, 31, v34
	v_cmp_eq_u64_e32 vcc, v[26:27], v[34:35]
	v_cmp_ne_u64_e64 s[2:3], v[26:27], v[34:35]
	v_mov_b64_e32 v[36:37], v[32:33]
	s_and_saveexec_b64 s[30:31], s[2:3]
	s_xor_b64 s[2:3], exec, s[30:31]
; %bb.15:                               ;   in Loop: Header=BB156_14 Depth=2
	v_min_i32_e32 v48, v34, v48
                                        ; implicit-def: $vgpr34
                                        ; implicit-def: $vgpr49
                                        ; implicit-def: $vgpr36_vgpr37
; %bb.16:                               ;   in Loop: Header=BB156_14 Depth=2
	s_or_saveexec_b64 s[2:3], s[2:3]
	v_mov_b64_e32 v[32:33], v[24:25]
	s_xor_b64 exec, exec, s[2:3]
	s_cbranch_execz .LBB156_13
; %bb.17:                               ;   in Loop: Header=BB156_14 Depth=2
	global_load_dwordx4 v[50:53], v[28:29], off
	v_mul_lo_u32 v32, v34, s10
	v_sub_u32_e32 v32, v49, v32
	v_add_lshl_u32 v32, v39, v32, 4
	ds_write_b8 v38, v47 offset:16384
	s_waitcnt vmcnt(0)
	ds_write2_b64 v32, v[50:51], v[52:53] offset1:1
	v_mov_b64_e32 v[32:33], v[36:37]
	s_branch .LBB156_13
.LBB156_18:                             ;   in Loop: Header=BB156_11 Depth=1
	s_or_b64 exec, exec, s[14:15]
.LBB156_19:                             ;   in Loop: Header=BB156_11 Depth=1
	s_or_b64 exec, exec, s[12:13]
	v_mov_b32_dpp v24, v32 row_shr:1 row_mask:0xf bank_mask:0xf
	v_mov_b32_dpp v25, v33 row_shr:1 row_mask:0xf bank_mask:0xf
	v_cmp_lt_i64_e32 vcc, v[24:25], v[32:33]
	s_waitcnt lgkmcnt(0)
	ds_read_u8 v27, v38 offset:16384
	v_cndmask_b32_e32 v25, v33, v25, vcc
	v_cndmask_b32_e32 v24, v32, v24, vcc
	v_mov_b64_e32 v[30:31], 0
	v_mov_b32_dpp v29, v25 row_shr:2 row_mask:0xf bank_mask:0xf
	v_mov_b32_dpp v28, v24 row_shr:2 row_mask:0xf bank_mask:0xf
	v_cmp_lt_i64_e32 vcc, v[28:29], v[24:25]
	s_waitcnt lgkmcnt(0)
	v_and_b32_e32 v27, 1, v27
	v_cndmask_b32_e32 v25, v25, v29, vcc
	v_cndmask_b32_e32 v24, v24, v28, vcc
	ds_bpermute_b32 v24, v40, v24
	ds_bpermute_b32 v25, v40, v25
	v_cmp_eq_u32_e32 vcc, 1, v27
	s_and_saveexec_b64 s[2:3], vcc
	s_cbranch_execz .LBB156_10
; %bb.20:                               ;   in Loop: Header=BB156_11 Depth=1
	v_add_u32_e32 v28, s33, v26
	v_lshl_add_u64 v[26:27], v[6:7], 2, s[18:19]
	global_store_dword v[26:27], v28, off
	v_mul_lo_u32 v28, s8, v6
	v_mul_lo_u32 v29, s34, v7
	v_mad_u64_u32 v[26:27], s[12:13], s34, v6, 0
	v_add3_u32 v27, v27, v29, v28
	v_lshlrev_b64 v[26:27], 4, v[26:27]
	v_lshl_add_u64 v[28:29], v[12:13], 0, v[26:27]
	v_lshl_add_u64 v[26:27], v[14:15], 0, v[26:27]
	s_and_saveexec_b64 s[12:13], s[24:25]
	s_cbranch_execz .LBB156_24
; %bb.21:                               ;   in Loop: Header=BB156_11 Depth=1
	s_and_b64 vcc, exec, s[22:23]
	s_cbranch_vccz .LBB156_35
; %bb.22:                               ;   in Loop: Header=BB156_11 Depth=1
	ds_read2_b64 v[30:33], v42 offset1:1
	v_lshl_add_u64 v[34:35], v[16:17], 4, v[28:29]
	s_waitcnt lgkmcnt(0)
	global_store_dwordx4 v[34:35], v[30:33], off
	s_cbranch_execnz .LBB156_24
.LBB156_23:                             ;   in Loop: Header=BB156_11 Depth=1
	ds_read2_b64 v[30:33], v42 offset1:1
	v_lshl_add_u64 v[34:35], v[26:27], 0, v[10:11]
	s_waitcnt lgkmcnt(0)
	global_store_dwordx4 v[34:35], v[30:33], off
.LBB156_24:                             ;   in Loop: Header=BB156_11 Depth=1
	s_or_b64 exec, exec, s[12:13]
	s_and_saveexec_b64 s[12:13], s[26:27]
	s_cbranch_execz .LBB156_28
; %bb.25:                               ;   in Loop: Header=BB156_11 Depth=1
	s_and_b64 vcc, exec, s[0:1]
	s_cbranch_vccnz .LBB156_36
; %bb.26:                               ;   in Loop: Header=BB156_11 Depth=1
	ds_read2_b64 v[30:33], v43 offset1:1
	v_lshl_add_u64 v[34:35], v[18:19], 4, v[28:29]
	s_waitcnt lgkmcnt(0)
	global_store_dwordx4 v[34:35], v[30:33], off
	s_cbranch_execnz .LBB156_28
.LBB156_27:                             ;   in Loop: Header=BB156_11 Depth=1
	ds_read2_b64 v[30:33], v43 offset1:1
	v_lshl_add_u64 v[34:35], v[26:27], 0, v[10:11]
	s_waitcnt lgkmcnt(0)
	global_store_dwordx4 v[34:35], v[30:33], off offset:64
.LBB156_28:                             ;   in Loop: Header=BB156_11 Depth=1
	s_or_b64 exec, exec, s[12:13]
	s_and_saveexec_b64 s[12:13], s[4:5]
	s_cbranch_execz .LBB156_32
; %bb.29:                               ;   in Loop: Header=BB156_11 Depth=1
	s_and_b64 vcc, exec, s[0:1]
	s_cbranch_vccnz .LBB156_37
; %bb.30:                               ;   in Loop: Header=BB156_11 Depth=1
	ds_read2_b64 v[30:33], v44 offset1:1
	v_lshl_add_u64 v[34:35], v[20:21], 4, v[28:29]
	s_waitcnt lgkmcnt(0)
	global_store_dwordx4 v[34:35], v[30:33], off
	s_cbranch_execnz .LBB156_32
.LBB156_31:                             ;   in Loop: Header=BB156_11 Depth=1
	ds_read2_b64 v[30:33], v44 offset1:1
	v_lshl_add_u64 v[34:35], v[26:27], 0, v[10:11]
	s_waitcnt lgkmcnt(0)
	global_store_dwordx4 v[34:35], v[30:33], off offset:128
.LBB156_32:                             ;   in Loop: Header=BB156_11 Depth=1
	s_or_b64 exec, exec, s[12:13]
	s_nop 0
	v_mov_b64_e32 v[30:31], 1
	s_and_saveexec_b64 s[12:13], s[6:7]
	s_cbranch_execz .LBB156_9
; %bb.33:                               ;   in Loop: Header=BB156_11 Depth=1
	s_and_b64 vcc, exec, s[0:1]
	s_cbranch_vccnz .LBB156_38
; %bb.34:                               ;   in Loop: Header=BB156_11 Depth=1
	ds_read2_b64 v[30:33], v45 offset1:1
	v_lshl_add_u64 v[28:29], v[22:23], 4, v[28:29]
	s_mov_b64 s[14:15], 1
	s_waitcnt lgkmcnt(0)
	global_store_dwordx4 v[28:29], v[30:33], off
	s_cbranch_execnz .LBB156_8
	s_branch .LBB156_39
.LBB156_35:                             ;   in Loop: Header=BB156_11 Depth=1
	s_branch .LBB156_23
.LBB156_36:                             ;   in Loop: Header=BB156_11 Depth=1
	s_branch .LBB156_27
.LBB156_37:                             ;   in Loop: Header=BB156_11 Depth=1
	s_branch .LBB156_31
.LBB156_38:                             ;   in Loop: Header=BB156_11 Depth=1
                                        ; implicit-def: $sgpr14_sgpr15
.LBB156_39:                             ;   in Loop: Header=BB156_11 Depth=1
	ds_read2_b64 v[28:31], v45 offset1:1
	v_lshl_add_u64 v[26:27], v[26:27], 0, v[10:11]
	s_mov_b64 s[14:15], 1
	s_waitcnt lgkmcnt(0)
	global_store_dwordx4 v[26:27], v[28:31], off offset:192
	s_branch .LBB156_8
.LBB156_40:
	s_endpgm
	.section	.rodata,"a",@progbits
	.p2align	6, 0x0
	.amdhsa_kernel _ZN9rocsparseL42csr2bsr_wavefront_per_row_multipass_kernelILj256ELj64ELj16E21rocsparse_complex_numIdEliEEv20rocsparse_direction_T4_S4_S4_S4_S4_21rocsparse_index_base_PKT2_PKT3_PKS4_S5_PS6_PS9_PS4_
		.amdhsa_group_segment_fixed_size 16392
		.amdhsa_private_segment_fixed_size 0
		.amdhsa_kernarg_size 88
		.amdhsa_user_sgpr_count 2
		.amdhsa_user_sgpr_dispatch_ptr 0
		.amdhsa_user_sgpr_queue_ptr 0
		.amdhsa_user_sgpr_kernarg_segment_ptr 1
		.amdhsa_user_sgpr_dispatch_id 0
		.amdhsa_user_sgpr_kernarg_preload_length 0
		.amdhsa_user_sgpr_kernarg_preload_offset 0
		.amdhsa_user_sgpr_private_segment_size 0
		.amdhsa_uses_dynamic_stack 0
		.amdhsa_enable_private_segment 0
		.amdhsa_system_sgpr_workgroup_id_x 1
		.amdhsa_system_sgpr_workgroup_id_y 0
		.amdhsa_system_sgpr_workgroup_id_z 0
		.amdhsa_system_sgpr_workgroup_info 0
		.amdhsa_system_vgpr_workitem_id 0
		.amdhsa_next_free_vgpr 54
		.amdhsa_next_free_sgpr 37
		.amdhsa_accum_offset 56
		.amdhsa_reserve_vcc 1
		.amdhsa_float_round_mode_32 0
		.amdhsa_float_round_mode_16_64 0
		.amdhsa_float_denorm_mode_32 3
		.amdhsa_float_denorm_mode_16_64 3
		.amdhsa_dx10_clamp 1
		.amdhsa_ieee_mode 1
		.amdhsa_fp16_overflow 0
		.amdhsa_tg_split 0
		.amdhsa_exception_fp_ieee_invalid_op 0
		.amdhsa_exception_fp_denorm_src 0
		.amdhsa_exception_fp_ieee_div_zero 0
		.amdhsa_exception_fp_ieee_overflow 0
		.amdhsa_exception_fp_ieee_underflow 0
		.amdhsa_exception_fp_ieee_inexact 0
		.amdhsa_exception_int_div_zero 0
	.end_amdhsa_kernel
	.section	.text._ZN9rocsparseL42csr2bsr_wavefront_per_row_multipass_kernelILj256ELj64ELj16E21rocsparse_complex_numIdEliEEv20rocsparse_direction_T4_S4_S4_S4_S4_21rocsparse_index_base_PKT2_PKT3_PKS4_S5_PS6_PS9_PS4_,"axG",@progbits,_ZN9rocsparseL42csr2bsr_wavefront_per_row_multipass_kernelILj256ELj64ELj16E21rocsparse_complex_numIdEliEEv20rocsparse_direction_T4_S4_S4_S4_S4_21rocsparse_index_base_PKT2_PKT3_PKS4_S5_PS6_PS9_PS4_,comdat
.Lfunc_end156:
	.size	_ZN9rocsparseL42csr2bsr_wavefront_per_row_multipass_kernelILj256ELj64ELj16E21rocsparse_complex_numIdEliEEv20rocsparse_direction_T4_S4_S4_S4_S4_21rocsparse_index_base_PKT2_PKT3_PKS4_S5_PS6_PS9_PS4_, .Lfunc_end156-_ZN9rocsparseL42csr2bsr_wavefront_per_row_multipass_kernelILj256ELj64ELj16E21rocsparse_complex_numIdEliEEv20rocsparse_direction_T4_S4_S4_S4_S4_21rocsparse_index_base_PKT2_PKT3_PKS4_S5_PS6_PS9_PS4_
                                        ; -- End function
	.section	.AMDGPU.csdata,"",@progbits
; Kernel info:
; codeLenInByte = 1720
; NumSgprs: 43
; NumVgprs: 54
; NumAgprs: 0
; TotalNumVgprs: 54
; ScratchSize: 0
; MemoryBound: 0
; FloatMode: 240
; IeeeMode: 1
; LDSByteSize: 16392 bytes/workgroup (compile time only)
; SGPRBlocks: 5
; VGPRBlocks: 6
; NumSGPRsForWavesPerEU: 43
; NumVGPRsForWavesPerEU: 54
; AccumOffset: 56
; Occupancy: 3
; WaveLimiterHint : 0
; COMPUTE_PGM_RSRC2:SCRATCH_EN: 0
; COMPUTE_PGM_RSRC2:USER_SGPR: 2
; COMPUTE_PGM_RSRC2:TRAP_HANDLER: 0
; COMPUTE_PGM_RSRC2:TGID_X_EN: 1
; COMPUTE_PGM_RSRC2:TGID_Y_EN: 0
; COMPUTE_PGM_RSRC2:TGID_Z_EN: 0
; COMPUTE_PGM_RSRC2:TIDIG_COMP_CNT: 0
; COMPUTE_PGM_RSRC3_GFX90A:ACCUM_OFFSET: 13
; COMPUTE_PGM_RSRC3_GFX90A:TG_SPLIT: 0
	.section	.text._ZN9rocsparseL42csr2bsr_wavefront_per_row_multipass_kernelILj256ELj32ELj16E21rocsparse_complex_numIdEliEEv20rocsparse_direction_T4_S4_S4_S4_S4_21rocsparse_index_base_PKT2_PKT3_PKS4_S5_PS6_PS9_PS4_,"axG",@progbits,_ZN9rocsparseL42csr2bsr_wavefront_per_row_multipass_kernelILj256ELj32ELj16E21rocsparse_complex_numIdEliEEv20rocsparse_direction_T4_S4_S4_S4_S4_21rocsparse_index_base_PKT2_PKT3_PKS4_S5_PS6_PS9_PS4_,comdat
	.globl	_ZN9rocsparseL42csr2bsr_wavefront_per_row_multipass_kernelILj256ELj32ELj16E21rocsparse_complex_numIdEliEEv20rocsparse_direction_T4_S4_S4_S4_S4_21rocsparse_index_base_PKT2_PKT3_PKS4_S5_PS6_PS9_PS4_ ; -- Begin function _ZN9rocsparseL42csr2bsr_wavefront_per_row_multipass_kernelILj256ELj32ELj16E21rocsparse_complex_numIdEliEEv20rocsparse_direction_T4_S4_S4_S4_S4_21rocsparse_index_base_PKT2_PKT3_PKS4_S5_PS6_PS9_PS4_
	.p2align	8
	.type	_ZN9rocsparseL42csr2bsr_wavefront_per_row_multipass_kernelILj256ELj32ELj16E21rocsparse_complex_numIdEliEEv20rocsparse_direction_T4_S4_S4_S4_S4_21rocsparse_index_base_PKT2_PKT3_PKS4_S5_PS6_PS9_PS4_,@function
_ZN9rocsparseL42csr2bsr_wavefront_per_row_multipass_kernelILj256ELj32ELj16E21rocsparse_complex_numIdEliEEv20rocsparse_direction_T4_S4_S4_S4_S4_21rocsparse_index_base_PKT2_PKT3_PKS4_S5_PS6_PS9_PS4_: ; @_ZN9rocsparseL42csr2bsr_wavefront_per_row_multipass_kernelILj256ELj32ELj16E21rocsparse_complex_numIdEliEEv20rocsparse_direction_T4_S4_S4_S4_S4_21rocsparse_index_base_PKT2_PKT3_PKS4_S5_PS6_PS9_PS4_
; %bb.0:
	s_load_dwordx2 s[4:5], s[0:1], 0x0
	s_load_dwordx4 s[16:19], s[0:1], 0xc
	s_load_dwordx2 s[6:7], s[0:1], 0x28
	v_lshrrev_b32_e32 v46, 5, v0
	v_bfe_u32 v2, v0, 1, 4
	v_lshl_or_b32 v8, s2, 3, v46
	s_waitcnt lgkmcnt(0)
	v_mad_u64_u32 v[6:7], s[2:3], v8, s18, v[2:3]
	v_cmp_gt_i32_e64 s[2:3], s5, v6
	v_cmp_gt_i32_e32 vcc, s18, v2
	v_mov_b64_e32 v[4:5], 0
	s_and_b64 s[8:9], vcc, s[2:3]
	v_mov_b64_e32 v[32:33], v[4:5]
	s_and_saveexec_b64 s[10:11], s[8:9]
	s_cbranch_execz .LBB157_2
; %bb.1:
	v_ashrrev_i32_e32 v7, 31, v6
	v_lshl_add_u64 v[10:11], v[6:7], 3, s[6:7]
	global_load_dwordx2 v[10:11], v[10:11], off
	s_waitcnt vmcnt(0)
	v_subrev_co_u32_e64 v32, s[2:3], s19, v10
	s_nop 1
	v_subbrev_co_u32_e64 v33, s[2:3], 0, v11, s[2:3]
.LBB157_2:
	s_or_b64 exec, exec, s[10:11]
	s_and_saveexec_b64 s[10:11], s[8:9]
	s_cbranch_execz .LBB157_4
; %bb.3:
	v_ashrrev_i32_e32 v7, 31, v6
	v_lshl_add_u64 v[4:5], v[6:7], 3, s[6:7]
	global_load_dwordx2 v[4:5], v[4:5], off offset:8
	s_waitcnt vmcnt(0)
	v_subrev_co_u32_e64 v4, s[2:3], s19, v4
	s_nop 1
	v_subbrev_co_u32_e64 v5, s[2:3], 0, v5, s[2:3]
.LBB157_4:
	s_or_b64 exec, exec, s[10:11]
	s_load_dword s33, s[0:1], 0x38
	v_cmp_gt_i32_e64 s[2:3], s16, v8
	v_mov_b64_e32 v[6:7], 0
	s_and_saveexec_b64 s[6:7], s[2:3]
	s_cbranch_execz .LBB157_6
; %bb.5:
	s_load_dwordx2 s[2:3], s[0:1], 0x48
	v_ashrrev_i32_e32 v9, 31, v8
	s_waitcnt lgkmcnt(0)
	v_lshl_add_u64 v[6:7], v[8:9], 3, s[2:3]
	global_load_dwordx2 v[6:7], v[6:7], off
	s_waitcnt vmcnt(0)
	v_subrev_co_u32_e64 v6, s[2:3], s33, v6
	s_nop 1
	v_subbrev_co_u32_e64 v7, s[2:3], 0, v7, s[2:3]
.LBB157_6:
	s_or_b64 exec, exec, s[6:7]
	s_cmp_lt_i32 s17, 1
	s_cbranch_scc1 .LBB157_60
; %bb.7:
	s_load_dwordx2 s[24:25], s[0:1], 0x20
	s_load_dwordx2 s[26:27], s[0:1], 0x50
	s_load_dwordx2 s[2:3], s[0:1], 0x40
	s_load_dwordx2 s[28:29], s[0:1], 0x30
	v_and_b32_e32 v8, 1, v0
	v_mbcnt_lo_u32_b32 v0, -1, 0
	v_lshlrev_b32_e32 v10, 4, v2
	v_mbcnt_hi_u32_b32 v0, -1, v0
	v_lshl_or_b32 v47, v46, 8, v10
	v_lshlrev_b32_e32 v0, 2, v0
	v_mov_b32_e32 v11, 0
	v_or_b32_e32 v48, 4, v0
	v_or_b32_e32 v49, 0x7c, v0
	;; [unrolled: 1-line block ×3, first 2 shown]
	s_waitcnt lgkmcnt(0)
	v_lshl_add_u64 v[12:13], s[2:3], 0, v[10:11]
	v_mul_lo_u32 v10, v2, s18
	v_lshlrev_b32_e32 v50, 4, v0
	v_or_b32_e32 v0, 2, v8
	v_lshl_add_u64 v[14:15], v[10:11], 4, s[2:3]
	v_cmp_gt_u32_e64 s[2:3], s18, v0
	v_or_b32_e32 v0, 4, v8
	s_cmp_lg_u32 s4, 0
	v_cmp_gt_u32_e64 s[4:5], s18, v0
	v_or_b32_e32 v0, 6, v8
	v_cmp_gt_u32_e64 s[6:7], s18, v0
	v_or_b32_e32 v0, 8, v8
	;; [unrolled: 2-line block ×4, first 2 shown]
	s_cselect_b64 s[30:31], -1, 0
	v_cmp_gt_u32_e64 s[12:13], s18, v0
	v_or_b32_e32 v0, 14, v8
	s_abs_i32 s43, s18
	v_cmp_gt_u32_e64 s[14:15], s18, v0
	v_cvt_f32_u32_e32 v0, s43
	v_mul_lo_u32 v16, v8, s18
	s_lshl_b32 s21, s18, 1
	v_add_u32_e32 v18, s21, v16
	v_rcp_iflag_f32_e32 v0, v0
	v_add_u32_e32 v20, s21, v18
	v_add_u32_e32 v22, s21, v20
	v_cmp_gt_u32_e64 s[0:1], s18, v8
	v_mul_f32_e32 v0, 0x4f7ffffe, v0
	v_cvt_u32_f32_e32 v0, v0
	v_add_u32_e32 v24, s21, v22
	v_add_u32_e32 v26, s21, v24
	s_and_b64 s[34:35], s[0:1], vcc
	s_sub_i32 s0, 0, s43
	s_mov_b32 s20, 0
	v_add_u32_e32 v28, s21, v26
	v_mul_lo_u32 v1, s0, v0
	v_add_u32_e32 v30, s21, v28
	v_mul_hi_u32 v1, v0, v1
	s_mov_b32 s21, s20
	v_add_u32_e32 v58, v0, v1
	s_mov_b32 s22, s20
	s_mov_b32 s23, s20
	v_mov_b64_e32 v[0:1], s[20:21]
	v_cndmask_b32_e64 v10, 0, 1, s[30:31]
	v_mov_b32_e32 v9, v11
	s_mul_hi_u32 s16, s18, s18
	s_mul_i32 s42, s18, s18
	v_or_b32_e32 v51, 32, v50
	v_or_b32_e32 v52, 64, v50
	;; [unrolled: 1-line block ×7, first 2 shown]
	v_mov_b32_e32 v17, v11
	v_mov_b32_e32 v19, v11
	;; [unrolled: 1-line block ×8, first 2 shown]
	s_and_b64 s[36:37], vcc, s[2:3]
	s_and_b64 s[4:5], vcc, s[4:5]
	;; [unrolled: 1-line block ×7, first 2 shown]
	s_ashr_i32 s44, s18, 31
	s_mov_b64 s[38:39], 0
	v_mov_b64_e32 v[34:35], 0
	v_mov_b64_e32 v[2:3], s[22:23]
	v_cmp_ne_u32_e64 s[0:1], 1, v10
	v_mov_b32_e32 v59, 1
	v_lshlrev_b32_e32 v10, 4, v8
	s_branch .LBB157_11
.LBB157_8:                              ;   in Loop: Header=BB157_11 Depth=1
	s_nop 0
	v_mov_b64_e32 v[38:39], s[22:23]
.LBB157_9:                              ;   in Loop: Header=BB157_11 Depth=1
	s_or_b64 exec, exec, s[20:21]
.LBB157_10:                             ;   in Loop: Header=BB157_11 Depth=1
	s_or_b64 exec, exec, s[2:3]
	v_mov_b32_dpp v34, v60 row_shr:1 row_mask:0xf bank_mask:0xf
	v_min_i32_e32 v34, v34, v60
	v_lshl_add_u64 v[6:7], v[38:39], 0, v[6:7]
	s_waitcnt lgkmcnt(0)
	v_mov_b32_dpp v35, v34 row_shr:2 row_mask:0xf bank_mask:0xf
	v_min_i32_e32 v34, v35, v34
	s_nop 1
	v_mov_b32_dpp v35, v34 row_shr:4 row_mask:0xf bank_mask:0xe
	v_min_i32_e32 v34, v35, v34
	s_nop 1
	;; [unrolled: 3-line block ×3, first 2 shown]
	v_mov_b32_dpp v35, v34 row_bcast:15 row_mask:0xa bank_mask:0xf
	v_min_i32_e32 v34, v35, v34
	ds_bpermute_b32 v34, v49, v34
	s_waitcnt lgkmcnt(0)
	v_cmp_le_i32_e32 vcc, s17, v34
	v_ashrrev_i32_e32 v35, 31, v34
	s_or_b64 s[38:39], vcc, s[38:39]
	s_andn2_b64 exec, exec, s[38:39]
	s_cbranch_execz .LBB157_60
.LBB157_11:                             ; =>This Loop Header: Depth=1
                                        ;     Child Loop BB157_14 Depth 2
	v_lshl_add_u64 v[32:33], v[32:33], 0, v[8:9]
	v_cmp_lt_i64_e32 vcc, v[32:33], v[4:5]
	v_mov_b32_e32 v60, s17
	v_mov_b64_e32 v[40:41], v[4:5]
	ds_write_b8 v46, v11 offset:32768
	ds_write_b128 v50, v[0:3]
	ds_write_b128 v50, v[0:3] offset:32
	ds_write_b128 v50, v[0:3] offset:64
	ds_write_b128 v50, v[0:3] offset:96
	ds_write_b128 v50, v[0:3] offset:128
	ds_write_b128 v50, v[0:3] offset:160
	ds_write_b128 v50, v[0:3] offset:192
	ds_write_b128 v50, v[0:3] offset:224
	s_waitcnt lgkmcnt(0)
	s_and_saveexec_b64 s[20:21], vcc
	s_cbranch_execz .LBB157_19
; %bb.12:                               ;   in Loop: Header=BB157_11 Depth=1
	v_lshl_add_u64 v[36:37], v[32:33], 4, s[24:25]
	v_lshl_add_u64 v[38:39], v[32:33], 2, s[28:29]
	s_mov_b64 s[22:23], 0
	v_mov_b32_e32 v60, s17
	v_mov_b64_e32 v[40:41], v[4:5]
	s_branch .LBB157_14
.LBB157_13:                             ;   in Loop: Header=BB157_14 Depth=2
	s_or_b64 exec, exec, s[2:3]
	v_lshl_add_u64 v[32:33], v[32:33], 0, 2
	v_cmp_ge_i64_e64 s[2:3], v[32:33], v[4:5]
	s_xor_b64 s[40:41], vcc, -1
	s_or_b64 s[2:3], s[40:41], s[2:3]
	s_and_b64 s[2:3], exec, s[2:3]
	v_lshl_add_u64 v[36:37], v[36:37], 0, 32
	s_or_b64 s[22:23], s[2:3], s[22:23]
	v_lshl_add_u64 v[38:39], v[38:39], 0, 8
	s_andn2_b64 exec, exec, s[22:23]
	s_cbranch_execz .LBB157_18
.LBB157_14:                             ;   Parent Loop BB157_11 Depth=1
                                        ; =>  This Inner Loop Header: Depth=2
	global_load_dword v42, v[38:39], off
	s_waitcnt vmcnt(0)
	v_subrev_u32_e32 v61, s19, v42
	v_sub_u32_e32 v43, 0, v61
	v_max_i32_e32 v43, v61, v43
	v_mul_hi_u32 v44, v43, v58
	v_mul_lo_u32 v45, v44, s43
	v_sub_u32_e32 v43, v43, v45
	v_add_u32_e32 v62, 1, v44
	v_cmp_le_u32_e32 vcc, s43, v43
	v_subrev_u32_e32 v45, s43, v43
	v_ashrrev_i32_e32 v42, 31, v61
	v_cndmask_b32_e32 v44, v44, v62, vcc
	v_cndmask_b32_e32 v43, v43, v45, vcc
	v_add_u32_e32 v45, 1, v44
	v_cmp_le_u32_e32 vcc, s43, v43
	v_xor_b32_e32 v42, s44, v42
	s_nop 0
	v_cndmask_b32_e32 v43, v44, v45, vcc
	v_xor_b32_e32 v43, v43, v42
	v_sub_u32_e32 v42, v43, v42
	v_ashrrev_i32_e32 v43, 31, v42
	v_cmp_eq_u64_e32 vcc, v[34:35], v[42:43]
	v_cmp_ne_u64_e64 s[2:3], v[34:35], v[42:43]
	v_mov_b64_e32 v[44:45], v[40:41]
	s_and_saveexec_b64 s[40:41], s[2:3]
	s_xor_b64 s[2:3], exec, s[40:41]
; %bb.15:                               ;   in Loop: Header=BB157_14 Depth=2
	v_min_i32_e32 v60, v42, v60
                                        ; implicit-def: $vgpr42
                                        ; implicit-def: $vgpr61
                                        ; implicit-def: $vgpr44_vgpr45
; %bb.16:                               ;   in Loop: Header=BB157_14 Depth=2
	s_or_saveexec_b64 s[2:3], s[2:3]
	v_mov_b64_e32 v[40:41], v[32:33]
	s_xor_b64 exec, exec, s[2:3]
	s_cbranch_execz .LBB157_13
; %bb.17:                               ;   in Loop: Header=BB157_14 Depth=2
	global_load_dwordx4 v[62:65], v[36:37], off
	v_mul_lo_u32 v40, v42, s18
	v_sub_u32_e32 v40, v61, v40
	v_add_lshl_u32 v40, v47, v40, 4
	ds_write_b8 v46, v59 offset:32768
	s_waitcnt vmcnt(0)
	ds_write2_b64 v40, v[62:63], v[64:65] offset1:1
	v_mov_b64_e32 v[40:41], v[44:45]
	s_branch .LBB157_13
.LBB157_18:                             ;   in Loop: Header=BB157_11 Depth=1
	s_or_b64 exec, exec, s[22:23]
.LBB157_19:                             ;   in Loop: Header=BB157_11 Depth=1
	s_or_b64 exec, exec, s[20:21]
	v_mov_b32_dpp v32, v40 row_shr:1 row_mask:0xf bank_mask:0xf
	v_mov_b32_dpp v33, v41 row_shr:1 row_mask:0xf bank_mask:0xf
	s_waitcnt lgkmcnt(0)
	v_cmp_lt_i64_e32 vcc, v[32:33], v[40:41]
	ds_read_u8 v35, v46 offset:32768
	v_mov_b64_e32 v[38:39], 0
	v_cndmask_b32_e32 v33, v41, v33, vcc
	v_cndmask_b32_e32 v32, v40, v32, vcc
	ds_bpermute_b32 v32, v48, v32
	ds_bpermute_b32 v33, v48, v33
	s_waitcnt lgkmcnt(2)
	v_and_b32_e32 v35, 1, v35
	v_cmp_eq_u32_e32 vcc, 1, v35
	s_and_saveexec_b64 s[2:3], vcc
	s_cbranch_execz .LBB157_10
; %bb.20:                               ;   in Loop: Header=BB157_11 Depth=1
	v_add_u32_e32 v36, s33, v34
	v_lshl_add_u64 v[34:35], v[6:7], 2, s[26:27]
	global_store_dword v[34:35], v36, off
	v_mul_lo_u32 v36, s16, v6
	v_mul_lo_u32 v37, s42, v7
	v_mad_u64_u32 v[34:35], s[20:21], s42, v6, 0
	v_add3_u32 v35, v35, v37, v36
	v_lshlrev_b64 v[34:35], 4, v[34:35]
	v_lshl_add_u64 v[36:37], v[12:13], 0, v[34:35]
	v_lshl_add_u64 v[34:35], v[14:15], 0, v[34:35]
	s_and_saveexec_b64 s[20:21], s[34:35]
	s_cbranch_execz .LBB157_24
; %bb.21:                               ;   in Loop: Header=BB157_11 Depth=1
	s_and_b64 vcc, exec, s[30:31]
	s_cbranch_vccz .LBB157_51
; %bb.22:                               ;   in Loop: Header=BB157_11 Depth=1
	ds_read2_b64 v[38:41], v50 offset1:1
	v_lshl_add_u64 v[42:43], v[16:17], 4, v[36:37]
	s_waitcnt lgkmcnt(0)
	global_store_dwordx4 v[42:43], v[38:41], off
	s_cbranch_execnz .LBB157_24
.LBB157_23:                             ;   in Loop: Header=BB157_11 Depth=1
	ds_read2_b64 v[38:41], v50 offset1:1
	v_lshl_add_u64 v[42:43], v[34:35], 0, v[10:11]
	s_waitcnt lgkmcnt(0)
	global_store_dwordx4 v[42:43], v[38:41], off
.LBB157_24:                             ;   in Loop: Header=BB157_11 Depth=1
	s_or_b64 exec, exec, s[20:21]
	s_and_saveexec_b64 s[20:21], s[36:37]
	s_cbranch_execz .LBB157_28
; %bb.25:                               ;   in Loop: Header=BB157_11 Depth=1
	s_and_b64 vcc, exec, s[0:1]
	s_cbranch_vccnz .LBB157_52
; %bb.26:                               ;   in Loop: Header=BB157_11 Depth=1
	ds_read2_b64 v[38:41], v51 offset1:1
	v_lshl_add_u64 v[42:43], v[18:19], 4, v[36:37]
	s_waitcnt lgkmcnt(0)
	global_store_dwordx4 v[42:43], v[38:41], off
	s_cbranch_execnz .LBB157_28
.LBB157_27:                             ;   in Loop: Header=BB157_11 Depth=1
	ds_read2_b64 v[38:41], v51 offset1:1
	v_lshl_add_u64 v[42:43], v[34:35], 0, v[10:11]
	s_waitcnt lgkmcnt(0)
	global_store_dwordx4 v[42:43], v[38:41], off offset:32
.LBB157_28:                             ;   in Loop: Header=BB157_11 Depth=1
	s_or_b64 exec, exec, s[20:21]
	s_and_saveexec_b64 s[20:21], s[4:5]
	s_cbranch_execz .LBB157_32
; %bb.29:                               ;   in Loop: Header=BB157_11 Depth=1
	s_and_b64 vcc, exec, s[0:1]
	s_cbranch_vccnz .LBB157_53
; %bb.30:                               ;   in Loop: Header=BB157_11 Depth=1
	ds_read2_b64 v[38:41], v52 offset1:1
	v_lshl_add_u64 v[42:43], v[20:21], 4, v[36:37]
	s_waitcnt lgkmcnt(0)
	global_store_dwordx4 v[42:43], v[38:41], off
	s_cbranch_execnz .LBB157_32
.LBB157_31:                             ;   in Loop: Header=BB157_11 Depth=1
	ds_read2_b64 v[38:41], v52 offset1:1
	v_lshl_add_u64 v[42:43], v[34:35], 0, v[10:11]
	s_waitcnt lgkmcnt(0)
	global_store_dwordx4 v[42:43], v[38:41], off offset:64
.LBB157_32:                             ;   in Loop: Header=BB157_11 Depth=1
	s_or_b64 exec, exec, s[20:21]
	s_and_saveexec_b64 s[20:21], s[6:7]
	s_cbranch_execz .LBB157_36
; %bb.33:                               ;   in Loop: Header=BB157_11 Depth=1
	s_and_b64 vcc, exec, s[0:1]
	s_cbranch_vccnz .LBB157_54
; %bb.34:                               ;   in Loop: Header=BB157_11 Depth=1
	ds_read2_b64 v[38:41], v53 offset1:1
	v_lshl_add_u64 v[42:43], v[22:23], 4, v[36:37]
	s_waitcnt lgkmcnt(0)
	global_store_dwordx4 v[42:43], v[38:41], off
	s_cbranch_execnz .LBB157_36
.LBB157_35:                             ;   in Loop: Header=BB157_11 Depth=1
	ds_read2_b64 v[38:41], v53 offset1:1
	v_lshl_add_u64 v[42:43], v[34:35], 0, v[10:11]
	s_waitcnt lgkmcnt(0)
	global_store_dwordx4 v[42:43], v[38:41], off offset:96
.LBB157_36:                             ;   in Loop: Header=BB157_11 Depth=1
	s_or_b64 exec, exec, s[20:21]
	s_and_saveexec_b64 s[20:21], s[8:9]
	s_cbranch_execz .LBB157_40
; %bb.37:                               ;   in Loop: Header=BB157_11 Depth=1
	s_and_b64 vcc, exec, s[0:1]
	s_cbranch_vccnz .LBB157_55
; %bb.38:                               ;   in Loop: Header=BB157_11 Depth=1
	ds_read2_b64 v[38:41], v54 offset1:1
	v_lshl_add_u64 v[42:43], v[24:25], 4, v[36:37]
	s_waitcnt lgkmcnt(0)
	global_store_dwordx4 v[42:43], v[38:41], off
	s_cbranch_execnz .LBB157_40
.LBB157_39:                             ;   in Loop: Header=BB157_11 Depth=1
	ds_read2_b64 v[38:41], v54 offset1:1
	v_lshl_add_u64 v[42:43], v[34:35], 0, v[10:11]
	s_waitcnt lgkmcnt(0)
	global_store_dwordx4 v[42:43], v[38:41], off offset:128
.LBB157_40:                             ;   in Loop: Header=BB157_11 Depth=1
	s_or_b64 exec, exec, s[20:21]
	s_and_saveexec_b64 s[20:21], s[10:11]
	s_cbranch_execz .LBB157_44
; %bb.41:                               ;   in Loop: Header=BB157_11 Depth=1
	s_and_b64 vcc, exec, s[0:1]
	s_cbranch_vccnz .LBB157_56
; %bb.42:                               ;   in Loop: Header=BB157_11 Depth=1
	ds_read2_b64 v[38:41], v55 offset1:1
	v_lshl_add_u64 v[42:43], v[26:27], 4, v[36:37]
	s_waitcnt lgkmcnt(0)
	global_store_dwordx4 v[42:43], v[38:41], off
	s_cbranch_execnz .LBB157_44
.LBB157_43:                             ;   in Loop: Header=BB157_11 Depth=1
	ds_read2_b64 v[38:41], v55 offset1:1
	v_lshl_add_u64 v[42:43], v[34:35], 0, v[10:11]
	s_waitcnt lgkmcnt(0)
	global_store_dwordx4 v[42:43], v[38:41], off offset:160
.LBB157_44:                             ;   in Loop: Header=BB157_11 Depth=1
	s_or_b64 exec, exec, s[20:21]
	s_and_saveexec_b64 s[20:21], s[12:13]
	s_cbranch_execz .LBB157_48
; %bb.45:                               ;   in Loop: Header=BB157_11 Depth=1
	s_and_b64 vcc, exec, s[0:1]
	s_cbranch_vccnz .LBB157_57
; %bb.46:                               ;   in Loop: Header=BB157_11 Depth=1
	ds_read2_b64 v[38:41], v56 offset1:1
	v_lshl_add_u64 v[42:43], v[28:29], 4, v[36:37]
	s_waitcnt lgkmcnt(0)
	global_store_dwordx4 v[42:43], v[38:41], off
	s_cbranch_execnz .LBB157_48
.LBB157_47:                             ;   in Loop: Header=BB157_11 Depth=1
	ds_read2_b64 v[38:41], v56 offset1:1
	v_lshl_add_u64 v[42:43], v[34:35], 0, v[10:11]
	s_waitcnt lgkmcnt(0)
	global_store_dwordx4 v[42:43], v[38:41], off offset:192
.LBB157_48:                             ;   in Loop: Header=BB157_11 Depth=1
	s_or_b64 exec, exec, s[20:21]
	s_nop 0
	v_mov_b64_e32 v[38:39], 1
	s_and_saveexec_b64 s[20:21], s[14:15]
	s_cbranch_execz .LBB157_9
; %bb.49:                               ;   in Loop: Header=BB157_11 Depth=1
	s_and_b64 vcc, exec, s[0:1]
	s_cbranch_vccnz .LBB157_58
; %bb.50:                               ;   in Loop: Header=BB157_11 Depth=1
	ds_read2_b64 v[38:41], v57 offset1:1
	v_lshl_add_u64 v[36:37], v[30:31], 4, v[36:37]
	s_mov_b64 s[22:23], 1
	s_waitcnt lgkmcnt(0)
	global_store_dwordx4 v[36:37], v[38:41], off
	s_cbranch_execnz .LBB157_8
	s_branch .LBB157_59
.LBB157_51:                             ;   in Loop: Header=BB157_11 Depth=1
	s_branch .LBB157_23
.LBB157_52:                             ;   in Loop: Header=BB157_11 Depth=1
	s_branch .LBB157_27
.LBB157_53:                             ;   in Loop: Header=BB157_11 Depth=1
	s_branch .LBB157_31
.LBB157_54:                             ;   in Loop: Header=BB157_11 Depth=1
	s_branch .LBB157_35
.LBB157_55:                             ;   in Loop: Header=BB157_11 Depth=1
	s_branch .LBB157_39
.LBB157_56:                             ;   in Loop: Header=BB157_11 Depth=1
	s_branch .LBB157_43
.LBB157_57:                             ;   in Loop: Header=BB157_11 Depth=1
	s_branch .LBB157_47
.LBB157_58:                             ;   in Loop: Header=BB157_11 Depth=1
                                        ; implicit-def: $sgpr22_sgpr23
.LBB157_59:                             ;   in Loop: Header=BB157_11 Depth=1
	ds_read2_b64 v[36:39], v57 offset1:1
	v_lshl_add_u64 v[34:35], v[34:35], 0, v[10:11]
	s_mov_b64 s[22:23], 1
	s_waitcnt lgkmcnt(0)
	global_store_dwordx4 v[34:35], v[36:39], off offset:224
	s_branch .LBB157_8
.LBB157_60:
	s_endpgm
	.section	.rodata,"a",@progbits
	.p2align	6, 0x0
	.amdhsa_kernel _ZN9rocsparseL42csr2bsr_wavefront_per_row_multipass_kernelILj256ELj32ELj16E21rocsparse_complex_numIdEliEEv20rocsparse_direction_T4_S4_S4_S4_S4_21rocsparse_index_base_PKT2_PKT3_PKS4_S5_PS6_PS9_PS4_
		.amdhsa_group_segment_fixed_size 32776
		.amdhsa_private_segment_fixed_size 0
		.amdhsa_kernarg_size 88
		.amdhsa_user_sgpr_count 2
		.amdhsa_user_sgpr_dispatch_ptr 0
		.amdhsa_user_sgpr_queue_ptr 0
		.amdhsa_user_sgpr_kernarg_segment_ptr 1
		.amdhsa_user_sgpr_dispatch_id 0
		.amdhsa_user_sgpr_kernarg_preload_length 0
		.amdhsa_user_sgpr_kernarg_preload_offset 0
		.amdhsa_user_sgpr_private_segment_size 0
		.amdhsa_uses_dynamic_stack 0
		.amdhsa_enable_private_segment 0
		.amdhsa_system_sgpr_workgroup_id_x 1
		.amdhsa_system_sgpr_workgroup_id_y 0
		.amdhsa_system_sgpr_workgroup_id_z 0
		.amdhsa_system_sgpr_workgroup_info 0
		.amdhsa_system_vgpr_workitem_id 0
		.amdhsa_next_free_vgpr 66
		.amdhsa_next_free_sgpr 45
		.amdhsa_accum_offset 68
		.amdhsa_reserve_vcc 1
		.amdhsa_float_round_mode_32 0
		.amdhsa_float_round_mode_16_64 0
		.amdhsa_float_denorm_mode_32 3
		.amdhsa_float_denorm_mode_16_64 3
		.amdhsa_dx10_clamp 1
		.amdhsa_ieee_mode 1
		.amdhsa_fp16_overflow 0
		.amdhsa_tg_split 0
		.amdhsa_exception_fp_ieee_invalid_op 0
		.amdhsa_exception_fp_denorm_src 0
		.amdhsa_exception_fp_ieee_div_zero 0
		.amdhsa_exception_fp_ieee_overflow 0
		.amdhsa_exception_fp_ieee_underflow 0
		.amdhsa_exception_fp_ieee_inexact 0
		.amdhsa_exception_int_div_zero 0
	.end_amdhsa_kernel
	.section	.text._ZN9rocsparseL42csr2bsr_wavefront_per_row_multipass_kernelILj256ELj32ELj16E21rocsparse_complex_numIdEliEEv20rocsparse_direction_T4_S4_S4_S4_S4_21rocsparse_index_base_PKT2_PKT3_PKS4_S5_PS6_PS9_PS4_,"axG",@progbits,_ZN9rocsparseL42csr2bsr_wavefront_per_row_multipass_kernelILj256ELj32ELj16E21rocsparse_complex_numIdEliEEv20rocsparse_direction_T4_S4_S4_S4_S4_21rocsparse_index_base_PKT2_PKT3_PKS4_S5_PS6_PS9_PS4_,comdat
.Lfunc_end157:
	.size	_ZN9rocsparseL42csr2bsr_wavefront_per_row_multipass_kernelILj256ELj32ELj16E21rocsparse_complex_numIdEliEEv20rocsparse_direction_T4_S4_S4_S4_S4_21rocsparse_index_base_PKT2_PKT3_PKS4_S5_PS6_PS9_PS4_, .Lfunc_end157-_ZN9rocsparseL42csr2bsr_wavefront_per_row_multipass_kernelILj256ELj32ELj16E21rocsparse_complex_numIdEliEEv20rocsparse_direction_T4_S4_S4_S4_S4_21rocsparse_index_base_PKT2_PKT3_PKS4_S5_PS6_PS9_PS4_
                                        ; -- End function
	.section	.AMDGPU.csdata,"",@progbits
; Kernel info:
; codeLenInByte = 2168
; NumSgprs: 51
; NumVgprs: 66
; NumAgprs: 0
; TotalNumVgprs: 66
; ScratchSize: 0
; MemoryBound: 0
; FloatMode: 240
; IeeeMode: 1
; LDSByteSize: 32776 bytes/workgroup (compile time only)
; SGPRBlocks: 6
; VGPRBlocks: 8
; NumSGPRsForWavesPerEU: 51
; NumVGPRsForWavesPerEU: 66
; AccumOffset: 68
; Occupancy: 1
; WaveLimiterHint : 0
; COMPUTE_PGM_RSRC2:SCRATCH_EN: 0
; COMPUTE_PGM_RSRC2:USER_SGPR: 2
; COMPUTE_PGM_RSRC2:TRAP_HANDLER: 0
; COMPUTE_PGM_RSRC2:TGID_X_EN: 1
; COMPUTE_PGM_RSRC2:TGID_Y_EN: 0
; COMPUTE_PGM_RSRC2:TGID_Z_EN: 0
; COMPUTE_PGM_RSRC2:TIDIG_COMP_CNT: 0
; COMPUTE_PGM_RSRC3_GFX90A:ACCUM_OFFSET: 16
; COMPUTE_PGM_RSRC3_GFX90A:TG_SPLIT: 0
	.section	.text._ZN9rocsparseL38csr2bsr_block_per_row_multipass_kernelILj256ELj32E21rocsparse_complex_numIdEliEEv20rocsparse_direction_T3_S4_S4_S4_S4_21rocsparse_index_base_PKT1_PKT2_PKS4_S5_PS6_PS9_PS4_,"axG",@progbits,_ZN9rocsparseL38csr2bsr_block_per_row_multipass_kernelILj256ELj32E21rocsparse_complex_numIdEliEEv20rocsparse_direction_T3_S4_S4_S4_S4_21rocsparse_index_base_PKT1_PKT2_PKS4_S5_PS6_PS9_PS4_,comdat
	.globl	_ZN9rocsparseL38csr2bsr_block_per_row_multipass_kernelILj256ELj32E21rocsparse_complex_numIdEliEEv20rocsparse_direction_T3_S4_S4_S4_S4_21rocsparse_index_base_PKT1_PKT2_PKS4_S5_PS6_PS9_PS4_ ; -- Begin function _ZN9rocsparseL38csr2bsr_block_per_row_multipass_kernelILj256ELj32E21rocsparse_complex_numIdEliEEv20rocsparse_direction_T3_S4_S4_S4_S4_21rocsparse_index_base_PKT1_PKT2_PKS4_S5_PS6_PS9_PS4_
	.p2align	8
	.type	_ZN9rocsparseL38csr2bsr_block_per_row_multipass_kernelILj256ELj32E21rocsparse_complex_numIdEliEEv20rocsparse_direction_T3_S4_S4_S4_S4_21rocsparse_index_base_PKT1_PKT2_PKS4_S5_PS6_PS9_PS4_,@function
_ZN9rocsparseL38csr2bsr_block_per_row_multipass_kernelILj256ELj32E21rocsparse_complex_numIdEliEEv20rocsparse_direction_T3_S4_S4_S4_S4_21rocsparse_index_base_PKT1_PKT2_PKS4_S5_PS6_PS9_PS4_: ; @_ZN9rocsparseL38csr2bsr_block_per_row_multipass_kernelILj256ELj32E21rocsparse_complex_numIdEliEEv20rocsparse_direction_T3_S4_S4_S4_S4_21rocsparse_index_base_PKT1_PKT2_PKS4_S5_PS6_PS9_PS4_
; %bb.0:
	s_load_dwordx4 s[20:23], s[0:1], 0x10
	s_load_dwordx2 s[6:7], s[0:1], 0x0
	s_load_dwordx2 s[8:9], s[0:1], 0x28
	v_lshrrev_b32_e32 v1, 3, v0
	v_mov_b64_e32 v[4:5], 0
	s_waitcnt lgkmcnt(0)
	s_mul_i32 s3, s2, s21
	v_add_u32_e32 v2, s3, v1
	v_cmp_gt_i32_e64 s[4:5], s7, v2
	v_cmp_gt_i32_e32 vcc, s21, v1
	s_and_b64 s[10:11], vcc, s[4:5]
	v_mov_b64_e32 v[20:21], v[4:5]
	s_and_saveexec_b64 s[12:13], s[10:11]
	s_cbranch_execnz .LBB158_3
; %bb.1:
	s_or_b64 exec, exec, s[12:13]
	s_and_saveexec_b64 s[12:13], s[10:11]
	s_cbranch_execnz .LBB158_4
.LBB158_2:
	s_or_b64 exec, exec, s[12:13]
	s_cmp_lt_i32 s20, 1
	s_cbranch_scc0 .LBB158_5
	s_branch .LBB158_41
.LBB158_3:
	v_ashrrev_i32_e32 v3, 31, v2
	v_lshl_add_u64 v[6:7], v[2:3], 3, s[8:9]
	global_load_dwordx2 v[6:7], v[6:7], off
	s_waitcnt vmcnt(0)
	v_subrev_co_u32_e64 v20, s[4:5], s22, v6
	s_nop 1
	v_subbrev_co_u32_e64 v21, s[4:5], 0, v7, s[4:5]
	s_or_b64 exec, exec, s[12:13]
	s_and_saveexec_b64 s[12:13], s[10:11]
	s_cbranch_execz .LBB158_2
.LBB158_4:
	v_ashrrev_i32_e32 v3, 31, v2
	v_lshl_add_u64 v[2:3], v[2:3], 3, s[8:9]
	global_load_dwordx2 v[2:3], v[2:3], off offset:8
	s_waitcnt vmcnt(0)
	v_subrev_co_u32_e64 v4, s[4:5], s22, v2
	s_nop 1
	v_subbrev_co_u32_e64 v5, s[4:5], 0, v3, s[4:5]
	s_or_b64 exec, exec, s[12:13]
	s_cmp_lt_i32 s20, 1
	s_cbranch_scc1 .LBB158_41
.LBB158_5:
	s_load_dwordx4 s[8:11], s[0:1], 0x40
	s_load_dwordx2 s[28:29], s[0:1], 0x50
	s_load_dword s23, s[0:1], 0x38
	s_ashr_i32 s3, s2, 31
	s_lshl_b64 s[2:3], s[2:3], 3
	s_waitcnt lgkmcnt(0)
	s_add_u32 s2, s10, s2
	s_addc_u32 s3, s11, s3
	s_load_dwordx2 s[4:5], s[2:3], 0x0
	s_load_dwordx2 s[30:31], s[0:1], 0x20
	s_load_dwordx2 s[34:35], s[0:1], 0x30
	v_mbcnt_lo_u32_b32 v2, -1, 0
	v_mov_b32_e32 v7, 0
	v_mbcnt_hi_u32_b32 v2, -1, v2
	s_waitcnt lgkmcnt(0)
	s_sub_u32 s36, s4, s23
	v_lshl_or_b32 v35, v2, 2, 28
	v_lshlrev_b32_e32 v2, 4, v1
	v_mov_b32_e32 v3, v7
	v_and_b32_e32 v6, 7, v0
	s_subb_u32 s37, s5, 0
	v_lshlrev_b32_e32 v34, 5, v1
	v_lshl_add_u64 v[8:9], s[8:9], 0, v[2:3]
	v_mul_lo_u32 v2, v1, s21
	s_movk_i32 s2, 0x80
	s_cmp_eq_u32 s6, 0
	v_lshl_add_u64 v[2:3], v[2:3], 4, s[8:9]
	v_lshlrev_b32_e32 v36, 2, v0
	v_cmp_gt_u32_e64 s[2:3], s2, v0
	v_cmp_gt_u32_e64 s[4:5], 64, v0
	;; [unrolled: 1-line block ×7, first 2 shown]
	v_cmp_eq_u32_e64 s[16:17], 0, v0
	v_or_b32_e32 v0, v34, v6
	v_lshlrev_b32_e32 v37, 4, v0
	v_cmp_gt_u32_e64 s[18:19], s21, v6
	v_or_b32_e32 v0, 8, v6
	s_cselect_b64 s[0:1], -1, 0
	s_and_b64 s[38:39], vcc, s[18:19]
	v_cmp_gt_u32_e64 s[18:19], s21, v0
	v_or_b32_e32 v0, 16, v6
	s_abs_i32 s53, s21
	s_and_b64 s[40:41], vcc, s[18:19]
	v_cmp_gt_u32_e64 s[18:19], s21, v0
	v_cvt_f32_u32_e32 v0, s53
	v_or_b32_e32 v1, 24, v6
	v_mul_lo_u32 v12, v6, s21
	s_lshl_b32 s25, s21, 3
	v_rcp_iflag_f32_e32 v0, v0
	s_and_b64 s[42:43], vcc, s[18:19]
	v_cmp_gt_u32_e64 s[18:19], s21, v1
	v_add_u32_e32 v14, s25, v12
	v_mul_f32_e32 v0, 0x4f7ffffe, v0
	v_cvt_u32_f32_e32 v0, v0
	s_and_b64 s[44:45], vcc, s[18:19]
	s_sub_i32 s18, 0, s53
	s_mov_b32 s24, 0
	v_add_u32_e32 v16, s25, v14
	v_mul_lo_u32 v1, s18, v0
	v_lshlrev_b32_e32 v10, 4, v6
	v_mov_b32_e32 v11, v7
	v_add_u32_e32 v18, s25, v16
	v_mul_hi_u32 v1, v0, v1
	s_mov_b32 s25, s24
	v_lshl_add_u64 v[10:11], v[2:3], 0, v[10:11]
	v_add_u32_e32 v41, v0, v1
	s_mov_b32 s26, s24
	s_mov_b32 s27, s24
	v_mov_b64_e32 v[0:1], s[24:25]
	s_mul_hi_u32 s33, s21, s21
	s_mul_i32 s52, s21, s21
	v_or_b32_e32 v38, 0x80, v37
	v_or_b32_e32 v39, 0x100, v37
	;; [unrolled: 1-line block ×3, first 2 shown]
	v_mov_b32_e32 v13, v7
	v_mov_b32_e32 v15, v7
	;; [unrolled: 1-line block ×4, first 2 shown]
	s_ashr_i32 s54, s21, 31
	v_mov_b64_e32 v[22:23], 0
	v_mov_b64_e32 v[2:3], s[26:27]
	s_mov_b64 s[24:25], 0x80
	s_mov_b64 s[26:27], 0x100
	;; [unrolled: 1-line block ×3, first 2 shown]
	v_mov_b32_e32 v42, 1
	s_branch .LBB158_7
.LBB158_6:                              ;   in Loop: Header=BB158_7 Depth=1
	s_or_b64 exec, exec, s[48:49]
	s_waitcnt lgkmcnt(0)
	s_barrier
	ds_read_b32 v22, v7
	s_add_u32 s36, s18, s36
	s_addc_u32 s37, s19, s37
	s_waitcnt lgkmcnt(0)
	s_barrier
	v_cmp_gt_i32_e32 vcc, s20, v22
	v_ashrrev_i32_e32 v23, 31, v22
	s_cbranch_vccz .LBB158_41
.LBB158_7:                              ; =>This Loop Header: Depth=1
                                        ;     Child Loop BB158_10 Depth 2
	v_lshl_add_u64 v[20:21], v[20:21], 0, v[6:7]
	v_cmp_lt_i64_e32 vcc, v[20:21], v[4:5]
	v_mov_b32_e32 v43, s20
	v_mov_b64_e32 v[28:29], v[4:5]
	ds_write_b8 v7, v7 offset:16384
	ds_write_b128 v37, v[0:3]
	ds_write_b128 v37, v[0:3] offset:128
	ds_write_b128 v37, v[0:3] offset:256
	;; [unrolled: 1-line block ×3, first 2 shown]
	s_waitcnt lgkmcnt(0)
	s_barrier
	s_and_saveexec_b64 s[48:49], vcc
	s_cbranch_execz .LBB158_15
; %bb.8:                                ;   in Loop: Header=BB158_7 Depth=1
	v_lshl_add_u64 v[24:25], v[20:21], 4, s[30:31]
	v_lshl_add_u64 v[26:27], v[20:21], 2, s[34:35]
	s_mov_b64 s[50:51], 0
	v_mov_b32_e32 v43, s20
	v_mov_b64_e32 v[28:29], v[4:5]
	s_branch .LBB158_10
.LBB158_9:                              ;   in Loop: Header=BB158_10 Depth=2
	s_or_b64 exec, exec, s[18:19]
	v_lshl_add_u64 v[20:21], v[20:21], 0, 8
	v_cmp_ge_i64_e64 s[18:19], v[20:21], v[4:5]
	s_xor_b64 s[56:57], vcc, -1
	s_or_b64 s[18:19], s[56:57], s[18:19]
	s_and_b64 s[18:19], exec, s[18:19]
	v_lshl_add_u64 v[24:25], v[24:25], 0, s[24:25]
	s_or_b64 s[50:51], s[18:19], s[50:51]
	v_lshl_add_u64 v[26:27], v[26:27], 0, 32
	s_andn2_b64 exec, exec, s[50:51]
	s_cbranch_execz .LBB158_14
.LBB158_10:                             ;   Parent Loop BB158_7 Depth=1
                                        ; =>  This Inner Loop Header: Depth=2
	global_load_dword v30, v[26:27], off
	s_waitcnt vmcnt(0)
	v_subrev_u32_e32 v44, s22, v30
	v_sub_u32_e32 v31, 0, v44
	v_max_i32_e32 v31, v44, v31
	v_mul_hi_u32 v32, v31, v41
	v_mul_lo_u32 v33, v32, s53
	v_sub_u32_e32 v31, v31, v33
	v_add_u32_e32 v45, 1, v32
	v_cmp_le_u32_e32 vcc, s53, v31
	v_subrev_u32_e32 v33, s53, v31
	v_ashrrev_i32_e32 v30, 31, v44
	v_cndmask_b32_e32 v32, v32, v45, vcc
	v_cndmask_b32_e32 v31, v31, v33, vcc
	v_add_u32_e32 v33, 1, v32
	v_cmp_le_u32_e32 vcc, s53, v31
	v_xor_b32_e32 v30, s54, v30
	s_nop 0
	v_cndmask_b32_e32 v31, v32, v33, vcc
	v_xor_b32_e32 v31, v31, v30
	v_sub_u32_e32 v30, v31, v30
	v_ashrrev_i32_e32 v31, 31, v30
	v_cmp_eq_u64_e32 vcc, v[22:23], v[30:31]
	v_cmp_ne_u64_e64 s[18:19], v[22:23], v[30:31]
	v_mov_b64_e32 v[32:33], v[28:29]
	s_and_saveexec_b64 s[56:57], s[18:19]
	s_xor_b64 s[18:19], exec, s[56:57]
; %bb.11:                               ;   in Loop: Header=BB158_10 Depth=2
	v_min_i32_e32 v43, v30, v43
                                        ; implicit-def: $vgpr30
                                        ; implicit-def: $vgpr44
                                        ; implicit-def: $vgpr32_vgpr33
; %bb.12:                               ;   in Loop: Header=BB158_10 Depth=2
	s_or_saveexec_b64 s[18:19], s[18:19]
	v_mov_b64_e32 v[28:29], v[20:21]
	s_xor_b64 exec, exec, s[18:19]
	s_cbranch_execz .LBB158_9
; %bb.13:                               ;   in Loop: Header=BB158_10 Depth=2
	global_load_dwordx4 v[46:49], v[24:25], off
	v_mul_lo_u32 v28, v30, s21
	v_sub_u32_e32 v28, v44, v28
	v_add_lshl_u32 v28, v28, v34, 4
	ds_write_b8 v7, v42 offset:16384
	s_waitcnt vmcnt(0)
	ds_write2_b64 v28, v[46:47], v[48:49] offset1:1
	v_mov_b64_e32 v[28:29], v[32:33]
	s_branch .LBB158_9
.LBB158_14:                             ;   in Loop: Header=BB158_7 Depth=1
	s_or_b64 exec, exec, s[50:51]
.LBB158_15:                             ;   in Loop: Header=BB158_7 Depth=1
	s_or_b64 exec, exec, s[48:49]
	v_mov_b32_dpp v20, v28 row_shr:1 row_mask:0xf bank_mask:0xf
	v_mov_b32_dpp v21, v29 row_shr:1 row_mask:0xf bank_mask:0xf
	v_cmp_lt_i64_e32 vcc, v[20:21], v[28:29]
	s_waitcnt lgkmcnt(0)
	s_barrier
	v_cndmask_b32_e32 v21, v29, v21, vcc
	v_cndmask_b32_e32 v20, v28, v20, vcc
	s_nop 0
	v_mov_b32_dpp v25, v21 row_shr:2 row_mask:0xf bank_mask:0xf
	v_mov_b32_dpp v24, v20 row_shr:2 row_mask:0xf bank_mask:0xf
	v_cmp_lt_i64_e32 vcc, v[24:25], v[20:21]
	ds_read_u8 v23, v7 offset:16384
	s_mov_b64 s[18:19], 0
	v_cndmask_b32_e32 v21, v21, v25, vcc
	v_cndmask_b32_e32 v20, v20, v24, vcc
	s_nop 0
	v_mov_b32_dpp v25, v21 row_shr:4 row_mask:0xf bank_mask:0xe
	v_mov_b32_dpp v24, v20 row_shr:4 row_mask:0xf bank_mask:0xe
	v_cmp_lt_i64_e32 vcc, v[24:25], v[20:21]
	s_nop 1
	v_cndmask_b32_e32 v21, v21, v25, vcc
	v_cndmask_b32_e32 v20, v20, v24, vcc
	ds_bpermute_b32 v20, v35, v20
	ds_bpermute_b32 v21, v35, v21
	s_waitcnt lgkmcnt(2)
	v_cmp_eq_u32_e32 vcc, 0, v23
	s_cbranch_vccnz .LBB158_22
; %bb.16:                               ;   in Loop: Header=BB158_7 Depth=1
	s_lshl_b64 s[18:19], s[36:37], 2
	s_add_u32 s18, s28, s18
	v_add_u32_e32 v22, s23, v22
	s_addc_u32 s19, s29, s19
	global_store_dword v7, v22, s[18:19]
	s_mul_i32 s18, s52, s37
	s_mul_hi_u32 s19, s52, s36
	s_add_i32 s18, s19, s18
	s_mul_i32 s19, s33, s36
	s_add_i32 s19, s18, s19
	s_mul_i32 s18, s52, s36
	s_lshl_b64 s[18:19], s[18:19], 4
	v_lshl_add_u64 v[22:23], v[8:9], 0, s[18:19]
	v_lshl_add_u64 v[24:25], v[10:11], 0, s[18:19]
	s_and_saveexec_b64 s[18:19], s[38:39]
	s_cbranch_execnz .LBB158_38
; %bb.17:                               ;   in Loop: Header=BB158_7 Depth=1
	s_or_b64 exec, exec, s[18:19]
	s_and_saveexec_b64 s[18:19], s[40:41]
	s_cbranch_execnz .LBB158_39
.LBB158_18:                             ;   in Loop: Header=BB158_7 Depth=1
	s_or_b64 exec, exec, s[18:19]
	s_and_saveexec_b64 s[18:19], s[42:43]
	s_cbranch_execnz .LBB158_40
.LBB158_19:                             ;   in Loop: Header=BB158_7 Depth=1
	s_or_b64 exec, exec, s[18:19]
	s_and_saveexec_b64 s[18:19], s[44:45]
	s_cbranch_execz .LBB158_21
.LBB158_20:                             ;   in Loop: Header=BB158_7 Depth=1
	ds_read2_b64 v[26:29], v40 offset1:1
	v_lshl_add_u64 v[24:25], v[24:25], 0, s[46:47]
	v_lshl_add_u64 v[22:23], v[18:19], 4, v[22:23]
	v_cndmask_b32_e64 v23, v23, v25, s[0:1]
	v_cndmask_b32_e64 v22, v22, v24, s[0:1]
	s_waitcnt lgkmcnt(0)
	global_store_dwordx4 v[22:23], v[26:29], off
.LBB158_21:                             ;   in Loop: Header=BB158_7 Depth=1
	s_or_b64 exec, exec, s[18:19]
	s_mov_b64 s[18:19], 1
.LBB158_22:                             ;   in Loop: Header=BB158_7 Depth=1
	s_waitcnt lgkmcnt(0)
	s_barrier
	ds_write_b32 v36, v43
	s_waitcnt lgkmcnt(0)
	s_barrier
	s_and_saveexec_b64 s[48:49], s[2:3]
	s_cbranch_execz .LBB158_24
; %bb.23:                               ;   in Loop: Header=BB158_7 Depth=1
	ds_read2st64_b32 v[22:23], v36 offset1:2
	s_waitcnt lgkmcnt(0)
	v_min_i32_e32 v22, v23, v22
	ds_write_b32 v36, v22
.LBB158_24:                             ;   in Loop: Header=BB158_7 Depth=1
	s_or_b64 exec, exec, s[48:49]
	s_waitcnt lgkmcnt(0)
	s_barrier
	s_and_saveexec_b64 s[48:49], s[4:5]
	s_cbranch_execz .LBB158_26
; %bb.25:                               ;   in Loop: Header=BB158_7 Depth=1
	ds_read2st64_b32 v[22:23], v36 offset1:1
	s_waitcnt lgkmcnt(0)
	v_min_i32_e32 v22, v23, v22
	ds_write_b32 v36, v22
.LBB158_26:                             ;   in Loop: Header=BB158_7 Depth=1
	s_or_b64 exec, exec, s[48:49]
	s_waitcnt lgkmcnt(0)
	s_barrier
	s_and_saveexec_b64 s[48:49], s[6:7]
	s_cbranch_execz .LBB158_28
; %bb.27:                               ;   in Loop: Header=BB158_7 Depth=1
	ds_read2_b32 v[22:23], v36 offset1:32
	s_waitcnt lgkmcnt(0)
	v_min_i32_e32 v22, v23, v22
	ds_write_b32 v36, v22
.LBB158_28:                             ;   in Loop: Header=BB158_7 Depth=1
	s_or_b64 exec, exec, s[48:49]
	s_waitcnt lgkmcnt(0)
	s_barrier
	s_and_saveexec_b64 s[48:49], s[8:9]
	s_cbranch_execz .LBB158_30
; %bb.29:                               ;   in Loop: Header=BB158_7 Depth=1
	ds_read2_b32 v[22:23], v36 offset1:16
	s_waitcnt lgkmcnt(0)
	v_min_i32_e32 v22, v23, v22
	ds_write_b32 v36, v22
.LBB158_30:                             ;   in Loop: Header=BB158_7 Depth=1
	;; [unrolled: 11-line block ×5, first 2 shown]
	s_or_b64 exec, exec, s[48:49]
	s_waitcnt lgkmcnt(0)
	s_barrier
	s_and_saveexec_b64 s[48:49], s[16:17]
	s_cbranch_execz .LBB158_6
; %bb.37:                               ;   in Loop: Header=BB158_7 Depth=1
	ds_read_b64 v[22:23], v7
	s_waitcnt lgkmcnt(0)
	v_min_i32_e32 v22, v23, v22
	ds_write_b32 v7, v22
	s_branch .LBB158_6
.LBB158_38:                             ;   in Loop: Header=BB158_7 Depth=1
	ds_read2_b64 v[26:29], v37 offset1:1
	v_lshl_add_u64 v[30:31], v[12:13], 4, v[22:23]
	v_cndmask_b32_e64 v31, v31, v25, s[0:1]
	v_cndmask_b32_e64 v30, v30, v24, s[0:1]
	s_waitcnt lgkmcnt(0)
	global_store_dwordx4 v[30:31], v[26:29], off
	s_or_b64 exec, exec, s[18:19]
	s_and_saveexec_b64 s[18:19], s[40:41]
	s_cbranch_execz .LBB158_18
.LBB158_39:                             ;   in Loop: Header=BB158_7 Depth=1
	ds_read2_b64 v[26:29], v38 offset1:1
	v_lshl_add_u64 v[30:31], v[24:25], 0, s[24:25]
	v_lshl_add_u64 v[32:33], v[14:15], 4, v[22:23]
	v_cndmask_b32_e64 v31, v33, v31, s[0:1]
	v_cndmask_b32_e64 v30, v32, v30, s[0:1]
	s_waitcnt lgkmcnt(0)
	global_store_dwordx4 v[30:31], v[26:29], off
	s_or_b64 exec, exec, s[18:19]
	s_and_saveexec_b64 s[18:19], s[42:43]
	s_cbranch_execz .LBB158_19
.LBB158_40:                             ;   in Loop: Header=BB158_7 Depth=1
	ds_read2_b64 v[26:29], v39 offset1:1
	v_lshl_add_u64 v[30:31], v[24:25], 0, s[26:27]
	v_lshl_add_u64 v[32:33], v[16:17], 4, v[22:23]
	v_cndmask_b32_e64 v31, v33, v31, s[0:1]
	v_cndmask_b32_e64 v30, v32, v30, s[0:1]
	s_waitcnt lgkmcnt(0)
	global_store_dwordx4 v[30:31], v[26:29], off
	s_or_b64 exec, exec, s[18:19]
	s_and_saveexec_b64 s[18:19], s[44:45]
	s_cbranch_execnz .LBB158_20
	s_branch .LBB158_21
.LBB158_41:
	s_endpgm
	.section	.rodata,"a",@progbits
	.p2align	6, 0x0
	.amdhsa_kernel _ZN9rocsparseL38csr2bsr_block_per_row_multipass_kernelILj256ELj32E21rocsparse_complex_numIdEliEEv20rocsparse_direction_T3_S4_S4_S4_S4_21rocsparse_index_base_PKT1_PKT2_PKS4_S5_PS6_PS9_PS4_
		.amdhsa_group_segment_fixed_size 16392
		.amdhsa_private_segment_fixed_size 0
		.amdhsa_kernarg_size 88
		.amdhsa_user_sgpr_count 2
		.amdhsa_user_sgpr_dispatch_ptr 0
		.amdhsa_user_sgpr_queue_ptr 0
		.amdhsa_user_sgpr_kernarg_segment_ptr 1
		.amdhsa_user_sgpr_dispatch_id 0
		.amdhsa_user_sgpr_kernarg_preload_length 0
		.amdhsa_user_sgpr_kernarg_preload_offset 0
		.amdhsa_user_sgpr_private_segment_size 0
		.amdhsa_uses_dynamic_stack 0
		.amdhsa_enable_private_segment 0
		.amdhsa_system_sgpr_workgroup_id_x 1
		.amdhsa_system_sgpr_workgroup_id_y 0
		.amdhsa_system_sgpr_workgroup_id_z 0
		.amdhsa_system_sgpr_workgroup_info 0
		.amdhsa_system_vgpr_workitem_id 0
		.amdhsa_next_free_vgpr 50
		.amdhsa_next_free_sgpr 58
		.amdhsa_accum_offset 52
		.amdhsa_reserve_vcc 1
		.amdhsa_float_round_mode_32 0
		.amdhsa_float_round_mode_16_64 0
		.amdhsa_float_denorm_mode_32 3
		.amdhsa_float_denorm_mode_16_64 3
		.amdhsa_dx10_clamp 1
		.amdhsa_ieee_mode 1
		.amdhsa_fp16_overflow 0
		.amdhsa_tg_split 0
		.amdhsa_exception_fp_ieee_invalid_op 0
		.amdhsa_exception_fp_denorm_src 0
		.amdhsa_exception_fp_ieee_div_zero 0
		.amdhsa_exception_fp_ieee_overflow 0
		.amdhsa_exception_fp_ieee_underflow 0
		.amdhsa_exception_fp_ieee_inexact 0
		.amdhsa_exception_int_div_zero 0
	.end_amdhsa_kernel
	.section	.text._ZN9rocsparseL38csr2bsr_block_per_row_multipass_kernelILj256ELj32E21rocsparse_complex_numIdEliEEv20rocsparse_direction_T3_S4_S4_S4_S4_21rocsparse_index_base_PKT1_PKT2_PKS4_S5_PS6_PS9_PS4_,"axG",@progbits,_ZN9rocsparseL38csr2bsr_block_per_row_multipass_kernelILj256ELj32E21rocsparse_complex_numIdEliEEv20rocsparse_direction_T3_S4_S4_S4_S4_21rocsparse_index_base_PKT1_PKT2_PKS4_S5_PS6_PS9_PS4_,comdat
.Lfunc_end158:
	.size	_ZN9rocsparseL38csr2bsr_block_per_row_multipass_kernelILj256ELj32E21rocsparse_complex_numIdEliEEv20rocsparse_direction_T3_S4_S4_S4_S4_21rocsparse_index_base_PKT1_PKT2_PKS4_S5_PS6_PS9_PS4_, .Lfunc_end158-_ZN9rocsparseL38csr2bsr_block_per_row_multipass_kernelILj256ELj32E21rocsparse_complex_numIdEliEEv20rocsparse_direction_T3_S4_S4_S4_S4_21rocsparse_index_base_PKT1_PKT2_PKS4_S5_PS6_PS9_PS4_
                                        ; -- End function
	.section	.AMDGPU.csdata,"",@progbits
; Kernel info:
; codeLenInByte = 2008
; NumSgprs: 64
; NumVgprs: 50
; NumAgprs: 0
; TotalNumVgprs: 50
; ScratchSize: 0
; MemoryBound: 0
; FloatMode: 240
; IeeeMode: 1
; LDSByteSize: 16392 bytes/workgroup (compile time only)
; SGPRBlocks: 7
; VGPRBlocks: 6
; NumSGPRsForWavesPerEU: 64
; NumVGPRsForWavesPerEU: 50
; AccumOffset: 52
; Occupancy: 3
; WaveLimiterHint : 0
; COMPUTE_PGM_RSRC2:SCRATCH_EN: 0
; COMPUTE_PGM_RSRC2:USER_SGPR: 2
; COMPUTE_PGM_RSRC2:TRAP_HANDLER: 0
; COMPUTE_PGM_RSRC2:TGID_X_EN: 1
; COMPUTE_PGM_RSRC2:TGID_Y_EN: 0
; COMPUTE_PGM_RSRC2:TGID_Z_EN: 0
; COMPUTE_PGM_RSRC2:TIDIG_COMP_CNT: 0
; COMPUTE_PGM_RSRC3_GFX90A:ACCUM_OFFSET: 12
; COMPUTE_PGM_RSRC3_GFX90A:TG_SPLIT: 0
	.section	.text._ZN9rocsparseL21csr2bsr_65_inf_kernelILj32E21rocsparse_complex_numIdEliEEv20rocsparse_direction_T2_S4_S4_S4_S4_S4_21rocsparse_index_base_PKT0_PKT1_PKS4_S5_PS6_PS9_PS4_SF_SG_SE_,"axG",@progbits,_ZN9rocsparseL21csr2bsr_65_inf_kernelILj32E21rocsparse_complex_numIdEliEEv20rocsparse_direction_T2_S4_S4_S4_S4_S4_21rocsparse_index_base_PKT0_PKT1_PKS4_S5_PS6_PS9_PS4_SF_SG_SE_,comdat
	.globl	_ZN9rocsparseL21csr2bsr_65_inf_kernelILj32E21rocsparse_complex_numIdEliEEv20rocsparse_direction_T2_S4_S4_S4_S4_S4_21rocsparse_index_base_PKT0_PKT1_PKS4_S5_PS6_PS9_PS4_SF_SG_SE_ ; -- Begin function _ZN9rocsparseL21csr2bsr_65_inf_kernelILj32E21rocsparse_complex_numIdEliEEv20rocsparse_direction_T2_S4_S4_S4_S4_S4_21rocsparse_index_base_PKT0_PKT1_PKS4_S5_PS6_PS9_PS4_SF_SG_SE_
	.p2align	8
	.type	_ZN9rocsparseL21csr2bsr_65_inf_kernelILj32E21rocsparse_complex_numIdEliEEv20rocsparse_direction_T2_S4_S4_S4_S4_S4_21rocsparse_index_base_PKT0_PKT1_PKS4_S5_PS6_PS9_PS4_SF_SG_SE_,@function
_ZN9rocsparseL21csr2bsr_65_inf_kernelILj32E21rocsparse_complex_numIdEliEEv20rocsparse_direction_T2_S4_S4_S4_S4_S4_21rocsparse_index_base_PKT0_PKT1_PKS4_S5_PS6_PS9_PS4_SF_SG_SE_: ; @_ZN9rocsparseL21csr2bsr_65_inf_kernelILj32E21rocsparse_complex_numIdEliEEv20rocsparse_direction_T2_S4_S4_S4_S4_S4_21rocsparse_index_base_PKT0_PKT1_PKS4_S5_PS6_PS9_PS4_SF_SG_SE_
; %bb.0:
	s_load_dwordx4 s[8:11], s[0:1], 0x0
	s_load_dwordx2 s[4:5], s[0:1], 0x58
	s_load_dword s33, s[0:1], 0x38
	s_mov_b32 s21, 0
	s_waitcnt lgkmcnt(0)
	s_cmp_ge_i32 s2, s11
	s_mov_b32 s11, 0
	s_cbranch_scc1 .LBB159_2
; %bb.1:
	s_load_dwordx2 s[6:7], s[0:1], 0x48
	s_ashr_i32 s3, s2, 31
	s_lshl_b64 s[12:13], s[2:3], 3
	s_waitcnt lgkmcnt(0)
	s_add_u32 s6, s6, s12
	s_addc_u32 s7, s7, s13
	s_load_dword s3, s[6:7], 0x0
	s_waitcnt lgkmcnt(0)
	s_sub_i32 s11, s3, s33
.LBB159_2:
	s_load_dwordx4 s[12:15], s[0:1], 0x14
	s_waitcnt lgkmcnt(0)
	s_mul_i32 s3, s2, s13
	s_lshl_b32 s20, s3, 6
	s_lshl_b64 s[6:7], s[20:21], 3
	s_add_u32 s22, s4, s6
	v_mul_lo_u32 v2, v0, s13
	s_addc_u32 s23, s5, s7
	s_lshl_b32 s20, s13, 5
	v_ashrrev_i32_e32 v3, 31, v2
	s_cmp_gt_i32 s13, 0
	s_cselect_b64 s[24:25], -1, 0
	s_cmp_lt_i32 s13, 1
	v_lshl_add_u64 v[6:7], v[2:3], 3, s[22:23]
	s_cbranch_scc1 .LBB159_7
; %bb.3:
	s_load_dwordx2 s[6:7], s[0:1], 0x28
	s_mov_b32 s15, 0
	s_mov_b32 s4, s15
	;; [unrolled: 1-line block ×3, first 2 shown]
	s_mul_i32 s3, s2, s12
	s_lshl_b64 s[16:17], s[20:21], 3
	v_mov_b64_e32 v[4:5], s[4:5]
	v_mov_b32_e32 v1, v0
	v_mov_b64_e32 v[8:9], v[6:7]
	s_mov_b32 s18, s13
	s_branch .LBB159_5
.LBB159_4:                              ;   in Loop: Header=BB159_5 Depth=1
	s_or_b64 exec, exec, s[4:5]
	s_add_i32 s18, s18, -1
	v_lshl_add_u64 v[8:9], v[8:9], 0, 8
	s_cmp_eq_u32 s18, 0
	v_add_u32_e32 v1, 32, v1
	s_cbranch_scc1 .LBB159_7
.LBB159_5:                              ; =>This Inner Loop Header: Depth=1
	v_add_u32_e32 v12, s3, v1
	v_cmp_gt_i32_e32 vcc, s9, v12
	v_cmp_gt_u32_e64 s[4:5], s12, v1
	v_lshl_add_u64 v[10:11], v[8:9], 0, s[16:17]
	s_and_b64 s[26:27], s[4:5], vcc
	global_store_dwordx2 v[8:9], v[4:5], off
	global_store_dwordx2 v[10:11], v[4:5], off
	s_and_saveexec_b64 s[4:5], s[26:27]
	s_cbranch_execz .LBB159_4
; %bb.6:                                ;   in Loop: Header=BB159_5 Depth=1
	v_ashrrev_i32_e32 v13, 31, v12
	s_waitcnt lgkmcnt(0)
	v_lshl_add_u64 v[12:13], v[12:13], 3, s[6:7]
	global_load_dwordx4 v[12:15], v[12:13], off
	v_mov_b32_e32 v16, s15
	s_waitcnt vmcnt(0)
	v_subrev_co_u32_e32 v12, vcc, s14, v12
	s_nop 1
	v_subb_co_u32_e32 v13, vcc, v13, v16, vcc
	v_subrev_co_u32_e32 v14, vcc, s14, v14
	s_nop 1
	v_subb_co_u32_e32 v15, vcc, v15, v16, vcc
	global_store_dwordx2 v[8:9], v[12:13], off
	global_store_dwordx2 v[10:11], v[14:15], off
	s_branch .LBB159_4
.LBB159_7:
	s_cmp_lt_i32 s10, 1
	s_cbranch_scc1 .LBB159_37
; %bb.8:
	s_load_dwordx4 s[28:31], s[0:1], 0x60
	s_load_dwordx2 s[4:5], s[0:1], 0x20
	s_waitcnt lgkmcnt(0)
	s_load_dwordx2 s[6:7], s[0:1], 0x50
	s_load_dwordx2 s[16:17], s[0:1], 0x40
	;; [unrolled: 1-line block ×3, first 2 shown]
	s_lshl_b64 s[0:1], s[20:21], 3
	s_add_u32 s0, s22, s0
	s_addc_u32 s1, s23, s1
	s_mul_i32 s20, s20, s2
	s_mov_b32 s21, 0
	v_lshl_add_u64 v[8:9], v[2:3], 3, s[0:1]
	s_lshl_b64 s[0:1], s[20:21], 2
	s_add_u32 s0, s28, s0
	s_addc_u32 s1, s29, s1
	v_lshl_add_u64 v[10:11], v[2:3], 2, s[0:1]
	s_lshl_b64 s[0:1], s[20:21], 4
	s_add_u32 s0, s30, s0
	s_addc_u32 s1, s31, s1
	s_cmp_lg_u32 s8, 0
	s_cselect_b64 s[8:9], -1, 0
	s_abs_i32 s15, s12
	v_cvt_f32_u32_e32 v1, s15
	v_lshl_add_u64 v[12:13], v[2:3], 4, s[0:1]
	v_mbcnt_lo_u32_b32 v3, -1, 0
	v_mbcnt_hi_u32_b32 v3, -1, v3
	v_rcp_iflag_f32_e32 v5, v1
	v_mov_b32_e32 v4, 0x7c
	v_lshl_or_b32 v1, v3, 2, v4
	s_sub_i32 s2, 0, s15
	v_mul_f32_e32 v3, 0x4f7ffffe, v5
	v_cvt_u32_f32_e32 v3, v3
	v_cmp_eq_u32_e64 s[0:1], 31, v0
	v_mov_b32_e32 v2, 0
	s_add_i32 s38, s11, -1
	v_mul_lo_u32 v4, s2, v3
	v_mul_hi_u32 v4, v3, v4
	v_add_u32_e32 v30, v3, v4
	v_cndmask_b32_e64 v3, 0, 1, s[24:25]
	s_mul_hi_i32 s39, s12, s12
	s_mul_i32 s40, s12, s12
	s_ashr_i32 s41, s12, 31
	v_mul_lo_u32 v31, v0, s12
	s_lshl_b32 s42, s12, 5
	s_mov_b64 s[22:23], 0
	v_cmp_ne_u32_e64 s[2:3], 1, v3
	v_mov_b32_e32 v15, 0
	v_mov_b32_e32 v14, 0
	;; [unrolled: 1-line block ×4, first 2 shown]
	s_branch .LBB159_10
.LBB159_9:                              ;   in Loop: Header=BB159_10 Depth=1
	s_waitcnt lgkmcnt(0)
	v_add_u32_e32 v14, 1, v3
	v_cmp_le_i32_e32 vcc, s10, v14
	s_or_b64 s[22:23], vcc, s[22:23]
	s_andn2_b64 exec, exec, s[22:23]
	s_cbranch_execz .LBB159_37
.LBB159_10:                             ; =>This Loop Header: Depth=1
                                        ;     Child Loop BB159_14 Depth 2
                                        ;       Child Loop BB159_17 Depth 3
                                        ;     Child Loop BB159_31 Depth 2
	s_and_b64 vcc, exec, s[2:3]
	v_mov_b32_e32 v34, s10
	s_cbranch_vccnz .LBB159_23
; %bb.11:                               ;   in Loop: Header=BB159_10 Depth=1
	s_mov_b32 s20, 0
	v_mov_b32_e32 v34, s10
	s_branch .LBB159_14
.LBB159_12:                             ;   in Loop: Header=BB159_14 Depth=2
	s_or_b64 exec, exec, s[26:27]
.LBB159_13:                             ;   in Loop: Header=BB159_14 Depth=2
	s_or_b64 exec, exec, s[24:25]
	s_add_i32 s20, s20, 1
	s_cmp_eq_u32 s20, s13
	s_cbranch_scc1 .LBB159_23
.LBB159_14:                             ;   Parent Loop BB159_10 Depth=1
                                        ; =>  This Loop Header: Depth=2
                                        ;       Child Loop BB159_17 Depth 3
	s_lshl_b64 s[24:25], s[20:21], 3
	v_lshl_add_u64 v[16:17], v[6:7], 0, s[24:25]
	v_lshl_add_u64 v[4:5], v[8:9], 0, s[24:25]
	global_load_dwordx2 v[24:25], v[16:17], off
	global_load_dwordx2 v[18:19], v[4:5], off
	v_lshl_add_u64 v[20:21], s[20:21], 4, v[12:13]
	v_mov_b32_e32 v3, v2
	v_mov_b32_e32 v4, v2
	;; [unrolled: 1-line block ×3, first 2 shown]
	global_store_dwordx4 v[20:21], v[2:5], off
	s_waitcnt vmcnt(1)
	v_cmp_lt_i64_e32 vcc, v[24:25], v[18:19]
	v_lshl_add_u64 v[4:5], s[20:21], 2, v[10:11]
	v_mov_b32_e32 v3, s10
	global_store_dword v[4:5], v3, off
	s_and_saveexec_b64 s[24:25], vcc
	s_cbranch_execz .LBB159_13
; %bb.15:                               ;   in Loop: Header=BB159_14 Depth=2
	s_waitcnt lgkmcnt(0)
	v_lshl_add_u64 v[26:27], v[24:25], 2, s[18:19]
	v_lshl_add_u64 v[28:29], v[24:25], 4, s[4:5]
	s_mov_b64 s[26:27], 0
                                        ; implicit-def: $sgpr28_sgpr29
                                        ; implicit-def: $sgpr34_sgpr35
                                        ; implicit-def: $sgpr30_sgpr31
	s_branch .LBB159_17
.LBB159_16:                             ;   in Loop: Header=BB159_17 Depth=3
	s_or_b64 exec, exec, s[36:37]
	s_and_b64 s[36:37], exec, s[34:35]
	s_or_b64 s[26:27], s[36:37], s[26:27]
	s_andn2_b64 s[28:29], s[28:29], exec
	s_and_b64 s[36:37], s[30:31], exec
	s_or_b64 s[28:29], s[28:29], s[36:37]
	s_andn2_b64 exec, exec, s[26:27]
	s_cbranch_execz .LBB159_19
.LBB159_17:                             ;   Parent Loop BB159_10 Depth=1
                                        ;     Parent Loop BB159_14 Depth=2
                                        ; =>    This Inner Loop Header: Depth=3
	global_load_dwordx4 v[36:39], v[28:29], off
	v_mov_b64_e32 v[22:23], v[24:25]
	s_or_b64 s[30:31], s[30:31], exec
	s_or_b64 s[34:35], s[34:35], exec
                                        ; implicit-def: $vgpr24_vgpr25
	s_waitcnt vmcnt(0)
	global_store_dwordx4 v[20:21], v[36:39], off
	global_load_dword v3, v[26:27], off
	s_waitcnt vmcnt(0)
	v_subrev_u32_e32 v3, s14, v3
	v_cmp_lt_i32_e32 vcc, v3, v14
	s_and_saveexec_b64 s[36:37], vcc
	s_cbranch_execz .LBB159_16
; %bb.18:                               ;   in Loop: Header=BB159_17 Depth=3
	v_lshl_add_u64 v[24:25], v[22:23], 0, 1
	v_cmp_ge_i64_e32 vcc, v[24:25], v[18:19]
	s_andn2_b64 s[34:35], s[34:35], exec
	s_and_b64 s[44:45], vcc, exec
	v_lshl_add_u64 v[26:27], v[26:27], 0, 4
	v_lshl_add_u64 v[28:29], v[28:29], 0, 16
	s_andn2_b64 s[30:31], s[30:31], exec
	s_or_b64 s[34:35], s[34:35], s[44:45]
	s_branch .LBB159_16
.LBB159_19:                             ;   in Loop: Header=BB159_14 Depth=2
	s_or_b64 exec, exec, s[26:27]
	s_xor_b64 s[26:27], s[28:29], -1
	s_and_saveexec_b64 s[28:29], s[26:27]
	s_xor_b64 s[26:27], exec, s[28:29]
	s_cbranch_execz .LBB159_21
; %bb.20:                               ;   in Loop: Header=BB159_14 Depth=2
	global_store_dword v[4:5], v3, off
                                        ; implicit-def: $vgpr4_vgpr5
                                        ; implicit-def: $vgpr16_vgpr17
.LBB159_21:                             ;   in Loop: Header=BB159_14 Depth=2
	s_andn2_saveexec_b64 s[26:27], s[26:27]
	s_cbranch_execz .LBB159_12
; %bb.22:                               ;   in Loop: Header=BB159_14 Depth=2
	v_min_i32_e32 v34, v3, v34
	global_store_dword v[4:5], v3, off
	global_store_dwordx2 v[16:17], v[22:23], off
	s_branch .LBB159_12
.LBB159_23:                             ;   in Loop: Header=BB159_10 Depth=1
	s_nop 0
	v_mov_b32_dpp v3, v34 row_shr:1 row_mask:0xf bank_mask:0xf
	v_min_i32_e32 v3, v3, v34
	s_nop 1
	v_mov_b32_dpp v4, v3 row_shr:2 row_mask:0xf bank_mask:0xf
	v_min_i32_e32 v3, v4, v3
	;; [unrolled: 3-line block ×4, first 2 shown]
	s_nop 1
	v_mov_b32_dpp v4, v3 row_bcast:15 row_mask:0xa bank_mask:0xf
	v_min_i32_e32 v3, v4, v3
	v_cmp_gt_i32_e32 vcc, s10, v3
	s_and_b64 s[26:27], s[0:1], vcc
	s_and_saveexec_b64 s[24:25], s[26:27]
	s_cbranch_execz .LBB159_27
; %bb.24:                               ;   in Loop: Header=BB159_10 Depth=1
	v_sub_u32_e32 v5, 0, v3
	v_max_i32_e32 v5, v3, v5
	v_mul_hi_u32 v14, v5, v30
	v_mul_lo_u32 v16, v14, s15
	v_sub_u32_e32 v5, v5, v16
	v_add_u32_e32 v16, 1, v14
	v_cmp_le_u32_e32 vcc, s15, v5
	v_ashrrev_i32_e32 v4, 31, v3
	v_xor_b32_e32 v4, s41, v4
	v_cndmask_b32_e32 v14, v14, v16, vcc
	v_subrev_u32_e32 v16, s15, v5
	v_cndmask_b32_e32 v5, v5, v16, vcc
	v_add_u32_e32 v16, 1, v14
	v_cmp_le_u32_e32 vcc, s15, v5
	s_nop 1
	v_cndmask_b32_e32 v5, v14, v16, vcc
	v_xor_b32_e32 v5, v5, v4
	v_sub_u32_e32 v4, v5, v4
	v_cmp_ge_i32_e32 vcc, v4, v32
	s_and_saveexec_b64 s[26:27], vcc
	s_cbranch_execz .LBB159_26
; %bb.25:                               ;   in Loop: Header=BB159_10 Depth=1
	v_add_u32_e32 v16, s11, v33
	v_add_u32_e32 v5, 1, v33
	v_ashrrev_i32_e32 v17, 31, v16
	v_add_u32_e32 v32, 1, v4
	s_waitcnt lgkmcnt(0)
	v_lshl_add_u64 v[16:17], v[16:17], 2, s[6:7]
	v_add_u32_e32 v4, s33, v4
	v_mov_b32_e32 v33, v5
	global_store_dword v[16:17], v4, off
.LBB159_26:                             ;   in Loop: Header=BB159_10 Depth=1
	s_or_b64 exec, exec, s[26:27]
.LBB159_27:                             ;   in Loop: Header=BB159_10 Depth=1
	s_or_b64 exec, exec, s[24:25]
	ds_bpermute_b32 v3, v1, v3
	ds_bpermute_b32 v33, v1, v33
	s_and_b64 vcc, exec, s[2:3]
	s_cbranch_vccnz .LBB159_9
; %bb.28:                               ;   in Loop: Header=BB159_10 Depth=1
	s_waitcnt lgkmcnt(0)
	v_add_u32_e32 v4, s38, v33
	v_ashrrev_i32_e32 v5, 31, v4
	v_mul_lo_u32 v14, s40, v5
	v_mul_lo_u32 v16, s39, v4
	v_mad_u64_u32 v[4:5], s[24:25], s40, v4, 0
	v_add3_u32 v5, v5, v14, v16
	v_sub_u32_e32 v16, 0, v3
	v_max_i32_e32 v16, v3, v16
	v_mul_hi_u32 v17, v16, v30
	v_mul_lo_u32 v18, v17, s15
	v_sub_u32_e32 v16, v16, v18
	v_add_u32_e32 v18, 1, v17
	v_cmp_le_u32_e32 vcc, s15, v16
	v_ashrrev_i32_e32 v14, 31, v3
	v_xor_b32_e32 v14, s41, v14
	v_cndmask_b32_e32 v17, v17, v18, vcc
	v_subrev_u32_e32 v18, s15, v16
	v_cndmask_b32_e32 v16, v16, v18, vcc
	v_add_u32_e32 v18, 1, v17
	v_cmp_le_u32_e32 vcc, s15, v16
	v_lshl_add_u64 v[4:5], v[4:5], 4, s[16:17]
	s_mov_b32 s20, s13
	v_cndmask_b32_e32 v16, v17, v18, vcc
	v_xor_b32_e32 v16, v16, v14
	v_sub_u32_e32 v26, v16, v14
	v_mov_b64_e32 v[16:17], v[12:13]
	v_mov_b64_e32 v[18:19], v[10:11]
	v_mov_b32_e32 v20, v0
	v_mov_b32_e32 v14, v31
	s_branch .LBB159_31
.LBB159_29:                             ;   in Loop: Header=BB159_31 Depth=2
	global_load_dwordx4 v[34:37], v[16:17], off
	v_lshl_add_u64 v[22:23], v[22:23], 4, v[4:5]
	v_lshl_add_u64 v[22:23], v[24:25], 4, v[22:23]
	s_waitcnt vmcnt(0)
	global_store_dwordx4 v[22:23], v[34:37], off
.LBB159_30:                             ;   in Loop: Header=BB159_31 Depth=2
	s_or_b64 exec, exec, s[24:25]
	s_add_i32 s20, s20, -1
	v_add_u32_e32 v14, s42, v14
	v_add_u32_e32 v20, 32, v20
	v_lshl_add_u64 v[18:19], v[18:19], 0, 4
	s_cmp_eq_u32 s20, 0
	v_lshl_add_u64 v[16:17], v[16:17], 0, 16
	s_cbranch_scc1 .LBB159_9
.LBB159_31:                             ;   Parent Loop BB159_10 Depth=1
                                        ; =>  This Inner Loop Header: Depth=2
	global_load_dword v21, v[18:19], off
	s_waitcnt vmcnt(0)
	v_cmp_gt_i32_e32 vcc, s10, v21
	s_and_saveexec_b64 s[24:25], vcc
	s_cbranch_execz .LBB159_30
; %bb.32:                               ;   in Loop: Header=BB159_31 Depth=2
	v_sub_u32_e32 v23, 0, v21
	v_max_i32_e32 v23, v21, v23
	v_mul_hi_u32 v24, v23, v30
	v_mul_lo_u32 v25, v24, s15
	v_sub_u32_e32 v28, v23, v25
	v_add_u32_e32 v23, 1, v24
	v_cmp_le_u32_e32 vcc, s15, v28
	v_subrev_u32_e32 v29, s15, v28
	v_ashrrev_i32_e32 v27, 31, v21
	v_cndmask_b32_e32 v23, v24, v23, vcc
	v_cndmask_b32_e32 v24, v28, v29, vcc
	v_add_u32_e32 v25, 1, v23
	v_cmp_le_u32_e32 vcc, s15, v24
	v_xor_b32_e32 v22, s41, v27
	s_nop 0
	v_cndmask_b32_e32 v23, v23, v25, vcc
	v_xor_b32_e32 v23, v23, v22
	v_sub_u32_e32 v22, v23, v22
	v_cmp_eq_u32_e32 vcc, v22, v26
	s_and_b64 exec, exec, vcc
	s_cbranch_execz .LBB159_30
; %bb.33:                               ;   in Loop: Header=BB159_31 Depth=2
	s_and_b64 vcc, exec, s[8:9]
	s_cbranch_vccz .LBB159_35
; %bb.34:                               ;   in Loop: Header=BB159_31 Depth=2
	v_mul_lo_u32 v22, v26, s12
	v_sub_u32_e32 v21, v21, v22
	v_mul_lo_u32 v22, v21, s12
	v_mov_b32_e32 v21, v15
	v_ashrrev_i32_e32 v23, 31, v22
	v_mov_b64_e32 v[24:25], v[20:21]
	s_cbranch_execnz .LBB159_29
	s_branch .LBB159_36
.LBB159_35:                             ;   in Loop: Header=BB159_31 Depth=2
                                        ; implicit-def: $vgpr24_vgpr25
                                        ; implicit-def: $vgpr22_vgpr23
.LBB159_36:                             ;   in Loop: Header=BB159_31 Depth=2
	v_cmp_le_u32_e32 vcc, s15, v28
	s_nop 1
	v_cndmask_b32_e32 v21, v28, v29, vcc
	v_subrev_u32_e32 v22, s15, v21
	v_cmp_le_u32_e32 vcc, s15, v21
	s_nop 1
	v_cndmask_b32_e32 v21, v21, v22, vcc
	v_xor_b32_e32 v21, v21, v27
	v_sub_u32_e32 v24, v21, v27
	v_ashrrev_i32_e32 v25, 31, v24
	v_mov_b64_e32 v[22:23], v[14:15]
	s_branch .LBB159_29
.LBB159_37:
	s_endpgm
	.section	.rodata,"a",@progbits
	.p2align	6, 0x0
	.amdhsa_kernel _ZN9rocsparseL21csr2bsr_65_inf_kernelILj32E21rocsparse_complex_numIdEliEEv20rocsparse_direction_T2_S4_S4_S4_S4_S4_21rocsparse_index_base_PKT0_PKT1_PKS4_S5_PS6_PS9_PS4_SF_SG_SE_
		.amdhsa_group_segment_fixed_size 0
		.amdhsa_private_segment_fixed_size 0
		.amdhsa_kernarg_size 112
		.amdhsa_user_sgpr_count 2
		.amdhsa_user_sgpr_dispatch_ptr 0
		.amdhsa_user_sgpr_queue_ptr 0
		.amdhsa_user_sgpr_kernarg_segment_ptr 1
		.amdhsa_user_sgpr_dispatch_id 0
		.amdhsa_user_sgpr_kernarg_preload_length 0
		.amdhsa_user_sgpr_kernarg_preload_offset 0
		.amdhsa_user_sgpr_private_segment_size 0
		.amdhsa_uses_dynamic_stack 0
		.amdhsa_enable_private_segment 0
		.amdhsa_system_sgpr_workgroup_id_x 1
		.amdhsa_system_sgpr_workgroup_id_y 0
		.amdhsa_system_sgpr_workgroup_id_z 0
		.amdhsa_system_sgpr_workgroup_info 0
		.amdhsa_system_vgpr_workitem_id 0
		.amdhsa_next_free_vgpr 40
		.amdhsa_next_free_sgpr 46
		.amdhsa_accum_offset 40
		.amdhsa_reserve_vcc 1
		.amdhsa_float_round_mode_32 0
		.amdhsa_float_round_mode_16_64 0
		.amdhsa_float_denorm_mode_32 3
		.amdhsa_float_denorm_mode_16_64 3
		.amdhsa_dx10_clamp 1
		.amdhsa_ieee_mode 1
		.amdhsa_fp16_overflow 0
		.amdhsa_tg_split 0
		.amdhsa_exception_fp_ieee_invalid_op 0
		.amdhsa_exception_fp_denorm_src 0
		.amdhsa_exception_fp_ieee_div_zero 0
		.amdhsa_exception_fp_ieee_overflow 0
		.amdhsa_exception_fp_ieee_underflow 0
		.amdhsa_exception_fp_ieee_inexact 0
		.amdhsa_exception_int_div_zero 0
	.end_amdhsa_kernel
	.section	.text._ZN9rocsparseL21csr2bsr_65_inf_kernelILj32E21rocsparse_complex_numIdEliEEv20rocsparse_direction_T2_S4_S4_S4_S4_S4_21rocsparse_index_base_PKT0_PKT1_PKS4_S5_PS6_PS9_PS4_SF_SG_SE_,"axG",@progbits,_ZN9rocsparseL21csr2bsr_65_inf_kernelILj32E21rocsparse_complex_numIdEliEEv20rocsparse_direction_T2_S4_S4_S4_S4_S4_21rocsparse_index_base_PKT0_PKT1_PKS4_S5_PS6_PS9_PS4_SF_SG_SE_,comdat
.Lfunc_end159:
	.size	_ZN9rocsparseL21csr2bsr_65_inf_kernelILj32E21rocsparse_complex_numIdEliEEv20rocsparse_direction_T2_S4_S4_S4_S4_S4_21rocsparse_index_base_PKT0_PKT1_PKS4_S5_PS6_PS9_PS4_SF_SG_SE_, .Lfunc_end159-_ZN9rocsparseL21csr2bsr_65_inf_kernelILj32E21rocsparse_complex_numIdEliEEv20rocsparse_direction_T2_S4_S4_S4_S4_S4_21rocsparse_index_base_PKT0_PKT1_PKS4_S5_PS6_PS9_PS4_SF_SG_SE_
                                        ; -- End function
	.section	.AMDGPU.csdata,"",@progbits
; Kernel info:
; codeLenInByte = 1756
; NumSgprs: 52
; NumVgprs: 40
; NumAgprs: 0
; TotalNumVgprs: 40
; ScratchSize: 0
; MemoryBound: 0
; FloatMode: 240
; IeeeMode: 1
; LDSByteSize: 0 bytes/workgroup (compile time only)
; SGPRBlocks: 6
; VGPRBlocks: 4
; NumSGPRsForWavesPerEU: 52
; NumVGPRsForWavesPerEU: 40
; AccumOffset: 40
; Occupancy: 8
; WaveLimiterHint : 0
; COMPUTE_PGM_RSRC2:SCRATCH_EN: 0
; COMPUTE_PGM_RSRC2:USER_SGPR: 2
; COMPUTE_PGM_RSRC2:TRAP_HANDLER: 0
; COMPUTE_PGM_RSRC2:TGID_X_EN: 1
; COMPUTE_PGM_RSRC2:TGID_Y_EN: 0
; COMPUTE_PGM_RSRC2:TGID_Z_EN: 0
; COMPUTE_PGM_RSRC2:TIDIG_COMP_CNT: 0
; COMPUTE_PGM_RSRC3_GFX90A:ACCUM_OFFSET: 9
; COMPUTE_PGM_RSRC3_GFX90A:TG_SPLIT: 0
	.section	.text._ZN9rocsparseL35csr2bsr_block_dim_equals_one_kernelILj256E21rocsparse_complex_numIdEilEEvT2_S3_S3_S3_21rocsparse_index_base_PKT0_PKT1_PKS3_S4_PS5_PS8_PS3_,"axG",@progbits,_ZN9rocsparseL35csr2bsr_block_dim_equals_one_kernelILj256E21rocsparse_complex_numIdEilEEvT2_S3_S3_S3_21rocsparse_index_base_PKT0_PKT1_PKS3_S4_PS5_PS8_PS3_,comdat
	.globl	_ZN9rocsparseL35csr2bsr_block_dim_equals_one_kernelILj256E21rocsparse_complex_numIdEilEEvT2_S3_S3_S3_21rocsparse_index_base_PKT0_PKT1_PKS3_S4_PS5_PS8_PS3_ ; -- Begin function _ZN9rocsparseL35csr2bsr_block_dim_equals_one_kernelILj256E21rocsparse_complex_numIdEilEEvT2_S3_S3_S3_21rocsparse_index_base_PKT0_PKT1_PKS3_S4_PS5_PS8_PS3_
	.p2align	8
	.type	_ZN9rocsparseL35csr2bsr_block_dim_equals_one_kernelILj256E21rocsparse_complex_numIdEilEEvT2_S3_S3_S3_21rocsparse_index_base_PKT0_PKT1_PKS3_S4_PS5_PS8_PS3_,@function
_ZN9rocsparseL35csr2bsr_block_dim_equals_one_kernelILj256E21rocsparse_complex_numIdEilEEvT2_S3_S3_S3_21rocsparse_index_base_PKT0_PKT1_PKS3_S4_PS5_PS8_PS3_: ; @_ZN9rocsparseL35csr2bsr_block_dim_equals_one_kernelILj256E21rocsparse_complex_numIdEilEEvT2_S3_S3_S3_21rocsparse_index_base_PKT0_PKT1_PKS3_S4_PS5_PS8_PS3_
; %bb.0:
	s_load_dwordx2 s[8:9], s[0:1], 0x0
	s_load_dwordx4 s[4:7], s[0:1], 0x28
	v_lshl_or_b32 v0, s2, 8, v0
	s_waitcnt lgkmcnt(0)
	s_lshl_b64 s[8:9], s[8:9], 2
	s_add_u32 s8, s6, s8
	s_addc_u32 s9, s7, s9
	s_load_dword s3, s[8:9], 0x0
	s_load_dword s10, s[6:7], 0x0
	s_waitcnt lgkmcnt(0)
	s_sub_i32 s12, s3, s10
	v_cmp_gt_i32_e32 vcc, s12, v0
	s_and_saveexec_b64 s[2:3], vcc
	s_cbranch_execz .LBB160_3
; %bb.1:
	s_load_dword s10, s[0:1], 0x40
	s_load_dwordx2 s[2:3], s[0:1], 0x48
	s_load_dword s11, s[0:1], 0x20
	s_load_dword s13, s[0:1], 0x60
	s_load_dwordx2 s[6:7], s[0:1], 0x38
	s_load_dwordx2 s[8:9], s[0:1], 0x58
	s_waitcnt lgkmcnt(0)
	s_sub_u32 s0, s10, s11
	s_subb_u32 s1, 0, 0
	s_lshl_b32 s13, s13, 8
	s_mov_b64 s[10:11], 0
.LBB160_2:                              ; =>This Inner Loop Header: Depth=1
	v_ashrrev_i32_e32 v1, 31, v0
	v_lshlrev_b64 v[2:3], 3, v[0:1]
	v_lshl_add_u64 v[4:5], s[6:7], 0, v[2:3]
	global_load_dwordx2 v[4:5], v[4:5], off
	v_lshlrev_b64 v[6:7], 4, v[0:1]
	v_lshl_add_u64 v[2:3], s[8:9], 0, v[2:3]
	v_add_u32_e32 v0, s13, v0
	v_cmp_le_i32_e32 vcc, s12, v0
	s_or_b64 s[10:11], vcc, s[10:11]
	s_waitcnt vmcnt(0)
	v_lshl_add_u64 v[4:5], s[0:1], 0, v[4:5]
	global_store_dwordx2 v[2:3], v[4:5], off
	v_lshl_add_u64 v[2:3], s[4:5], 0, v[6:7]
	global_load_dwordx4 v[2:5], v[2:3], off
	v_lshl_add_u64 v[6:7], s[2:3], 0, v[6:7]
	s_waitcnt vmcnt(0)
	global_store_dwordx4 v[6:7], v[2:5], off
	s_andn2_b64 exec, exec, s[10:11]
	s_cbranch_execnz .LBB160_2
.LBB160_3:
	s_endpgm
	.section	.rodata,"a",@progbits
	.p2align	6, 0x0
	.amdhsa_kernel _ZN9rocsparseL35csr2bsr_block_dim_equals_one_kernelILj256E21rocsparse_complex_numIdEilEEvT2_S3_S3_S3_21rocsparse_index_base_PKT0_PKT1_PKS3_S4_PS5_PS8_PS3_
		.amdhsa_group_segment_fixed_size 0
		.amdhsa_private_segment_fixed_size 0
		.amdhsa_kernarg_size 352
		.amdhsa_user_sgpr_count 2
		.amdhsa_user_sgpr_dispatch_ptr 0
		.amdhsa_user_sgpr_queue_ptr 0
		.amdhsa_user_sgpr_kernarg_segment_ptr 1
		.amdhsa_user_sgpr_dispatch_id 0
		.amdhsa_user_sgpr_kernarg_preload_length 0
		.amdhsa_user_sgpr_kernarg_preload_offset 0
		.amdhsa_user_sgpr_private_segment_size 0
		.amdhsa_uses_dynamic_stack 0
		.amdhsa_enable_private_segment 0
		.amdhsa_system_sgpr_workgroup_id_x 1
		.amdhsa_system_sgpr_workgroup_id_y 0
		.amdhsa_system_sgpr_workgroup_id_z 0
		.amdhsa_system_sgpr_workgroup_info 0
		.amdhsa_system_vgpr_workitem_id 0
		.amdhsa_next_free_vgpr 8
		.amdhsa_next_free_sgpr 14
		.amdhsa_accum_offset 8
		.amdhsa_reserve_vcc 1
		.amdhsa_float_round_mode_32 0
		.amdhsa_float_round_mode_16_64 0
		.amdhsa_float_denorm_mode_32 3
		.amdhsa_float_denorm_mode_16_64 3
		.amdhsa_dx10_clamp 1
		.amdhsa_ieee_mode 1
		.amdhsa_fp16_overflow 0
		.amdhsa_tg_split 0
		.amdhsa_exception_fp_ieee_invalid_op 0
		.amdhsa_exception_fp_denorm_src 0
		.amdhsa_exception_fp_ieee_div_zero 0
		.amdhsa_exception_fp_ieee_overflow 0
		.amdhsa_exception_fp_ieee_underflow 0
		.amdhsa_exception_fp_ieee_inexact 0
		.amdhsa_exception_int_div_zero 0
	.end_amdhsa_kernel
	.section	.text._ZN9rocsparseL35csr2bsr_block_dim_equals_one_kernelILj256E21rocsparse_complex_numIdEilEEvT2_S3_S3_S3_21rocsparse_index_base_PKT0_PKT1_PKS3_S4_PS5_PS8_PS3_,"axG",@progbits,_ZN9rocsparseL35csr2bsr_block_dim_equals_one_kernelILj256E21rocsparse_complex_numIdEilEEvT2_S3_S3_S3_21rocsparse_index_base_PKT0_PKT1_PKS3_S4_PS5_PS8_PS3_,comdat
.Lfunc_end160:
	.size	_ZN9rocsparseL35csr2bsr_block_dim_equals_one_kernelILj256E21rocsparse_complex_numIdEilEEvT2_S3_S3_S3_21rocsparse_index_base_PKT0_PKT1_PKS3_S4_PS5_PS8_PS3_, .Lfunc_end160-_ZN9rocsparseL35csr2bsr_block_dim_equals_one_kernelILj256E21rocsparse_complex_numIdEilEEvT2_S3_S3_S3_21rocsparse_index_base_PKT0_PKT1_PKS3_S4_PS5_PS8_PS3_
                                        ; -- End function
	.section	.AMDGPU.csdata,"",@progbits
; Kernel info:
; codeLenInByte = 268
; NumSgprs: 20
; NumVgprs: 8
; NumAgprs: 0
; TotalNumVgprs: 8
; ScratchSize: 0
; MemoryBound: 0
; FloatMode: 240
; IeeeMode: 1
; LDSByteSize: 0 bytes/workgroup (compile time only)
; SGPRBlocks: 2
; VGPRBlocks: 0
; NumSGPRsForWavesPerEU: 20
; NumVGPRsForWavesPerEU: 8
; AccumOffset: 8
; Occupancy: 8
; WaveLimiterHint : 0
; COMPUTE_PGM_RSRC2:SCRATCH_EN: 0
; COMPUTE_PGM_RSRC2:USER_SGPR: 2
; COMPUTE_PGM_RSRC2:TRAP_HANDLER: 0
; COMPUTE_PGM_RSRC2:TGID_X_EN: 1
; COMPUTE_PGM_RSRC2:TGID_Y_EN: 0
; COMPUTE_PGM_RSRC2:TGID_Z_EN: 0
; COMPUTE_PGM_RSRC2:TIDIG_COMP_CNT: 0
; COMPUTE_PGM_RSRC3_GFX90A:ACCUM_OFFSET: 1
; COMPUTE_PGM_RSRC3_GFX90A:TG_SPLIT: 0
	.section	.text._ZN9rocsparseL42csr2bsr_wavefront_per_row_multipass_kernelILj256ELj16ELj4E21rocsparse_complex_numIdEilEEv20rocsparse_direction_T4_S4_S4_S4_S4_21rocsparse_index_base_PKT2_PKT3_PKS4_S5_PS6_PS9_PS4_,"axG",@progbits,_ZN9rocsparseL42csr2bsr_wavefront_per_row_multipass_kernelILj256ELj16ELj4E21rocsparse_complex_numIdEilEEv20rocsparse_direction_T4_S4_S4_S4_S4_21rocsparse_index_base_PKT2_PKT3_PKS4_S5_PS6_PS9_PS4_,comdat
	.globl	_ZN9rocsparseL42csr2bsr_wavefront_per_row_multipass_kernelILj256ELj16ELj4E21rocsparse_complex_numIdEilEEv20rocsparse_direction_T4_S4_S4_S4_S4_21rocsparse_index_base_PKT2_PKT3_PKS4_S5_PS6_PS9_PS4_ ; -- Begin function _ZN9rocsparseL42csr2bsr_wavefront_per_row_multipass_kernelILj256ELj16ELj4E21rocsparse_complex_numIdEilEEv20rocsparse_direction_T4_S4_S4_S4_S4_21rocsparse_index_base_PKT2_PKT3_PKS4_S5_PS6_PS9_PS4_
	.p2align	8
	.type	_ZN9rocsparseL42csr2bsr_wavefront_per_row_multipass_kernelILj256ELj16ELj4E21rocsparse_complex_numIdEilEEv20rocsparse_direction_T4_S4_S4_S4_S4_21rocsparse_index_base_PKT2_PKT3_PKS4_S5_PS6_PS9_PS4_,@function
_ZN9rocsparseL42csr2bsr_wavefront_per_row_multipass_kernelILj256ELj16ELj4E21rocsparse_complex_numIdEilEEv20rocsparse_direction_T4_S4_S4_S4_S4_21rocsparse_index_base_PKT2_PKT3_PKS4_S5_PS6_PS9_PS4_: ; @_ZN9rocsparseL42csr2bsr_wavefront_per_row_multipass_kernelILj256ELj16ELj4E21rocsparse_complex_numIdEilEEv20rocsparse_direction_T4_S4_S4_S4_S4_21rocsparse_index_base_PKT2_PKT3_PKS4_S5_PS6_PS9_PS4_
; %bb.0:
	s_load_dwordx2 s[4:5], s[0:1], 0x8
	s_load_dwordx4 s[8:11], s[0:1], 0x18
	s_load_dwordx2 s[6:7], s[0:1], 0x28
	s_load_dword s26, s[0:1], 0x30
	s_load_dwordx2 s[12:13], s[0:1], 0x40
	s_ashr_i32 s3, s2, 31
	v_lshrrev_b32_e32 v26, 4, v0
	s_lshl_b64 s[14:15], s[2:3], 4
	v_bfe_u32 v4, v0, 2, 2
	v_mov_b32_e32 v5, 0
	v_or_b32_e32 v1, s14, v26
	s_waitcnt lgkmcnt(0)
	v_mul_lo_u32 v6, v1, s7
	v_mad_u64_u32 v[2:3], s[16:17], v1, s6, v[4:5]
	s_mul_i32 s3, s15, s6
	v_add3_u32 v3, s3, v3, v6
	v_cmp_gt_i64_e32 vcc, s[4:5], v[2:3]
	v_cmp_gt_i64_e64 s[4:5], s[6:7], v[4:5]
	s_and_b64 s[14:15], s[4:5], vcc
	v_mov_b32_e32 v11, v5
	s_and_saveexec_b64 s[16:17], s[14:15]
	s_cbranch_execz .LBB161_2
; %bb.1:
	v_lshl_add_u64 v[6:7], v[2:3], 2, s[12:13]
	global_load_dword v1, v[6:7], off
	s_waitcnt vmcnt(0)
	v_subrev_u32_e32 v11, s26, v1
.LBB161_2:
	s_or_b64 exec, exec, s[16:17]
	s_and_saveexec_b64 s[16:17], s[14:15]
	s_cbranch_execz .LBB161_4
; %bb.3:
	v_lshl_add_u64 v[2:3], v[2:3], 2, s[12:13]
	global_load_dword v1, v[2:3], off offset:4
	s_waitcnt vmcnt(0)
	v_subrev_u32_e32 v5, s26, v1
.LBB161_4:
	s_or_b64 exec, exec, s[16:17]
	s_load_dword s27, s[0:1], 0x50
	v_lshl_or_b32 v2, s2, 4, v26
	v_mov_b32_e32 v3, 0
	v_cmp_gt_i64_e32 vcc, s[8:9], v[2:3]
	v_mov_b32_e32 v6, v3
	s_and_saveexec_b64 s[2:3], vcc
	s_cbranch_execz .LBB161_6
; %bb.5:
	s_load_dwordx2 s[8:9], s[0:1], 0x60
	s_waitcnt lgkmcnt(0)
	v_lshl_add_u64 v[2:3], v[2:3], 2, s[8:9]
	global_load_dword v1, v[2:3], off
	s_waitcnt vmcnt(0)
	v_subrev_u32_e32 v6, s27, v1
.LBB161_6:
	s_or_b64 exec, exec, s[2:3]
	v_cmp_lt_i64_e64 s[2:3], s[10:11], 1
	s_and_b64 vcc, exec, s[2:3]
	s_cbranch_vccnz .LBB161_25
; %bb.7:
	v_and_b32_e32 v8, 3, v0
	v_and_b32_e32 v0, 0x3f0, v0
	v_lshl_or_b32 v27, v4, 2, v0
	v_or_b32_e32 v0, v27, v8
	v_lshlrev_b32_e32 v28, 4, v0
	v_mbcnt_lo_u32_b32 v0, -1, 0
	v_mbcnt_hi_u32_b32 v0, -1, v0
	s_load_dwordx2 s[2:3], s[0:1], 0x68
	s_load_dwordx2 s[14:15], s[0:1], 0x58
	;; [unrolled: 1-line block ×4, first 2 shown]
	s_load_dword s16, s[0:1], 0x0
	v_lshlrev_b32_e32 v7, 2, v0
	v_mad_u64_u32 v[0:1], s[0:1], v8, s6, 0
	v_mov_b32_e32 v2, v1
	v_mad_u64_u32 v[2:3], s[0:1], v8, s7, v[2:3]
	v_mov_b32_e32 v10, 0
	v_mov_b32_e32 v1, v2
	s_waitcnt lgkmcnt(0)
	v_lshl_add_u64 v[0:1], v[0:1], 4, s[14:15]
	v_lshlrev_b32_e32 v2, 4, v4
	v_mov_b32_e32 v3, v10
	v_lshl_add_u64 v[0:1], v[0:1], 0, v[2:3]
	v_mad_u64_u32 v[2:3], s[0:1], v4, s6, 0
	v_mov_b32_e32 v12, v3
	v_mad_u64_u32 v[12:13], s[0:1], v4, s7, v[12:13]
	v_mov_b32_e32 v3, v12
	v_mov_b32_e32 v9, v10
	s_cmp_eq_u32 s16, 0
	s_mul_i32 s16, s6, s7
	s_mul_hi_u32 s17, s6, s6
	v_lshl_add_u64 v[2:3], v[2:3], 4, s[14:15]
	v_lshlrev_b32_e32 v12, 4, v8
	v_mov_b32_e32 v13, v10
	v_cmp_gt_u64_e32 vcc, s[6:7], v[8:9]
	v_lshl_add_u64 v[2:3], v[2:3], 0, v[12:13]
	s_cselect_b64 s[0:1], -1, 0
	s_add_i32 s14, s17, s16
	s_mov_b32 s28, 0
	v_or_b32_e32 v29, 12, v7
	s_add_i32 s29, s14, s16
	s_mul_i32 s30, s6, s6
	v_or_b32_e32 v4, 60, v7
	s_and_b64 s[4:5], s[4:5], vcc
	v_cndmask_b32_e64 v13, v1, v3, s[0:1]
	v_cndmask_b32_e64 v12, v0, v2, s[0:1]
	s_mov_b64 s[14:15], 0
	v_mov_b64_e32 v[16:17], 0
	v_mov_b32_e32 v0, 0
	v_mov_b32_e32 v1, v10
	;; [unrolled: 1-line block ×4, first 2 shown]
	s_ashr_i32 s16, s7, 31
	v_mov_b32_e32 v9, 1
	v_mov_b32_e32 v7, 0
	s_branch .LBB161_10
.LBB161_8:                              ;   in Loop: Header=BB161_10 Depth=1
	s_or_b64 exec, exec, s[18:19]
	v_mov_b32_e32 v17, 1
.LBB161_9:                              ;   in Loop: Header=BB161_10 Depth=1
	s_or_b64 exec, exec, s[0:1]
	v_mov_b32_dpp v18, v14 row_shr:1 row_mask:0xf bank_mask:0xf
	v_mov_b32_dpp v19, v15 row_shr:1 row_mask:0xf bank_mask:0xf
	v_cmp_lt_i64_e32 vcc, v[18:19], v[14:15]
	v_add_u32_e32 v6, v17, v6
	s_waitcnt lgkmcnt(0)
	v_cndmask_b32_e32 v15, v15, v19, vcc
	v_cndmask_b32_e32 v14, v14, v18, vcc
	s_nop 0
	v_mov_b32_dpp v19, v15 row_shr:2 row_mask:0xf bank_mask:0xf
	v_mov_b32_dpp v18, v14 row_shr:2 row_mask:0xf bank_mask:0xf
	v_cmp_lt_i64_e32 vcc, v[18:19], v[14:15]
	s_nop 1
	v_cndmask_b32_e32 v15, v15, v19, vcc
	v_cndmask_b32_e32 v14, v14, v18, vcc
	s_nop 0
	v_mov_b32_dpp v19, v15 row_shr:4 row_mask:0xf bank_mask:0xe
	v_mov_b32_dpp v18, v14 row_shr:4 row_mask:0xf bank_mask:0xe
	v_cmp_lt_i64_e32 vcc, v[18:19], v[14:15]
	s_nop 1
	;; [unrolled: 7-line block ×3, first 2 shown]
	v_cndmask_b32_e32 v7, v14, v18, vcc
	ds_bpermute_b32 v16, v4, v7
	s_waitcnt lgkmcnt(0)
	v_ashrrev_i32_e32 v17, 31, v16
	v_cmp_le_i64_e32 vcc, s[10:11], v[16:17]
	s_or_b64 s[14:15], vcc, s[14:15]
	v_mov_b32_e32 v7, v16
	s_andn2_b64 exec, exec, s[14:15]
	s_cbranch_execz .LBB161_25
.LBB161_10:                             ; =>This Loop Header: Depth=1
                                        ;     Child Loop BB161_13 Depth 2
	v_add_u32_e32 v18, v11, v8
	v_cmp_lt_i32_e32 vcc, v18, v5
	v_mov_b64_e32 v[14:15], s[10:11]
	v_mov_b32_e32 v11, v5
	ds_write_b8 v26, v10 offset:4096
	ds_write_b128 v28, v[0:3]
	s_waitcnt lgkmcnt(0)
	s_and_saveexec_b64 s[18:19], vcc
	s_cbranch_execz .LBB161_22
; %bb.11:                               ;   in Loop: Header=BB161_10 Depth=1
	v_mad_u64_u32 v[20:21], s[0:1], v16, s6, 0
	s_mov_b64 s[20:21], 0
	v_mov_b64_e32 v[14:15], s[10:11]
	v_mov_b32_e32 v21, v5
	s_branch .LBB161_13
.LBB161_12:                             ;   in Loop: Header=BB161_13 Depth=2
	s_or_b64 exec, exec, s[0:1]
	v_add_u32_e32 v18, 4, v18
	v_cmp_ge_i32_e64 s[0:1], v18, v5
	s_xor_b64 s[22:23], vcc, -1
	s_or_b64 s[0:1], s[22:23], s[0:1]
	s_and_b64 s[0:1], exec, s[0:1]
	s_or_b64 s[20:21], s[0:1], s[20:21]
	v_mov_b32_e32 v21, v11
	s_andn2_b64 exec, exec, s[20:21]
	s_cbranch_execz .LBB161_21
.LBB161_13:                             ;   Parent Loop BB161_10 Depth=1
                                        ; =>  This Inner Loop Header: Depth=2
	v_ashrrev_i32_e32 v19, 31, v18
	v_lshl_add_u64 v[22:23], v[18:19], 3, s[8:9]
	global_load_dwordx2 v[22:23], v[22:23], off
	v_mov_b32_e32 v11, s28
                                        ; implicit-def: $vgpr24_vgpr25
	s_waitcnt vmcnt(0)
	v_subrev_co_u32_e32 v22, vcc, s26, v22
	s_nop 1
	v_subb_co_u32_e32 v23, vcc, v23, v11, vcc
	v_or_b32_e32 v11, s7, v23
	v_cmp_ne_u64_e32 vcc, 0, v[10:11]
	s_and_saveexec_b64 s[0:1], vcc
	s_xor_b64 s[22:23], exec, s[0:1]
	s_cbranch_execz .LBB161_15
; %bb.14:                               ;   in Loop: Header=BB161_13 Depth=2
	s_add_u32 s0, s6, s16
	s_mov_b32 s17, s16
	s_addc_u32 s1, s7, s16
	s_xor_b64 s[24:25], s[0:1], s[16:17]
	v_cvt_f32_u32_e32 v11, s24
	v_cvt_f32_u32_e32 v24, s25
	s_sub_u32 s0, 0, s24
	s_subb_u32 s1, 0, s25
	v_mov_b32_e32 v31, v10
	v_fmac_f32_e32 v11, 0x4f800000, v24
	v_rcp_f32_e32 v11, v11
	s_nop 0
	v_mul_f32_e32 v11, 0x5f7ffffc, v11
	v_mul_f32_e32 v24, 0x2f800000, v11
	v_trunc_f32_e32 v24, v24
	v_fmac_f32_e32 v11, 0xcf800000, v24
	v_cvt_u32_f32_e32 v32, v24
	v_cvt_u32_f32_e32 v11, v11
	v_mul_lo_u32 v24, s0, v32
	v_mul_hi_u32 v30, s0, v11
	v_mul_lo_u32 v25, s1, v11
	v_add_u32_e32 v24, v30, v24
	v_mul_lo_u32 v33, s0, v11
	v_add_u32_e32 v34, v24, v25
	v_mul_hi_u32 v25, v11, v34
	v_mul_lo_u32 v24, v11, v34
	v_mul_hi_u32 v30, v11, v33
	v_lshl_add_u64 v[24:25], v[30:31], 0, v[24:25]
	v_mul_hi_u32 v31, v32, v33
	v_mul_lo_u32 v33, v32, v33
	v_add_co_u32_e32 v24, vcc, v24, v33
	v_mul_hi_u32 v30, v32, v34
	s_nop 0
	v_addc_co_u32_e32 v24, vcc, v25, v31, vcc
	v_mov_b32_e32 v25, v10
	s_nop 0
	v_addc_co_u32_e32 v31, vcc, 0, v30, vcc
	v_mul_lo_u32 v30, v32, v34
	v_lshl_add_u64 v[24:25], v[24:25], 0, v[30:31]
	v_add_co_u32_e32 v11, vcc, v11, v24
	v_mul_lo_u32 v30, s0, v11
	s_nop 0
	v_addc_co_u32_e32 v32, vcc, v32, v25, vcc
	v_mul_lo_u32 v24, s0, v32
	v_mul_hi_u32 v25, s0, v11
	v_add_u32_e32 v24, v25, v24
	v_mul_lo_u32 v25, s1, v11
	v_add_u32_e32 v33, v24, v25
	v_mul_hi_u32 v35, v32, v30
	v_mul_lo_u32 v36, v32, v30
	v_mul_hi_u32 v25, v11, v33
	v_mul_lo_u32 v24, v11, v33
	v_mul_hi_u32 v30, v11, v30
	v_mov_b32_e32 v31, v10
	v_lshl_add_u64 v[24:25], v[30:31], 0, v[24:25]
	v_add_co_u32_e32 v24, vcc, v24, v36
	v_mul_hi_u32 v34, v32, v33
	s_nop 0
	v_addc_co_u32_e32 v24, vcc, v25, v35, vcc
	v_mul_lo_u32 v30, v32, v33
	s_nop 0
	v_addc_co_u32_e32 v31, vcc, 0, v34, vcc
	v_mov_b32_e32 v25, v10
	v_lshl_add_u64 v[24:25], v[24:25], 0, v[30:31]
	v_add_co_u32_e32 v11, vcc, v11, v24
	v_ashrrev_i32_e32 v24, 31, v23
	s_nop 0
	v_addc_co_u32_e32 v34, vcc, v32, v25, vcc
	v_mov_b32_e32 v25, v24
	v_lshl_add_u64 v[30:31], v[22:23], 0, v[24:25]
	v_xor_b32_e32 v25, v30, v24
	v_xor_b32_e32 v23, v31, v24
	v_mad_u64_u32 v[30:31], s[0:1], v25, v34, 0
	v_mul_hi_u32 v32, v25, v11
	v_mov_b32_e32 v33, v10
	v_lshl_add_u64 v[30:31], v[32:33], 0, v[30:31]
	v_mad_u64_u32 v[32:33], s[0:1], v23, v34, 0
	v_mad_u64_u32 v[34:35], s[0:1], v23, v11, 0
	v_add_co_u32_e32 v11, vcc, v30, v34
	s_nop 1
	v_addc_co_u32_e32 v30, vcc, v31, v35, vcc
	v_mov_b32_e32 v31, v10
	s_nop 0
	v_addc_co_u32_e32 v33, vcc, 0, v33, vcc
	v_lshl_add_u64 v[30:31], v[30:31], 0, v[32:33]
	v_mul_lo_u32 v11, s25, v30
	v_mul_lo_u32 v34, s24, v31
	v_mad_u64_u32 v[32:33], s[0:1], s24, v30, 0
	v_add3_u32 v11, v33, v34, v11
	v_sub_u32_e32 v33, v23, v11
	v_mov_b32_e32 v34, s25
	v_sub_co_u32_e32 v25, vcc, v25, v32
	s_nop 1
	v_subb_co_u32_e64 v32, s[0:1], v33, v34, vcc
	v_subrev_co_u32_e64 v33, s[0:1], s24, v25
	v_subb_co_u32_e32 v11, vcc, v23, v11, vcc
	s_nop 0
	v_subbrev_co_u32_e64 v32, s[0:1], 0, v32, s[0:1]
	v_cmp_le_u32_e64 s[0:1], s25, v32
	v_cmp_le_u32_e32 vcc, s25, v11
	s_nop 0
	v_cndmask_b32_e64 v34, 0, -1, s[0:1]
	v_cmp_le_u32_e64 s[0:1], s24, v33
	v_cndmask_b32_e64 v23, 0, -1, vcc
	v_cmp_le_u32_e32 vcc, s24, v25
	v_cndmask_b32_e64 v33, 0, -1, s[0:1]
	v_cmp_eq_u32_e64 s[0:1], s25, v32
	v_cndmask_b32_e64 v25, 0, -1, vcc
	v_cmp_eq_u32_e32 vcc, s25, v11
	v_cndmask_b32_e64 v36, v34, v33, s[0:1]
	v_lshl_add_u64 v[32:33], v[30:31], 0, 2
	v_lshl_add_u64 v[34:35], v[30:31], 0, 1
	v_cmp_ne_u32_e64 s[0:1], 0, v36
	v_cndmask_b32_e32 v11, v23, v25, vcc
	v_cmp_ne_u32_e32 vcc, 0, v11
	v_cndmask_b32_e64 v23, v34, v32, s[0:1]
	v_cndmask_b32_e64 v33, v35, v33, s[0:1]
	v_cndmask_b32_e32 v23, v30, v23, vcc
	v_xor_b32_e32 v25, s16, v24
	v_cndmask_b32_e32 v11, v31, v33, vcc
	v_xor_b32_e32 v23, v23, v25
	v_xor_b32_e32 v11, v11, v25
	v_sub_co_u32_e32 v24, vcc, v23, v25
	s_nop 1
	v_subb_co_u32_e32 v25, vcc, v11, v25, vcc
.LBB161_15:                             ;   in Loop: Header=BB161_13 Depth=2
	s_andn2_saveexec_b64 s[0:1], s[22:23]
	s_cbranch_execz .LBB161_17
; %bb.16:                               ;   in Loop: Header=BB161_13 Depth=2
	v_cvt_f32_u32_e32 v11, s6
	s_sub_i32 s17, 0, s6
	v_rcp_iflag_f32_e32 v11, v11
	s_nop 0
	v_mul_f32_e32 v11, 0x4f7ffffe, v11
	v_cvt_u32_f32_e32 v11, v11
	v_mul_lo_u32 v23, s17, v11
	v_mul_hi_u32 v23, v11, v23
	v_add_u32_e32 v11, v11, v23
	v_mul_hi_u32 v11, v22, v11
	v_mul_lo_u32 v23, v11, s6
	v_sub_u32_e32 v23, v22, v23
	v_add_u32_e32 v24, 1, v11
	v_subrev_u32_e32 v25, s6, v23
	v_cmp_le_u32_e32 vcc, s6, v23
	s_nop 1
	v_cndmask_b32_e32 v23, v23, v25, vcc
	v_cndmask_b32_e32 v11, v11, v24, vcc
	v_add_u32_e32 v24, 1, v11
	v_cmp_le_u32_e32 vcc, s6, v23
	v_mov_b32_e32 v25, v10
	s_nop 0
	v_cndmask_b32_e32 v24, v11, v24, vcc
.LBB161_17:                             ;   in Loop: Header=BB161_13 Depth=2
	s_or_b64 exec, exec, s[0:1]
	v_cmp_eq_u64_e32 vcc, v[24:25], v[16:17]
	v_cmp_ne_u64_e64 s[0:1], v[24:25], v[16:17]
	s_and_saveexec_b64 s[22:23], s[0:1]
	s_xor_b64 s[22:23], exec, s[22:23]
; %bb.18:                               ;   in Loop: Header=BB161_13 Depth=2
	v_cmp_lt_i64_e64 s[0:1], v[24:25], v[14:15]
                                        ; implicit-def: $vgpr22_vgpr23
                                        ; implicit-def: $vgpr21
	s_nop 1
	v_cndmask_b32_e64 v15, v15, v25, s[0:1]
	v_cndmask_b32_e64 v14, v14, v24, s[0:1]
; %bb.19:                               ;   in Loop: Header=BB161_13 Depth=2
	s_or_saveexec_b64 s[0:1], s[22:23]
	v_mov_b32_e32 v11, v18
	s_xor_b64 exec, exec, s[0:1]
	s_cbranch_execz .LBB161_12
; %bb.20:                               ;   in Loop: Header=BB161_13 Depth=2
	v_lshl_add_u64 v[24:25], v[18:19], 4, s[12:13]
	global_load_dwordx4 v[30:33], v[24:25], off
	v_sub_u32_e32 v11, v22, v20
	v_add_lshl_u32 v11, v27, v11, 4
	ds_write_b8 v26, v9 offset:4096
	s_waitcnt vmcnt(0)
	ds_write2_b64 v11, v[30:31], v[32:33] offset1:1
	v_mov_b32_e32 v11, v21
	s_branch .LBB161_12
.LBB161_21:                             ;   in Loop: Header=BB161_10 Depth=1
	s_or_b64 exec, exec, s[20:21]
.LBB161_22:                             ;   in Loop: Header=BB161_10 Depth=1
	s_or_b64 exec, exec, s[18:19]
	v_mov_b32_dpp v16, v11 row_shr:1 row_mask:0xf bank_mask:0xf
	v_min_i32_e32 v11, v16, v11
	s_waitcnt lgkmcnt(0)
	ds_read_u8 v16, v26 offset:4096
	v_mov_b32_dpp v17, v11 row_shr:2 row_mask:0xf bank_mask:0xf
	v_min_i32_e32 v11, v17, v11
	ds_bpermute_b32 v11, v29, v11
	v_mov_b32_e32 v17, 0
	s_waitcnt lgkmcnt(1)
	v_and_b32_e32 v16, 1, v16
	v_cmp_eq_u32_e32 vcc, 1, v16
	s_and_saveexec_b64 s[0:1], vcc
	s_cbranch_execz .LBB161_9
; %bb.23:                               ;   in Loop: Header=BB161_10 Depth=1
	v_add_u32_e32 v16, s27, v7
	v_ashrrev_i32_e32 v7, 31, v6
	v_ashrrev_i32_e32 v17, 31, v16
	v_lshl_add_u64 v[18:19], v[6:7], 3, s[2:3]
	global_store_dwordx2 v[18:19], v[16:17], off
	s_and_saveexec_b64 s[18:19], s[4:5]
	s_cbranch_execz .LBB161_8
; %bb.24:                               ;   in Loop: Header=BB161_10 Depth=1
	ds_read2_b64 v[16:19], v28 offset1:1
	v_mul_lo_u32 v22, s29, v6
	v_mul_lo_u32 v7, s30, v7
	v_mad_u64_u32 v[20:21], s[20:21], s30, v6, 0
	v_add3_u32 v21, v21, v7, v22
	v_lshl_add_u64 v[20:21], v[20:21], 4, v[12:13]
	s_waitcnt lgkmcnt(0)
	global_store_dwordx4 v[20:21], v[16:19], off
	s_branch .LBB161_8
.LBB161_25:
	s_endpgm
	.section	.rodata,"a",@progbits
	.p2align	6, 0x0
	.amdhsa_kernel _ZN9rocsparseL42csr2bsr_wavefront_per_row_multipass_kernelILj256ELj16ELj4E21rocsparse_complex_numIdEilEEv20rocsparse_direction_T4_S4_S4_S4_S4_21rocsparse_index_base_PKT2_PKT3_PKS4_S5_PS6_PS9_PS4_
		.amdhsa_group_segment_fixed_size 4112
		.amdhsa_private_segment_fixed_size 0
		.amdhsa_kernarg_size 112
		.amdhsa_user_sgpr_count 2
		.amdhsa_user_sgpr_dispatch_ptr 0
		.amdhsa_user_sgpr_queue_ptr 0
		.amdhsa_user_sgpr_kernarg_segment_ptr 1
		.amdhsa_user_sgpr_dispatch_id 0
		.amdhsa_user_sgpr_kernarg_preload_length 0
		.amdhsa_user_sgpr_kernarg_preload_offset 0
		.amdhsa_user_sgpr_private_segment_size 0
		.amdhsa_uses_dynamic_stack 0
		.amdhsa_enable_private_segment 0
		.amdhsa_system_sgpr_workgroup_id_x 1
		.amdhsa_system_sgpr_workgroup_id_y 0
		.amdhsa_system_sgpr_workgroup_id_z 0
		.amdhsa_system_sgpr_workgroup_info 0
		.amdhsa_system_vgpr_workitem_id 0
		.amdhsa_next_free_vgpr 37
		.amdhsa_next_free_sgpr 31
		.amdhsa_accum_offset 40
		.amdhsa_reserve_vcc 1
		.amdhsa_float_round_mode_32 0
		.amdhsa_float_round_mode_16_64 0
		.amdhsa_float_denorm_mode_32 3
		.amdhsa_float_denorm_mode_16_64 3
		.amdhsa_dx10_clamp 1
		.amdhsa_ieee_mode 1
		.amdhsa_fp16_overflow 0
		.amdhsa_tg_split 0
		.amdhsa_exception_fp_ieee_invalid_op 0
		.amdhsa_exception_fp_denorm_src 0
		.amdhsa_exception_fp_ieee_div_zero 0
		.amdhsa_exception_fp_ieee_overflow 0
		.amdhsa_exception_fp_ieee_underflow 0
		.amdhsa_exception_fp_ieee_inexact 0
		.amdhsa_exception_int_div_zero 0
	.end_amdhsa_kernel
	.section	.text._ZN9rocsparseL42csr2bsr_wavefront_per_row_multipass_kernelILj256ELj16ELj4E21rocsparse_complex_numIdEilEEv20rocsparse_direction_T4_S4_S4_S4_S4_21rocsparse_index_base_PKT2_PKT3_PKS4_S5_PS6_PS9_PS4_,"axG",@progbits,_ZN9rocsparseL42csr2bsr_wavefront_per_row_multipass_kernelILj256ELj16ELj4E21rocsparse_complex_numIdEilEEv20rocsparse_direction_T4_S4_S4_S4_S4_21rocsparse_index_base_PKT2_PKT3_PKS4_S5_PS6_PS9_PS4_,comdat
.Lfunc_end161:
	.size	_ZN9rocsparseL42csr2bsr_wavefront_per_row_multipass_kernelILj256ELj16ELj4E21rocsparse_complex_numIdEilEEv20rocsparse_direction_T4_S4_S4_S4_S4_21rocsparse_index_base_PKT2_PKT3_PKS4_S5_PS6_PS9_PS4_, .Lfunc_end161-_ZN9rocsparseL42csr2bsr_wavefront_per_row_multipass_kernelILj256ELj16ELj4E21rocsparse_complex_numIdEilEEv20rocsparse_direction_T4_S4_S4_S4_S4_21rocsparse_index_base_PKT2_PKT3_PKS4_S5_PS6_PS9_PS4_
                                        ; -- End function
	.section	.AMDGPU.csdata,"",@progbits
; Kernel info:
; codeLenInByte = 2096
; NumSgprs: 37
; NumVgprs: 37
; NumAgprs: 0
; TotalNumVgprs: 37
; ScratchSize: 0
; MemoryBound: 0
; FloatMode: 240
; IeeeMode: 1
; LDSByteSize: 4112 bytes/workgroup (compile time only)
; SGPRBlocks: 4
; VGPRBlocks: 4
; NumSGPRsForWavesPerEU: 37
; NumVGPRsForWavesPerEU: 37
; AccumOffset: 40
; Occupancy: 8
; WaveLimiterHint : 0
; COMPUTE_PGM_RSRC2:SCRATCH_EN: 0
; COMPUTE_PGM_RSRC2:USER_SGPR: 2
; COMPUTE_PGM_RSRC2:TRAP_HANDLER: 0
; COMPUTE_PGM_RSRC2:TGID_X_EN: 1
; COMPUTE_PGM_RSRC2:TGID_Y_EN: 0
; COMPUTE_PGM_RSRC2:TGID_Z_EN: 0
; COMPUTE_PGM_RSRC2:TIDIG_COMP_CNT: 0
; COMPUTE_PGM_RSRC3_GFX90A:ACCUM_OFFSET: 9
; COMPUTE_PGM_RSRC3_GFX90A:TG_SPLIT: 0
	.section	.text._ZN9rocsparseL42csr2bsr_wavefront_per_row_multipass_kernelILj256ELj64ELj8E21rocsparse_complex_numIdEilEEv20rocsparse_direction_T4_S4_S4_S4_S4_21rocsparse_index_base_PKT2_PKT3_PKS4_S5_PS6_PS9_PS4_,"axG",@progbits,_ZN9rocsparseL42csr2bsr_wavefront_per_row_multipass_kernelILj256ELj64ELj8E21rocsparse_complex_numIdEilEEv20rocsparse_direction_T4_S4_S4_S4_S4_21rocsparse_index_base_PKT2_PKT3_PKS4_S5_PS6_PS9_PS4_,comdat
	.globl	_ZN9rocsparseL42csr2bsr_wavefront_per_row_multipass_kernelILj256ELj64ELj8E21rocsparse_complex_numIdEilEEv20rocsparse_direction_T4_S4_S4_S4_S4_21rocsparse_index_base_PKT2_PKT3_PKS4_S5_PS6_PS9_PS4_ ; -- Begin function _ZN9rocsparseL42csr2bsr_wavefront_per_row_multipass_kernelILj256ELj64ELj8E21rocsparse_complex_numIdEilEEv20rocsparse_direction_T4_S4_S4_S4_S4_21rocsparse_index_base_PKT2_PKT3_PKS4_S5_PS6_PS9_PS4_
	.p2align	8
	.type	_ZN9rocsparseL42csr2bsr_wavefront_per_row_multipass_kernelILj256ELj64ELj8E21rocsparse_complex_numIdEilEEv20rocsparse_direction_T4_S4_S4_S4_S4_21rocsparse_index_base_PKT2_PKT3_PKS4_S5_PS6_PS9_PS4_,@function
_ZN9rocsparseL42csr2bsr_wavefront_per_row_multipass_kernelILj256ELj64ELj8E21rocsparse_complex_numIdEilEEv20rocsparse_direction_T4_S4_S4_S4_S4_21rocsparse_index_base_PKT2_PKT3_PKS4_S5_PS6_PS9_PS4_: ; @_ZN9rocsparseL42csr2bsr_wavefront_per_row_multipass_kernelILj256ELj64ELj8E21rocsparse_complex_numIdEilEEv20rocsparse_direction_T4_S4_S4_S4_S4_21rocsparse_index_base_PKT2_PKT3_PKS4_S5_PS6_PS9_PS4_
; %bb.0:
	s_load_dwordx2 s[4:5], s[0:1], 0x8
	s_load_dwordx4 s[8:11], s[0:1], 0x18
	s_load_dwordx2 s[6:7], s[0:1], 0x28
	s_load_dword s26, s[0:1], 0x30
	s_load_dwordx2 s[12:13], s[0:1], 0x40
	s_ashr_i32 s3, s2, 31
	v_lshrrev_b32_e32 v26, 6, v0
	s_lshl_b64 s[14:15], s[2:3], 2
	v_bfe_u32 v4, v0, 3, 3
	v_mov_b32_e32 v5, 0
	v_or_b32_e32 v1, s14, v26
	s_waitcnt lgkmcnt(0)
	v_mul_lo_u32 v6, v1, s7
	v_mad_u64_u32 v[2:3], s[16:17], v1, s6, v[4:5]
	s_mul_i32 s3, s15, s6
	v_add3_u32 v3, s3, v3, v6
	v_cmp_gt_i64_e32 vcc, s[4:5], v[2:3]
	v_cmp_gt_i64_e64 s[4:5], s[6:7], v[4:5]
	s_and_b64 s[14:15], s[4:5], vcc
	v_mov_b32_e32 v11, v5
	s_and_saveexec_b64 s[16:17], s[14:15]
	s_cbranch_execz .LBB162_2
; %bb.1:
	v_lshl_add_u64 v[6:7], v[2:3], 2, s[12:13]
	global_load_dword v1, v[6:7], off
	s_waitcnt vmcnt(0)
	v_subrev_u32_e32 v11, s26, v1
.LBB162_2:
	s_or_b64 exec, exec, s[16:17]
	s_and_saveexec_b64 s[16:17], s[14:15]
	s_cbranch_execz .LBB162_4
; %bb.3:
	v_lshl_add_u64 v[2:3], v[2:3], 2, s[12:13]
	global_load_dword v1, v[2:3], off offset:4
	s_waitcnt vmcnt(0)
	v_subrev_u32_e32 v5, s26, v1
.LBB162_4:
	s_or_b64 exec, exec, s[16:17]
	s_load_dword s27, s[0:1], 0x50
	v_lshl_or_b32 v2, s2, 2, v26
	v_mov_b32_e32 v3, 0
	v_cmp_gt_i64_e32 vcc, s[8:9], v[2:3]
	v_mov_b32_e32 v6, v3
	s_and_saveexec_b64 s[2:3], vcc
	s_cbranch_execz .LBB162_6
; %bb.5:
	s_load_dwordx2 s[8:9], s[0:1], 0x60
	s_waitcnt lgkmcnt(0)
	v_lshl_add_u64 v[2:3], v[2:3], 2, s[8:9]
	global_load_dword v1, v[2:3], off
	s_waitcnt vmcnt(0)
	v_subrev_u32_e32 v6, s27, v1
.LBB162_6:
	s_or_b64 exec, exec, s[2:3]
	v_cmp_lt_i64_e64 s[2:3], s[10:11], 1
	s_and_b64 vcc, exec, s[2:3]
	s_cbranch_vccnz .LBB162_25
; %bb.7:
	v_and_b32_e32 v8, 7, v0
	v_and_b32_e32 v0, 0x3c0, v0
	v_lshl_or_b32 v27, v4, 3, v0
	v_or_b32_e32 v0, v27, v8
	v_lshlrev_b32_e32 v28, 4, v0
	v_mbcnt_lo_u32_b32 v0, -1, 0
	v_mbcnt_hi_u32_b32 v0, -1, v0
	s_load_dwordx2 s[2:3], s[0:1], 0x68
	s_load_dwordx2 s[14:15], s[0:1], 0x58
	;; [unrolled: 1-line block ×4, first 2 shown]
	s_load_dword s16, s[0:1], 0x0
	v_lshlrev_b32_e32 v7, 2, v0
	v_mad_u64_u32 v[0:1], s[0:1], v8, s6, 0
	v_mov_b32_e32 v2, v1
	v_mad_u64_u32 v[2:3], s[0:1], v8, s7, v[2:3]
	v_mov_b32_e32 v10, 0
	v_mov_b32_e32 v1, v2
	s_waitcnt lgkmcnt(0)
	v_lshl_add_u64 v[0:1], v[0:1], 4, s[14:15]
	v_lshlrev_b32_e32 v2, 4, v4
	v_mov_b32_e32 v3, v10
	v_lshl_add_u64 v[0:1], v[0:1], 0, v[2:3]
	v_mad_u64_u32 v[2:3], s[0:1], v4, s6, 0
	v_mov_b32_e32 v12, v3
	v_mad_u64_u32 v[12:13], s[0:1], v4, s7, v[12:13]
	v_mov_b32_e32 v3, v12
	v_mov_b32_e32 v9, v10
	s_cmp_eq_u32 s16, 0
	s_mul_i32 s16, s6, s7
	s_mul_hi_u32 s17, s6, s6
	v_lshl_add_u64 v[2:3], v[2:3], 4, s[14:15]
	v_lshlrev_b32_e32 v12, 4, v8
	v_mov_b32_e32 v13, v10
	v_cmp_gt_u64_e32 vcc, s[6:7], v[8:9]
	v_lshl_add_u64 v[2:3], v[2:3], 0, v[12:13]
	s_cselect_b64 s[0:1], -1, 0
	s_add_i32 s14, s17, s16
	s_mov_b32 s28, 0
	v_or_b32_e32 v29, 28, v7
	s_add_i32 s29, s14, s16
	s_mul_i32 s30, s6, s6
	v_or_b32_e32 v4, 0xfc, v7
	s_and_b64 s[4:5], s[4:5], vcc
	v_cndmask_b32_e64 v13, v1, v3, s[0:1]
	v_cndmask_b32_e64 v12, v0, v2, s[0:1]
	s_mov_b64 s[14:15], 0
	v_mov_b64_e32 v[16:17], 0
	v_mov_b32_e32 v0, 0
	v_mov_b32_e32 v1, v10
	;; [unrolled: 1-line block ×4, first 2 shown]
	s_ashr_i32 s16, s7, 31
	v_mov_b32_e32 v9, 1
	v_mov_b32_e32 v7, 0
	s_branch .LBB162_10
.LBB162_8:                              ;   in Loop: Header=BB162_10 Depth=1
	s_or_b64 exec, exec, s[18:19]
	v_mov_b32_e32 v17, 1
.LBB162_9:                              ;   in Loop: Header=BB162_10 Depth=1
	s_or_b64 exec, exec, s[0:1]
	v_mov_b32_dpp v18, v14 row_shr:1 row_mask:0xf bank_mask:0xf
	v_mov_b32_dpp v19, v15 row_shr:1 row_mask:0xf bank_mask:0xf
	v_cmp_lt_i64_e32 vcc, v[18:19], v[14:15]
	v_add_u32_e32 v6, v17, v6
	s_waitcnt lgkmcnt(0)
	v_cndmask_b32_e32 v15, v15, v19, vcc
	v_cndmask_b32_e32 v14, v14, v18, vcc
	s_nop 0
	v_mov_b32_dpp v19, v15 row_shr:2 row_mask:0xf bank_mask:0xf
	v_mov_b32_dpp v18, v14 row_shr:2 row_mask:0xf bank_mask:0xf
	v_cmp_lt_i64_e32 vcc, v[18:19], v[14:15]
	s_nop 1
	v_cndmask_b32_e32 v15, v15, v19, vcc
	v_cndmask_b32_e32 v14, v14, v18, vcc
	s_nop 0
	v_mov_b32_dpp v19, v15 row_shr:4 row_mask:0xf bank_mask:0xe
	v_mov_b32_dpp v18, v14 row_shr:4 row_mask:0xf bank_mask:0xe
	v_cmp_lt_i64_e32 vcc, v[18:19], v[14:15]
	s_nop 1
	;; [unrolled: 7-line block ×3, first 2 shown]
	v_cndmask_b32_e32 v15, v15, v19, vcc
	v_cndmask_b32_e32 v14, v14, v18, vcc
	s_nop 0
	v_mov_b32_dpp v19, v15 row_bcast:15 row_mask:0xa bank_mask:0xf
	v_mov_b32_dpp v18, v14 row_bcast:15 row_mask:0xa bank_mask:0xf
	v_cmp_lt_i64_e32 vcc, v[18:19], v[14:15]
	s_nop 1
	v_cndmask_b32_e32 v15, v15, v19, vcc
	v_cndmask_b32_e32 v14, v14, v18, vcc
	s_nop 0
	v_mov_b32_dpp v19, v15 row_bcast:31 row_mask:0xc bank_mask:0xf
	v_mov_b32_dpp v18, v14 row_bcast:31 row_mask:0xc bank_mask:0xf
	v_cmp_lt_i64_e32 vcc, v[18:19], v[14:15]
	s_nop 1
	v_cndmask_b32_e32 v7, v14, v18, vcc
	ds_bpermute_b32 v16, v4, v7
	s_waitcnt lgkmcnt(0)
	v_ashrrev_i32_e32 v17, 31, v16
	v_cmp_le_i64_e32 vcc, s[10:11], v[16:17]
	s_or_b64 s[14:15], vcc, s[14:15]
	v_mov_b32_e32 v7, v16
	s_andn2_b64 exec, exec, s[14:15]
	s_cbranch_execz .LBB162_25
.LBB162_10:                             ; =>This Loop Header: Depth=1
                                        ;     Child Loop BB162_13 Depth 2
	v_add_u32_e32 v18, v11, v8
	v_cmp_lt_i32_e32 vcc, v18, v5
	v_mov_b64_e32 v[14:15], s[10:11]
	v_mov_b32_e32 v11, v5
	ds_write_b8 v26, v10 offset:4096
	ds_write_b128 v28, v[0:3]
	s_waitcnt lgkmcnt(0)
	s_and_saveexec_b64 s[18:19], vcc
	s_cbranch_execz .LBB162_22
; %bb.11:                               ;   in Loop: Header=BB162_10 Depth=1
	v_mad_u64_u32 v[20:21], s[0:1], v16, s6, 0
	s_mov_b64 s[20:21], 0
	v_mov_b64_e32 v[14:15], s[10:11]
	v_mov_b32_e32 v21, v5
	s_branch .LBB162_13
.LBB162_12:                             ;   in Loop: Header=BB162_13 Depth=2
	s_or_b64 exec, exec, s[0:1]
	v_add_u32_e32 v18, 8, v18
	v_cmp_ge_i32_e64 s[0:1], v18, v5
	s_xor_b64 s[22:23], vcc, -1
	s_or_b64 s[0:1], s[22:23], s[0:1]
	s_and_b64 s[0:1], exec, s[0:1]
	s_or_b64 s[20:21], s[0:1], s[20:21]
	v_mov_b32_e32 v21, v11
	s_andn2_b64 exec, exec, s[20:21]
	s_cbranch_execz .LBB162_21
.LBB162_13:                             ;   Parent Loop BB162_10 Depth=1
                                        ; =>  This Inner Loop Header: Depth=2
	v_ashrrev_i32_e32 v19, 31, v18
	v_lshl_add_u64 v[22:23], v[18:19], 3, s[8:9]
	global_load_dwordx2 v[22:23], v[22:23], off
	v_mov_b32_e32 v11, s28
                                        ; implicit-def: $vgpr24_vgpr25
	s_waitcnt vmcnt(0)
	v_subrev_co_u32_e32 v22, vcc, s26, v22
	s_nop 1
	v_subb_co_u32_e32 v23, vcc, v23, v11, vcc
	v_or_b32_e32 v11, s7, v23
	v_cmp_ne_u64_e32 vcc, 0, v[10:11]
	s_and_saveexec_b64 s[0:1], vcc
	s_xor_b64 s[22:23], exec, s[0:1]
	s_cbranch_execz .LBB162_15
; %bb.14:                               ;   in Loop: Header=BB162_13 Depth=2
	s_add_u32 s0, s6, s16
	s_mov_b32 s17, s16
	s_addc_u32 s1, s7, s16
	s_xor_b64 s[24:25], s[0:1], s[16:17]
	v_cvt_f32_u32_e32 v11, s24
	v_cvt_f32_u32_e32 v24, s25
	s_sub_u32 s0, 0, s24
	s_subb_u32 s1, 0, s25
	v_mov_b32_e32 v31, v10
	v_fmac_f32_e32 v11, 0x4f800000, v24
	v_rcp_f32_e32 v11, v11
	s_nop 0
	v_mul_f32_e32 v11, 0x5f7ffffc, v11
	v_mul_f32_e32 v24, 0x2f800000, v11
	v_trunc_f32_e32 v24, v24
	v_fmac_f32_e32 v11, 0xcf800000, v24
	v_cvt_u32_f32_e32 v32, v24
	v_cvt_u32_f32_e32 v11, v11
	v_mul_lo_u32 v24, s0, v32
	v_mul_hi_u32 v30, s0, v11
	v_mul_lo_u32 v25, s1, v11
	v_add_u32_e32 v24, v30, v24
	v_mul_lo_u32 v33, s0, v11
	v_add_u32_e32 v34, v24, v25
	v_mul_hi_u32 v25, v11, v34
	v_mul_lo_u32 v24, v11, v34
	v_mul_hi_u32 v30, v11, v33
	v_lshl_add_u64 v[24:25], v[30:31], 0, v[24:25]
	v_mul_hi_u32 v31, v32, v33
	v_mul_lo_u32 v33, v32, v33
	v_add_co_u32_e32 v24, vcc, v24, v33
	v_mul_hi_u32 v30, v32, v34
	s_nop 0
	v_addc_co_u32_e32 v24, vcc, v25, v31, vcc
	v_mov_b32_e32 v25, v10
	s_nop 0
	v_addc_co_u32_e32 v31, vcc, 0, v30, vcc
	v_mul_lo_u32 v30, v32, v34
	v_lshl_add_u64 v[24:25], v[24:25], 0, v[30:31]
	v_add_co_u32_e32 v11, vcc, v11, v24
	v_mul_lo_u32 v30, s0, v11
	s_nop 0
	v_addc_co_u32_e32 v32, vcc, v32, v25, vcc
	v_mul_lo_u32 v24, s0, v32
	v_mul_hi_u32 v25, s0, v11
	v_add_u32_e32 v24, v25, v24
	v_mul_lo_u32 v25, s1, v11
	v_add_u32_e32 v33, v24, v25
	v_mul_hi_u32 v35, v32, v30
	v_mul_lo_u32 v36, v32, v30
	v_mul_hi_u32 v25, v11, v33
	v_mul_lo_u32 v24, v11, v33
	v_mul_hi_u32 v30, v11, v30
	v_mov_b32_e32 v31, v10
	v_lshl_add_u64 v[24:25], v[30:31], 0, v[24:25]
	v_add_co_u32_e32 v24, vcc, v24, v36
	v_mul_hi_u32 v34, v32, v33
	s_nop 0
	v_addc_co_u32_e32 v24, vcc, v25, v35, vcc
	v_mul_lo_u32 v30, v32, v33
	s_nop 0
	v_addc_co_u32_e32 v31, vcc, 0, v34, vcc
	v_mov_b32_e32 v25, v10
	v_lshl_add_u64 v[24:25], v[24:25], 0, v[30:31]
	v_add_co_u32_e32 v11, vcc, v11, v24
	v_ashrrev_i32_e32 v24, 31, v23
	s_nop 0
	v_addc_co_u32_e32 v34, vcc, v32, v25, vcc
	v_mov_b32_e32 v25, v24
	v_lshl_add_u64 v[30:31], v[22:23], 0, v[24:25]
	v_xor_b32_e32 v25, v30, v24
	v_xor_b32_e32 v23, v31, v24
	v_mad_u64_u32 v[30:31], s[0:1], v25, v34, 0
	v_mul_hi_u32 v32, v25, v11
	v_mov_b32_e32 v33, v10
	v_lshl_add_u64 v[30:31], v[32:33], 0, v[30:31]
	v_mad_u64_u32 v[32:33], s[0:1], v23, v34, 0
	v_mad_u64_u32 v[34:35], s[0:1], v23, v11, 0
	v_add_co_u32_e32 v11, vcc, v30, v34
	s_nop 1
	v_addc_co_u32_e32 v30, vcc, v31, v35, vcc
	v_mov_b32_e32 v31, v10
	s_nop 0
	v_addc_co_u32_e32 v33, vcc, 0, v33, vcc
	v_lshl_add_u64 v[30:31], v[30:31], 0, v[32:33]
	v_mul_lo_u32 v11, s25, v30
	v_mul_lo_u32 v34, s24, v31
	v_mad_u64_u32 v[32:33], s[0:1], s24, v30, 0
	v_add3_u32 v11, v33, v34, v11
	v_sub_u32_e32 v33, v23, v11
	v_mov_b32_e32 v34, s25
	v_sub_co_u32_e32 v25, vcc, v25, v32
	s_nop 1
	v_subb_co_u32_e64 v32, s[0:1], v33, v34, vcc
	v_subrev_co_u32_e64 v33, s[0:1], s24, v25
	v_subb_co_u32_e32 v11, vcc, v23, v11, vcc
	s_nop 0
	v_subbrev_co_u32_e64 v32, s[0:1], 0, v32, s[0:1]
	v_cmp_le_u32_e64 s[0:1], s25, v32
	v_cmp_le_u32_e32 vcc, s25, v11
	s_nop 0
	v_cndmask_b32_e64 v34, 0, -1, s[0:1]
	v_cmp_le_u32_e64 s[0:1], s24, v33
	v_cndmask_b32_e64 v23, 0, -1, vcc
	v_cmp_le_u32_e32 vcc, s24, v25
	v_cndmask_b32_e64 v33, 0, -1, s[0:1]
	v_cmp_eq_u32_e64 s[0:1], s25, v32
	v_cndmask_b32_e64 v25, 0, -1, vcc
	v_cmp_eq_u32_e32 vcc, s25, v11
	v_cndmask_b32_e64 v36, v34, v33, s[0:1]
	v_lshl_add_u64 v[32:33], v[30:31], 0, 2
	v_lshl_add_u64 v[34:35], v[30:31], 0, 1
	v_cmp_ne_u32_e64 s[0:1], 0, v36
	v_cndmask_b32_e32 v11, v23, v25, vcc
	v_cmp_ne_u32_e32 vcc, 0, v11
	v_cndmask_b32_e64 v23, v34, v32, s[0:1]
	v_cndmask_b32_e64 v33, v35, v33, s[0:1]
	v_cndmask_b32_e32 v23, v30, v23, vcc
	v_xor_b32_e32 v25, s16, v24
	v_cndmask_b32_e32 v11, v31, v33, vcc
	v_xor_b32_e32 v23, v23, v25
	v_xor_b32_e32 v11, v11, v25
	v_sub_co_u32_e32 v24, vcc, v23, v25
	s_nop 1
	v_subb_co_u32_e32 v25, vcc, v11, v25, vcc
.LBB162_15:                             ;   in Loop: Header=BB162_13 Depth=2
	s_andn2_saveexec_b64 s[0:1], s[22:23]
	s_cbranch_execz .LBB162_17
; %bb.16:                               ;   in Loop: Header=BB162_13 Depth=2
	v_cvt_f32_u32_e32 v11, s6
	s_sub_i32 s17, 0, s6
	v_rcp_iflag_f32_e32 v11, v11
	s_nop 0
	v_mul_f32_e32 v11, 0x4f7ffffe, v11
	v_cvt_u32_f32_e32 v11, v11
	v_mul_lo_u32 v23, s17, v11
	v_mul_hi_u32 v23, v11, v23
	v_add_u32_e32 v11, v11, v23
	v_mul_hi_u32 v11, v22, v11
	v_mul_lo_u32 v23, v11, s6
	v_sub_u32_e32 v23, v22, v23
	v_add_u32_e32 v24, 1, v11
	v_subrev_u32_e32 v25, s6, v23
	v_cmp_le_u32_e32 vcc, s6, v23
	s_nop 1
	v_cndmask_b32_e32 v23, v23, v25, vcc
	v_cndmask_b32_e32 v11, v11, v24, vcc
	v_add_u32_e32 v24, 1, v11
	v_cmp_le_u32_e32 vcc, s6, v23
	v_mov_b32_e32 v25, v10
	s_nop 0
	v_cndmask_b32_e32 v24, v11, v24, vcc
.LBB162_17:                             ;   in Loop: Header=BB162_13 Depth=2
	s_or_b64 exec, exec, s[0:1]
	v_cmp_eq_u64_e32 vcc, v[24:25], v[16:17]
	v_cmp_ne_u64_e64 s[0:1], v[24:25], v[16:17]
	s_and_saveexec_b64 s[22:23], s[0:1]
	s_xor_b64 s[22:23], exec, s[22:23]
; %bb.18:                               ;   in Loop: Header=BB162_13 Depth=2
	v_cmp_lt_i64_e64 s[0:1], v[24:25], v[14:15]
                                        ; implicit-def: $vgpr22_vgpr23
                                        ; implicit-def: $vgpr21
	s_nop 1
	v_cndmask_b32_e64 v15, v15, v25, s[0:1]
	v_cndmask_b32_e64 v14, v14, v24, s[0:1]
; %bb.19:                               ;   in Loop: Header=BB162_13 Depth=2
	s_or_saveexec_b64 s[0:1], s[22:23]
	v_mov_b32_e32 v11, v18
	s_xor_b64 exec, exec, s[0:1]
	s_cbranch_execz .LBB162_12
; %bb.20:                               ;   in Loop: Header=BB162_13 Depth=2
	v_lshl_add_u64 v[24:25], v[18:19], 4, s[12:13]
	global_load_dwordx4 v[30:33], v[24:25], off
	v_sub_u32_e32 v11, v22, v20
	v_add_lshl_u32 v11, v27, v11, 4
	ds_write_b8 v26, v9 offset:4096
	s_waitcnt vmcnt(0)
	ds_write2_b64 v11, v[30:31], v[32:33] offset1:1
	v_mov_b32_e32 v11, v21
	s_branch .LBB162_12
.LBB162_21:                             ;   in Loop: Header=BB162_10 Depth=1
	s_or_b64 exec, exec, s[20:21]
.LBB162_22:                             ;   in Loop: Header=BB162_10 Depth=1
	s_or_b64 exec, exec, s[18:19]
	v_mov_b32_dpp v16, v11 row_shr:1 row_mask:0xf bank_mask:0xf
	v_min_i32_e32 v11, v16, v11
	s_waitcnt lgkmcnt(0)
	s_nop 0
	v_mov_b32_dpp v16, v11 row_shr:2 row_mask:0xf bank_mask:0xf
	v_min_i32_e32 v11, v16, v11
	ds_read_u8 v16, v26 offset:4096
	s_waitcnt lgkmcnt(0)
	v_and_b32_e32 v16, 1, v16
	v_mov_b32_dpp v17, v11 row_shr:4 row_mask:0xf bank_mask:0xe
	v_min_i32_e32 v11, v17, v11
	ds_bpermute_b32 v11, v29, v11
	v_cmp_eq_u32_e32 vcc, 1, v16
	v_mov_b32_e32 v17, 0
	s_and_saveexec_b64 s[0:1], vcc
	s_cbranch_execz .LBB162_9
; %bb.23:                               ;   in Loop: Header=BB162_10 Depth=1
	v_add_u32_e32 v16, s27, v7
	v_ashrrev_i32_e32 v7, 31, v6
	v_ashrrev_i32_e32 v17, 31, v16
	v_lshl_add_u64 v[18:19], v[6:7], 3, s[2:3]
	global_store_dwordx2 v[18:19], v[16:17], off
	s_and_saveexec_b64 s[18:19], s[4:5]
	s_cbranch_execz .LBB162_8
; %bb.24:                               ;   in Loop: Header=BB162_10 Depth=1
	ds_read2_b64 v[16:19], v28 offset1:1
	v_mul_lo_u32 v22, s29, v6
	v_mul_lo_u32 v7, s30, v7
	v_mad_u64_u32 v[20:21], s[20:21], s30, v6, 0
	v_add3_u32 v21, v21, v7, v22
	v_lshl_add_u64 v[20:21], v[20:21], 4, v[12:13]
	s_waitcnt lgkmcnt(0)
	global_store_dwordx4 v[20:21], v[16:19], off
	s_branch .LBB162_8
.LBB162_25:
	s_endpgm
	.section	.rodata,"a",@progbits
	.p2align	6, 0x0
	.amdhsa_kernel _ZN9rocsparseL42csr2bsr_wavefront_per_row_multipass_kernelILj256ELj64ELj8E21rocsparse_complex_numIdEilEEv20rocsparse_direction_T4_S4_S4_S4_S4_21rocsparse_index_base_PKT2_PKT3_PKS4_S5_PS6_PS9_PS4_
		.amdhsa_group_segment_fixed_size 4104
		.amdhsa_private_segment_fixed_size 0
		.amdhsa_kernarg_size 112
		.amdhsa_user_sgpr_count 2
		.amdhsa_user_sgpr_dispatch_ptr 0
		.amdhsa_user_sgpr_queue_ptr 0
		.amdhsa_user_sgpr_kernarg_segment_ptr 1
		.amdhsa_user_sgpr_dispatch_id 0
		.amdhsa_user_sgpr_kernarg_preload_length 0
		.amdhsa_user_sgpr_kernarg_preload_offset 0
		.amdhsa_user_sgpr_private_segment_size 0
		.amdhsa_uses_dynamic_stack 0
		.amdhsa_enable_private_segment 0
		.amdhsa_system_sgpr_workgroup_id_x 1
		.amdhsa_system_sgpr_workgroup_id_y 0
		.amdhsa_system_sgpr_workgroup_id_z 0
		.amdhsa_system_sgpr_workgroup_info 0
		.amdhsa_system_vgpr_workitem_id 0
		.amdhsa_next_free_vgpr 37
		.amdhsa_next_free_sgpr 31
		.amdhsa_accum_offset 40
		.amdhsa_reserve_vcc 1
		.amdhsa_float_round_mode_32 0
		.amdhsa_float_round_mode_16_64 0
		.amdhsa_float_denorm_mode_32 3
		.amdhsa_float_denorm_mode_16_64 3
		.amdhsa_dx10_clamp 1
		.amdhsa_ieee_mode 1
		.amdhsa_fp16_overflow 0
		.amdhsa_tg_split 0
		.amdhsa_exception_fp_ieee_invalid_op 0
		.amdhsa_exception_fp_denorm_src 0
		.amdhsa_exception_fp_ieee_div_zero 0
		.amdhsa_exception_fp_ieee_overflow 0
		.amdhsa_exception_fp_ieee_underflow 0
		.amdhsa_exception_fp_ieee_inexact 0
		.amdhsa_exception_int_div_zero 0
	.end_amdhsa_kernel
	.section	.text._ZN9rocsparseL42csr2bsr_wavefront_per_row_multipass_kernelILj256ELj64ELj8E21rocsparse_complex_numIdEilEEv20rocsparse_direction_T4_S4_S4_S4_S4_21rocsparse_index_base_PKT2_PKT3_PKS4_S5_PS6_PS9_PS4_,"axG",@progbits,_ZN9rocsparseL42csr2bsr_wavefront_per_row_multipass_kernelILj256ELj64ELj8E21rocsparse_complex_numIdEilEEv20rocsparse_direction_T4_S4_S4_S4_S4_21rocsparse_index_base_PKT2_PKT3_PKS4_S5_PS6_PS9_PS4_,comdat
.Lfunc_end162:
	.size	_ZN9rocsparseL42csr2bsr_wavefront_per_row_multipass_kernelILj256ELj64ELj8E21rocsparse_complex_numIdEilEEv20rocsparse_direction_T4_S4_S4_S4_S4_21rocsparse_index_base_PKT2_PKT3_PKS4_S5_PS6_PS9_PS4_, .Lfunc_end162-_ZN9rocsparseL42csr2bsr_wavefront_per_row_multipass_kernelILj256ELj64ELj8E21rocsparse_complex_numIdEilEEv20rocsparse_direction_T4_S4_S4_S4_S4_21rocsparse_index_base_PKT2_PKT3_PKS4_S5_PS6_PS9_PS4_
                                        ; -- End function
	.section	.AMDGPU.csdata,"",@progbits
; Kernel info:
; codeLenInByte = 2188
; NumSgprs: 37
; NumVgprs: 37
; NumAgprs: 0
; TotalNumVgprs: 37
; ScratchSize: 0
; MemoryBound: 0
; FloatMode: 240
; IeeeMode: 1
; LDSByteSize: 4104 bytes/workgroup (compile time only)
; SGPRBlocks: 4
; VGPRBlocks: 4
; NumSGPRsForWavesPerEU: 37
; NumVGPRsForWavesPerEU: 37
; AccumOffset: 40
; Occupancy: 8
; WaveLimiterHint : 0
; COMPUTE_PGM_RSRC2:SCRATCH_EN: 0
; COMPUTE_PGM_RSRC2:USER_SGPR: 2
; COMPUTE_PGM_RSRC2:TRAP_HANDLER: 0
; COMPUTE_PGM_RSRC2:TGID_X_EN: 1
; COMPUTE_PGM_RSRC2:TGID_Y_EN: 0
; COMPUTE_PGM_RSRC2:TGID_Z_EN: 0
; COMPUTE_PGM_RSRC2:TIDIG_COMP_CNT: 0
; COMPUTE_PGM_RSRC3_GFX90A:ACCUM_OFFSET: 9
; COMPUTE_PGM_RSRC3_GFX90A:TG_SPLIT: 0
	.section	.text._ZN9rocsparseL42csr2bsr_wavefront_per_row_multipass_kernelILj256ELj32ELj8E21rocsparse_complex_numIdEilEEv20rocsparse_direction_T4_S4_S4_S4_S4_21rocsparse_index_base_PKT2_PKT3_PKS4_S5_PS6_PS9_PS4_,"axG",@progbits,_ZN9rocsparseL42csr2bsr_wavefront_per_row_multipass_kernelILj256ELj32ELj8E21rocsparse_complex_numIdEilEEv20rocsparse_direction_T4_S4_S4_S4_S4_21rocsparse_index_base_PKT2_PKT3_PKS4_S5_PS6_PS9_PS4_,comdat
	.globl	_ZN9rocsparseL42csr2bsr_wavefront_per_row_multipass_kernelILj256ELj32ELj8E21rocsparse_complex_numIdEilEEv20rocsparse_direction_T4_S4_S4_S4_S4_21rocsparse_index_base_PKT2_PKT3_PKS4_S5_PS6_PS9_PS4_ ; -- Begin function _ZN9rocsparseL42csr2bsr_wavefront_per_row_multipass_kernelILj256ELj32ELj8E21rocsparse_complex_numIdEilEEv20rocsparse_direction_T4_S4_S4_S4_S4_21rocsparse_index_base_PKT2_PKT3_PKS4_S5_PS6_PS9_PS4_
	.p2align	8
	.type	_ZN9rocsparseL42csr2bsr_wavefront_per_row_multipass_kernelILj256ELj32ELj8E21rocsparse_complex_numIdEilEEv20rocsparse_direction_T4_S4_S4_S4_S4_21rocsparse_index_base_PKT2_PKT3_PKS4_S5_PS6_PS9_PS4_,@function
_ZN9rocsparseL42csr2bsr_wavefront_per_row_multipass_kernelILj256ELj32ELj8E21rocsparse_complex_numIdEilEEv20rocsparse_direction_T4_S4_S4_S4_S4_21rocsparse_index_base_PKT2_PKT3_PKS4_S5_PS6_PS9_PS4_: ; @_ZN9rocsparseL42csr2bsr_wavefront_per_row_multipass_kernelILj256ELj32ELj8E21rocsparse_complex_numIdEilEEv20rocsparse_direction_T4_S4_S4_S4_S4_21rocsparse_index_base_PKT2_PKT3_PKS4_S5_PS6_PS9_PS4_
; %bb.0:
	s_load_dwordx2 s[4:5], s[0:1], 0x8
	s_load_dwordx4 s[8:11], s[0:1], 0x18
	s_load_dwordx2 s[6:7], s[0:1], 0x28
	s_load_dword s30, s[0:1], 0x30
	s_load_dwordx2 s[12:13], s[0:1], 0x40
	s_ashr_i32 s3, s2, 31
	v_lshrrev_b32_e32 v32, 5, v0
	s_lshl_b64 s[14:15], s[2:3], 3
	v_bfe_u32 v4, v0, 2, 3
	v_mov_b32_e32 v5, 0
	v_or_b32_e32 v1, s14, v32
	s_waitcnt lgkmcnt(0)
	v_mul_lo_u32 v6, v1, s7
	v_mad_u64_u32 v[2:3], s[16:17], v1, s6, v[4:5]
	s_mul_i32 s3, s15, s6
	v_add3_u32 v3, s3, v3, v6
	v_cmp_gt_i64_e32 vcc, s[4:5], v[2:3]
	v_cmp_gt_i64_e64 s[4:5], s[6:7], v[4:5]
	s_and_b64 s[14:15], s[4:5], vcc
	v_mov_b32_e32 v9, v5
	s_and_saveexec_b64 s[16:17], s[14:15]
	s_cbranch_execz .LBB163_2
; %bb.1:
	v_lshl_add_u64 v[6:7], v[2:3], 2, s[12:13]
	global_load_dword v1, v[6:7], off
	s_waitcnt vmcnt(0)
	v_subrev_u32_e32 v9, s30, v1
.LBB163_2:
	s_or_b64 exec, exec, s[16:17]
	s_and_saveexec_b64 s[16:17], s[14:15]
	s_cbranch_execz .LBB163_4
; %bb.3:
	v_lshl_add_u64 v[2:3], v[2:3], 2, s[12:13]
	global_load_dword v1, v[2:3], off offset:4
	s_waitcnt vmcnt(0)
	v_subrev_u32_e32 v5, s30, v1
.LBB163_4:
	s_or_b64 exec, exec, s[16:17]
	s_load_dword s31, s[0:1], 0x50
	v_lshl_or_b32 v2, s2, 3, v32
	v_mov_b32_e32 v3, 0
	v_cmp_gt_i64_e32 vcc, s[8:9], v[2:3]
	v_mov_b32_e32 v6, v3
	s_and_saveexec_b64 s[2:3], vcc
	s_cbranch_execz .LBB163_6
; %bb.5:
	s_load_dwordx2 s[8:9], s[0:1], 0x60
	s_waitcnt lgkmcnt(0)
	v_lshl_add_u64 v[2:3], v[2:3], 2, s[8:9]
	global_load_dword v1, v[2:3], off
	s_waitcnt vmcnt(0)
	v_subrev_u32_e32 v6, s31, v1
.LBB163_6:
	s_or_b64 exec, exec, s[2:3]
	v_cmp_lt_i64_e64 s[2:3], s[10:11], 1
	s_and_b64 vcc, exec, s[2:3]
	s_cbranch_vccnz .LBB163_34
; %bb.7:
	s_load_dwordx2 s[2:3], s[0:1], 0x68
	s_load_dwordx2 s[16:17], s[0:1], 0x58
	v_and_b32_e32 v12, 3, v0
	v_lshlrev_b32_e32 v0, 6, v32
	s_mul_i32 s8, s6, s7
	s_mul_hi_u32 s9, s6, s6
	v_lshl_or_b32 v33, v4, 3, v0
	v_mbcnt_lo_u32_b32 v0, -1, 0
	s_add_i32 s9, s9, s8
	v_mov_b32_e32 v8, 0
	v_mbcnt_hi_u32_b32 v0, -1, v0
	s_add_i32 s33, s9, s8
	s_load_dwordx2 s[8:9], s[0:1], 0x48
	v_lshlrev_b32_e32 v2, 4, v4
	v_mov_b32_e32 v3, v8
	s_load_dwordx2 s[12:13], s[0:1], 0x38
	s_load_dword s14, s[0:1], 0x0
	v_lshlrev_b32_e32 v7, 2, v0
	v_mad_u64_u32 v[0:1], s[0:1], v4, s6, 0
	s_waitcnt lgkmcnt(0)
	v_lshl_add_u64 v[10:11], s[16:17], 0, v[2:3]
	v_mov_b32_e32 v2, v1
	v_mad_u64_u32 v[2:3], s[0:1], v4, s7, v[2:3]
	v_mov_b32_e32 v1, v2
	v_lshl_add_u64 v[14:15], v[0:1], 4, s[16:17]
	v_or_b32_e32 v0, v33, v12
	v_mad_u64_u32 v[16:17], s[0:1], v12, s6, 0
	v_lshlrev_b32_e32 v35, 4, v0
	v_mov_b32_e32 v0, v17
	v_mad_u64_u32 v[0:1], s[0:1], v12, s7, v[0:1]
	v_mov_b32_e32 v17, v0
	v_or_b32_e32 v0, 4, v12
	v_mad_u64_u32 v[18:19], s[16:17], v0, s6, 0
	s_mov_b32 s35, 0
	v_mov_b32_e32 v1, v8
	v_mov_b32_e32 v2, v19
	;; [unrolled: 1-line block ×3, first 2 shown]
	v_cmp_gt_u64_e64 s[0:1], s[6:7], v[0:1]
	v_mad_u64_u32 v[0:1], s[16:17], v0, s7, v[2:3]
	s_mov_b32 s20, s35
	s_mov_b32 s21, s35
	s_cmp_lg_u32 s14, 0
	v_cmp_gt_u64_e32 vcc, s[6:7], v[12:13]
	v_mov_b32_e32 v19, v0
	s_mov_b32 s22, s35
	s_mov_b32 s23, s35
	v_mov_b64_e32 v[0:1], s[20:21]
	s_mul_i32 s34, s6, s6
	v_or_b32_e32 v34, 12, v7
	s_cselect_b64 s[14:15], -1, 0
	v_or_b32_e32 v4, 0x7c, v7
	v_or_b32_e32 v36, 64, v35
	s_and_b64 s[16:17], s[4:5], vcc
	s_and_b64 s[4:5], s[4:5], s[0:1]
	s_mov_b64 s[18:19], 0
	v_mov_b64_e32 v[22:23], 0
	v_mov_b64_e32 v[2:3], s[22:23]
	s_ashr_i32 s20, s7, 31
	v_mov_b32_e32 v13, 1
	v_mov_b32_e32 v7, 0
	s_branch .LBB163_11
.LBB163_8:                              ;   in Loop: Header=BB163_11 Depth=1
	s_nop 0
	v_mov_b32_e32 v26, s21
.LBB163_9:                              ;   in Loop: Header=BB163_11 Depth=1
	s_or_b64 exec, exec, s[22:23]
.LBB163_10:                             ;   in Loop: Header=BB163_11 Depth=1
	s_or_b64 exec, exec, s[0:1]
	v_mov_b32_dpp v22, v20 row_shr:1 row_mask:0xf bank_mask:0xf
	v_mov_b32_dpp v23, v21 row_shr:1 row_mask:0xf bank_mask:0xf
	v_cmp_lt_i64_e32 vcc, v[22:23], v[20:21]
	v_add_u32_e32 v6, v26, v6
	s_waitcnt lgkmcnt(0)
	v_cndmask_b32_e32 v21, v21, v23, vcc
	v_cndmask_b32_e32 v20, v20, v22, vcc
	s_nop 0
	v_mov_b32_dpp v23, v21 row_shr:2 row_mask:0xf bank_mask:0xf
	v_mov_b32_dpp v22, v20 row_shr:2 row_mask:0xf bank_mask:0xf
	v_cmp_lt_i64_e32 vcc, v[22:23], v[20:21]
	s_nop 1
	v_cndmask_b32_e32 v21, v21, v23, vcc
	v_cndmask_b32_e32 v20, v20, v22, vcc
	s_nop 0
	v_mov_b32_dpp v23, v21 row_shr:4 row_mask:0xf bank_mask:0xe
	v_mov_b32_dpp v22, v20 row_shr:4 row_mask:0xf bank_mask:0xe
	v_cmp_lt_i64_e32 vcc, v[22:23], v[20:21]
	s_nop 1
	;; [unrolled: 7-line block ×3, first 2 shown]
	v_cndmask_b32_e32 v21, v21, v23, vcc
	v_cndmask_b32_e32 v20, v20, v22, vcc
	s_nop 0
	v_mov_b32_dpp v23, v21 row_bcast:15 row_mask:0xa bank_mask:0xf
	v_mov_b32_dpp v22, v20 row_bcast:15 row_mask:0xa bank_mask:0xf
	v_cmp_lt_i64_e32 vcc, v[22:23], v[20:21]
	s_nop 1
	v_cndmask_b32_e32 v7, v20, v22, vcc
	ds_bpermute_b32 v22, v4, v7
	s_waitcnt lgkmcnt(0)
	v_ashrrev_i32_e32 v23, 31, v22
	v_cmp_le_i64_e32 vcc, s[10:11], v[22:23]
	s_or_b64 s[18:19], vcc, s[18:19]
	v_mov_b32_e32 v7, v22
	s_andn2_b64 exec, exec, s[18:19]
	s_cbranch_execz .LBB163_34
.LBB163_11:                             ; =>This Loop Header: Depth=1
                                        ;     Child Loop BB163_14 Depth 2
	v_add_u32_e32 v24, v9, v12
	v_cmp_lt_i32_e32 vcc, v24, v5
	v_mov_b64_e32 v[20:21], s[10:11]
	v_mov_b32_e32 v9, v5
	ds_write_b8 v32, v8 offset:8192
	ds_write_b128 v35, v[0:3]
	ds_write_b128 v35, v[0:3] offset:64
	s_waitcnt lgkmcnt(0)
	s_and_saveexec_b64 s[22:23], vcc
	s_cbranch_execz .LBB163_23
; %bb.12:                               ;   in Loop: Header=BB163_11 Depth=1
	v_mad_u64_u32 v[26:27], s[0:1], v22, s6, 0
	s_mov_b64 s[24:25], 0
	v_mov_b64_e32 v[20:21], s[10:11]
	v_mov_b32_e32 v27, v5
	s_branch .LBB163_14
.LBB163_13:                             ;   in Loop: Header=BB163_14 Depth=2
	s_or_b64 exec, exec, s[0:1]
	v_add_u32_e32 v24, 4, v24
	v_cmp_ge_i32_e64 s[0:1], v24, v5
	s_xor_b64 s[26:27], vcc, -1
	s_or_b64 s[0:1], s[26:27], s[0:1]
	s_and_b64 s[0:1], exec, s[0:1]
	s_or_b64 s[24:25], s[0:1], s[24:25]
	v_mov_b32_e32 v27, v9
	s_andn2_b64 exec, exec, s[24:25]
	s_cbranch_execz .LBB163_22
.LBB163_14:                             ;   Parent Loop BB163_11 Depth=1
                                        ; =>  This Inner Loop Header: Depth=2
	v_ashrrev_i32_e32 v25, 31, v24
	v_lshl_add_u64 v[28:29], v[24:25], 3, s[8:9]
	global_load_dwordx2 v[28:29], v[28:29], off
	v_mov_b32_e32 v9, s35
                                        ; implicit-def: $vgpr30_vgpr31
	s_waitcnt vmcnt(0)
	v_subrev_co_u32_e32 v28, vcc, s30, v28
	s_nop 1
	v_subb_co_u32_e32 v29, vcc, v29, v9, vcc
	v_or_b32_e32 v9, s7, v29
	v_cmp_ne_u64_e32 vcc, 0, v[8:9]
	s_and_saveexec_b64 s[0:1], vcc
	s_xor_b64 s[26:27], exec, s[0:1]
	s_cbranch_execz .LBB163_16
; %bb.15:                               ;   in Loop: Header=BB163_14 Depth=2
	s_add_u32 s0, s6, s20
	s_mov_b32 s21, s20
	s_addc_u32 s1, s7, s20
	s_xor_b64 s[28:29], s[0:1], s[20:21]
	v_cvt_f32_u32_e32 v9, s28
	v_cvt_f32_u32_e32 v30, s29
	s_sub_u32 s0, 0, s28
	s_subb_u32 s1, 0, s29
	v_mov_b32_e32 v39, v8
	v_fmac_f32_e32 v9, 0x4f800000, v30
	v_rcp_f32_e32 v9, v9
	s_nop 0
	v_mul_f32_e32 v9, 0x5f7ffffc, v9
	v_mul_f32_e32 v30, 0x2f800000, v9
	v_trunc_f32_e32 v30, v30
	v_fmac_f32_e32 v9, 0xcf800000, v30
	v_cvt_u32_f32_e32 v37, v30
	v_cvt_u32_f32_e32 v9, v9
	v_mul_lo_u32 v30, s0, v37
	v_mul_hi_u32 v38, s0, v9
	v_mul_lo_u32 v31, s1, v9
	v_add_u32_e32 v30, v38, v30
	v_mul_lo_u32 v40, s0, v9
	v_add_u32_e32 v41, v30, v31
	v_mul_hi_u32 v31, v9, v41
	v_mul_lo_u32 v30, v9, v41
	v_mul_hi_u32 v38, v9, v40
	v_lshl_add_u64 v[30:31], v[38:39], 0, v[30:31]
	v_mul_hi_u32 v39, v37, v40
	v_mul_lo_u32 v40, v37, v40
	v_add_co_u32_e32 v30, vcc, v30, v40
	v_mul_hi_u32 v38, v37, v41
	s_nop 0
	v_addc_co_u32_e32 v30, vcc, v31, v39, vcc
	v_mov_b32_e32 v31, v8
	s_nop 0
	v_addc_co_u32_e32 v39, vcc, 0, v38, vcc
	v_mul_lo_u32 v38, v37, v41
	v_lshl_add_u64 v[30:31], v[30:31], 0, v[38:39]
	v_add_co_u32_e32 v9, vcc, v9, v30
	v_mul_lo_u32 v38, s0, v9
	s_nop 0
	v_addc_co_u32_e32 v37, vcc, v37, v31, vcc
	v_mul_lo_u32 v30, s0, v37
	v_mul_hi_u32 v31, s0, v9
	v_add_u32_e32 v30, v31, v30
	v_mul_lo_u32 v31, s1, v9
	v_add_u32_e32 v40, v30, v31
	v_mul_hi_u32 v42, v37, v38
	v_mul_lo_u32 v43, v37, v38
	v_mul_hi_u32 v31, v9, v40
	v_mul_lo_u32 v30, v9, v40
	v_mul_hi_u32 v38, v9, v38
	v_mov_b32_e32 v39, v8
	v_lshl_add_u64 v[30:31], v[38:39], 0, v[30:31]
	v_add_co_u32_e32 v30, vcc, v30, v43
	v_mul_hi_u32 v41, v37, v40
	s_nop 0
	v_addc_co_u32_e32 v30, vcc, v31, v42, vcc
	v_mul_lo_u32 v38, v37, v40
	s_nop 0
	v_addc_co_u32_e32 v39, vcc, 0, v41, vcc
	v_mov_b32_e32 v31, v8
	v_lshl_add_u64 v[30:31], v[30:31], 0, v[38:39]
	v_add_co_u32_e32 v9, vcc, v9, v30
	v_ashrrev_i32_e32 v30, 31, v29
	s_nop 0
	v_addc_co_u32_e32 v37, vcc, v37, v31, vcc
	v_mov_b32_e32 v31, v30
	v_lshl_add_u64 v[38:39], v[28:29], 0, v[30:31]
	v_xor_b32_e32 v31, v38, v30
	v_xor_b32_e32 v29, v39, v30
	v_mad_u64_u32 v[38:39], s[0:1], v31, v37, 0
	v_mul_hi_u32 v40, v31, v9
	v_mov_b32_e32 v41, v8
	v_lshl_add_u64 v[38:39], v[40:41], 0, v[38:39]
	v_mad_u64_u32 v[42:43], s[0:1], v29, v9, 0
	v_add_co_u32_e32 v9, vcc, v38, v42
	v_mad_u64_u32 v[40:41], s[0:1], v29, v37, 0
	s_nop 0
	v_addc_co_u32_e32 v38, vcc, v39, v43, vcc
	v_mov_b32_e32 v39, v8
	s_nop 0
	v_addc_co_u32_e32 v41, vcc, 0, v41, vcc
	v_lshl_add_u64 v[38:39], v[38:39], 0, v[40:41]
	v_mul_lo_u32 v9, s29, v38
	v_mul_lo_u32 v37, s28, v39
	v_mad_u64_u32 v[40:41], s[0:1], s28, v38, 0
	v_add3_u32 v9, v41, v37, v9
	v_sub_u32_e32 v37, v29, v9
	v_mov_b32_e32 v41, s29
	v_sub_co_u32_e32 v31, vcc, v31, v40
	v_lshl_add_u64 v[42:43], v[38:39], 0, 1
	s_nop 0
	v_subb_co_u32_e64 v37, s[0:1], v37, v41, vcc
	v_subrev_co_u32_e64 v40, s[0:1], s28, v31
	v_subb_co_u32_e32 v9, vcc, v29, v9, vcc
	s_nop 0
	v_subbrev_co_u32_e64 v37, s[0:1], 0, v37, s[0:1]
	v_cmp_le_u32_e64 s[0:1], s29, v37
	v_cmp_le_u32_e32 vcc, s29, v9
	s_nop 0
	v_cndmask_b32_e64 v41, 0, -1, s[0:1]
	v_cmp_le_u32_e64 s[0:1], s28, v40
	v_cndmask_b32_e64 v29, 0, -1, vcc
	v_cmp_le_u32_e32 vcc, s28, v31
	v_cndmask_b32_e64 v40, 0, -1, s[0:1]
	v_cmp_eq_u32_e64 s[0:1], s29, v37
	v_cndmask_b32_e64 v31, 0, -1, vcc
	v_cmp_eq_u32_e32 vcc, s29, v9
	v_cndmask_b32_e64 v37, v41, v40, s[0:1]
	v_lshl_add_u64 v[40:41], v[38:39], 0, 2
	v_cmp_ne_u32_e64 s[0:1], 0, v37
	v_cndmask_b32_e32 v9, v29, v31, vcc
	v_cmp_ne_u32_e32 vcc, 0, v9
	v_cndmask_b32_e64 v29, v42, v40, s[0:1]
	v_cndmask_b32_e64 v37, v43, v41, s[0:1]
	v_cndmask_b32_e32 v29, v38, v29, vcc
	v_xor_b32_e32 v31, s20, v30
	v_cndmask_b32_e32 v9, v39, v37, vcc
	v_xor_b32_e32 v29, v29, v31
	v_xor_b32_e32 v9, v9, v31
	v_sub_co_u32_e32 v30, vcc, v29, v31
	s_nop 1
	v_subb_co_u32_e32 v31, vcc, v9, v31, vcc
.LBB163_16:                             ;   in Loop: Header=BB163_14 Depth=2
	s_andn2_saveexec_b64 s[0:1], s[26:27]
	s_cbranch_execz .LBB163_18
; %bb.17:                               ;   in Loop: Header=BB163_14 Depth=2
	v_cvt_f32_u32_e32 v9, s6
	s_sub_i32 s21, 0, s6
	v_rcp_iflag_f32_e32 v9, v9
	s_nop 0
	v_mul_f32_e32 v9, 0x4f7ffffe, v9
	v_cvt_u32_f32_e32 v9, v9
	v_mul_lo_u32 v29, s21, v9
	v_mul_hi_u32 v29, v9, v29
	v_add_u32_e32 v9, v9, v29
	v_mul_hi_u32 v9, v28, v9
	v_mul_lo_u32 v29, v9, s6
	v_sub_u32_e32 v29, v28, v29
	v_add_u32_e32 v30, 1, v9
	v_subrev_u32_e32 v31, s6, v29
	v_cmp_le_u32_e32 vcc, s6, v29
	s_nop 1
	v_cndmask_b32_e32 v29, v29, v31, vcc
	v_cndmask_b32_e32 v9, v9, v30, vcc
	v_add_u32_e32 v30, 1, v9
	v_cmp_le_u32_e32 vcc, s6, v29
	v_mov_b32_e32 v31, v8
	s_nop 0
	v_cndmask_b32_e32 v30, v9, v30, vcc
.LBB163_18:                             ;   in Loop: Header=BB163_14 Depth=2
	s_or_b64 exec, exec, s[0:1]
	v_cmp_eq_u64_e32 vcc, v[30:31], v[22:23]
	v_cmp_ne_u64_e64 s[0:1], v[30:31], v[22:23]
	s_and_saveexec_b64 s[26:27], s[0:1]
	s_xor_b64 s[26:27], exec, s[26:27]
; %bb.19:                               ;   in Loop: Header=BB163_14 Depth=2
	v_cmp_lt_i64_e64 s[0:1], v[30:31], v[20:21]
                                        ; implicit-def: $vgpr28_vgpr29
                                        ; implicit-def: $vgpr27
	s_nop 1
	v_cndmask_b32_e64 v21, v21, v31, s[0:1]
	v_cndmask_b32_e64 v20, v20, v30, s[0:1]
; %bb.20:                               ;   in Loop: Header=BB163_14 Depth=2
	s_or_saveexec_b64 s[0:1], s[26:27]
	v_mov_b32_e32 v9, v24
	s_xor_b64 exec, exec, s[0:1]
	s_cbranch_execz .LBB163_13
; %bb.21:                               ;   in Loop: Header=BB163_14 Depth=2
	v_lshl_add_u64 v[30:31], v[24:25], 4, s[12:13]
	global_load_dwordx4 v[38:41], v[30:31], off
	v_sub_u32_e32 v9, v28, v26
	v_add_lshl_u32 v9, v33, v9, 4
	ds_write_b8 v32, v13 offset:8192
	s_waitcnt vmcnt(0)
	ds_write2_b64 v9, v[38:39], v[40:41] offset1:1
	v_mov_b32_e32 v9, v27
	s_branch .LBB163_13
.LBB163_22:                             ;   in Loop: Header=BB163_11 Depth=1
	s_or_b64 exec, exec, s[24:25]
.LBB163_23:                             ;   in Loop: Header=BB163_11 Depth=1
	s_or_b64 exec, exec, s[22:23]
	v_mov_b32_dpp v22, v9 row_shr:1 row_mask:0xf bank_mask:0xf
	v_min_i32_e32 v9, v22, v9
	s_waitcnt lgkmcnt(0)
	ds_read_u8 v22, v32 offset:8192
	v_mov_b32_dpp v23, v9 row_shr:2 row_mask:0xf bank_mask:0xf
	v_min_i32_e32 v9, v23, v9
	ds_bpermute_b32 v9, v34, v9
	v_mov_b32_e32 v26, 0
	s_waitcnt lgkmcnt(1)
	v_and_b32_e32 v22, 1, v22
	v_cmp_eq_u32_e32 vcc, 1, v22
	s_and_saveexec_b64 s[0:1], vcc
	s_cbranch_execz .LBB163_10
; %bb.24:                               ;   in Loop: Header=BB163_11 Depth=1
	v_add_u32_e32 v22, s31, v7
	v_ashrrev_i32_e32 v7, 31, v6
	v_ashrrev_i32_e32 v23, 31, v22
	v_lshl_add_u64 v[24:25], v[6:7], 3, s[2:3]
	global_store_dwordx2 v[24:25], v[22:23], off
	v_mul_lo_u32 v24, s33, v6
	v_mul_lo_u32 v7, s34, v7
	v_mad_u64_u32 v[22:23], s[22:23], s34, v6, 0
	v_add3_u32 v23, v23, v7, v24
	v_lshlrev_b64 v[22:23], 4, v[22:23]
	v_lshl_add_u64 v[24:25], v[10:11], 0, v[22:23]
	v_lshl_add_u64 v[22:23], v[14:15], 0, v[22:23]
	s_and_saveexec_b64 s[22:23], s[16:17]
	s_cbranch_execz .LBB163_28
; %bb.25:                               ;   in Loop: Header=BB163_11 Depth=1
	s_and_b64 vcc, exec, s[14:15]
	s_cbranch_vccz .LBB163_31
; %bb.26:                               ;   in Loop: Header=BB163_11 Depth=1
	ds_read2_b64 v[26:29], v35 offset1:1
	v_lshl_add_u64 v[30:31], v[16:17], 4, v[24:25]
	s_waitcnt lgkmcnt(0)
	global_store_dwordx4 v[30:31], v[26:29], off
	s_cbranch_execnz .LBB163_28
.LBB163_27:                             ;   in Loop: Header=BB163_11 Depth=1
	ds_read2_b64 v[26:29], v35 offset1:1
	v_lshlrev_b32_e32 v30, 4, v12
	v_mov_b32_e32 v31, v8
	v_lshl_add_u64 v[30:31], v[22:23], 0, v[30:31]
	s_waitcnt lgkmcnt(0)
	global_store_dwordx4 v[30:31], v[26:29], off
.LBB163_28:                             ;   in Loop: Header=BB163_11 Depth=1
	s_or_b64 exec, exec, s[22:23]
	s_nop 0
	v_mov_b32_e32 v26, 1
	s_and_saveexec_b64 s[22:23], s[4:5]
	s_cbranch_execz .LBB163_9
; %bb.29:                               ;   in Loop: Header=BB163_11 Depth=1
	s_andn2_b64 vcc, exec, s[14:15]
	s_cbranch_vccnz .LBB163_32
; %bb.30:                               ;   in Loop: Header=BB163_11 Depth=1
	ds_read2_b64 v[26:29], v36 offset1:1
	v_lshl_add_u64 v[24:25], v[18:19], 4, v[24:25]
	s_mov_b32 s21, 1
	s_waitcnt lgkmcnt(0)
	global_store_dwordx4 v[24:25], v[26:29], off
	s_cbranch_execnz .LBB163_8
	s_branch .LBB163_33
.LBB163_31:                             ;   in Loop: Header=BB163_11 Depth=1
	s_branch .LBB163_27
.LBB163_32:                             ;   in Loop: Header=BB163_11 Depth=1
                                        ; implicit-def: $sgpr21
.LBB163_33:                             ;   in Loop: Header=BB163_11 Depth=1
	ds_read2_b64 v[24:27], v36 offset1:1
	v_lshlrev_b32_e32 v28, 4, v12
	v_mov_b32_e32 v29, v8
	v_lshl_add_u64 v[22:23], v[22:23], 0, v[28:29]
	s_mov_b32 s21, 1
	s_waitcnt lgkmcnt(0)
	global_store_dwordx4 v[22:23], v[24:27], off offset:64
	s_branch .LBB163_8
.LBB163_34:
	s_endpgm
	.section	.rodata,"a",@progbits
	.p2align	6, 0x0
	.amdhsa_kernel _ZN9rocsparseL42csr2bsr_wavefront_per_row_multipass_kernelILj256ELj32ELj8E21rocsparse_complex_numIdEilEEv20rocsparse_direction_T4_S4_S4_S4_S4_21rocsparse_index_base_PKT2_PKT3_PKS4_S5_PS6_PS9_PS4_
		.amdhsa_group_segment_fixed_size 8200
		.amdhsa_private_segment_fixed_size 0
		.amdhsa_kernarg_size 112
		.amdhsa_user_sgpr_count 2
		.amdhsa_user_sgpr_dispatch_ptr 0
		.amdhsa_user_sgpr_queue_ptr 0
		.amdhsa_user_sgpr_kernarg_segment_ptr 1
		.amdhsa_user_sgpr_dispatch_id 0
		.amdhsa_user_sgpr_kernarg_preload_length 0
		.amdhsa_user_sgpr_kernarg_preload_offset 0
		.amdhsa_user_sgpr_private_segment_size 0
		.amdhsa_uses_dynamic_stack 0
		.amdhsa_enable_private_segment 0
		.amdhsa_system_sgpr_workgroup_id_x 1
		.amdhsa_system_sgpr_workgroup_id_y 0
		.amdhsa_system_sgpr_workgroup_id_z 0
		.amdhsa_system_sgpr_workgroup_info 0
		.amdhsa_system_vgpr_workitem_id 0
		.amdhsa_next_free_vgpr 44
		.amdhsa_next_free_sgpr 36
		.amdhsa_accum_offset 44
		.amdhsa_reserve_vcc 1
		.amdhsa_float_round_mode_32 0
		.amdhsa_float_round_mode_16_64 0
		.amdhsa_float_denorm_mode_32 3
		.amdhsa_float_denorm_mode_16_64 3
		.amdhsa_dx10_clamp 1
		.amdhsa_ieee_mode 1
		.amdhsa_fp16_overflow 0
		.amdhsa_tg_split 0
		.amdhsa_exception_fp_ieee_invalid_op 0
		.amdhsa_exception_fp_denorm_src 0
		.amdhsa_exception_fp_ieee_div_zero 0
		.amdhsa_exception_fp_ieee_overflow 0
		.amdhsa_exception_fp_ieee_underflow 0
		.amdhsa_exception_fp_ieee_inexact 0
		.amdhsa_exception_int_div_zero 0
	.end_amdhsa_kernel
	.section	.text._ZN9rocsparseL42csr2bsr_wavefront_per_row_multipass_kernelILj256ELj32ELj8E21rocsparse_complex_numIdEilEEv20rocsparse_direction_T4_S4_S4_S4_S4_21rocsparse_index_base_PKT2_PKT3_PKS4_S5_PS6_PS9_PS4_,"axG",@progbits,_ZN9rocsparseL42csr2bsr_wavefront_per_row_multipass_kernelILj256ELj32ELj8E21rocsparse_complex_numIdEilEEv20rocsparse_direction_T4_S4_S4_S4_S4_21rocsparse_index_base_PKT2_PKT3_PKS4_S5_PS6_PS9_PS4_,comdat
.Lfunc_end163:
	.size	_ZN9rocsparseL42csr2bsr_wavefront_per_row_multipass_kernelILj256ELj32ELj8E21rocsparse_complex_numIdEilEEv20rocsparse_direction_T4_S4_S4_S4_S4_21rocsparse_index_base_PKT2_PKT3_PKS4_S5_PS6_PS9_PS4_, .Lfunc_end163-_ZN9rocsparseL42csr2bsr_wavefront_per_row_multipass_kernelILj256ELj32ELj8E21rocsparse_complex_numIdEilEEv20rocsparse_direction_T4_S4_S4_S4_S4_21rocsparse_index_base_PKT2_PKT3_PKS4_S5_PS6_PS9_PS4_
                                        ; -- End function
	.section	.AMDGPU.csdata,"",@progbits
; Kernel info:
; codeLenInByte = 2344
; NumSgprs: 42
; NumVgprs: 44
; NumAgprs: 0
; TotalNumVgprs: 44
; ScratchSize: 0
; MemoryBound: 0
; FloatMode: 240
; IeeeMode: 1
; LDSByteSize: 8200 bytes/workgroup (compile time only)
; SGPRBlocks: 5
; VGPRBlocks: 5
; NumSGPRsForWavesPerEU: 42
; NumVGPRsForWavesPerEU: 44
; AccumOffset: 44
; Occupancy: 7
; WaveLimiterHint : 0
; COMPUTE_PGM_RSRC2:SCRATCH_EN: 0
; COMPUTE_PGM_RSRC2:USER_SGPR: 2
; COMPUTE_PGM_RSRC2:TRAP_HANDLER: 0
; COMPUTE_PGM_RSRC2:TGID_X_EN: 1
; COMPUTE_PGM_RSRC2:TGID_Y_EN: 0
; COMPUTE_PGM_RSRC2:TGID_Z_EN: 0
; COMPUTE_PGM_RSRC2:TIDIG_COMP_CNT: 0
; COMPUTE_PGM_RSRC3_GFX90A:ACCUM_OFFSET: 10
; COMPUTE_PGM_RSRC3_GFX90A:TG_SPLIT: 0
	.section	.text._ZN9rocsparseL42csr2bsr_wavefront_per_row_multipass_kernelILj256ELj64ELj16E21rocsparse_complex_numIdEilEEv20rocsparse_direction_T4_S4_S4_S4_S4_21rocsparse_index_base_PKT2_PKT3_PKS4_S5_PS6_PS9_PS4_,"axG",@progbits,_ZN9rocsparseL42csr2bsr_wavefront_per_row_multipass_kernelILj256ELj64ELj16E21rocsparse_complex_numIdEilEEv20rocsparse_direction_T4_S4_S4_S4_S4_21rocsparse_index_base_PKT2_PKT3_PKS4_S5_PS6_PS9_PS4_,comdat
	.globl	_ZN9rocsparseL42csr2bsr_wavefront_per_row_multipass_kernelILj256ELj64ELj16E21rocsparse_complex_numIdEilEEv20rocsparse_direction_T4_S4_S4_S4_S4_21rocsparse_index_base_PKT2_PKT3_PKS4_S5_PS6_PS9_PS4_ ; -- Begin function _ZN9rocsparseL42csr2bsr_wavefront_per_row_multipass_kernelILj256ELj64ELj16E21rocsparse_complex_numIdEilEEv20rocsparse_direction_T4_S4_S4_S4_S4_21rocsparse_index_base_PKT2_PKT3_PKS4_S5_PS6_PS9_PS4_
	.p2align	8
	.type	_ZN9rocsparseL42csr2bsr_wavefront_per_row_multipass_kernelILj256ELj64ELj16E21rocsparse_complex_numIdEilEEv20rocsparse_direction_T4_S4_S4_S4_S4_21rocsparse_index_base_PKT2_PKT3_PKS4_S5_PS6_PS9_PS4_,@function
_ZN9rocsparseL42csr2bsr_wavefront_per_row_multipass_kernelILj256ELj64ELj16E21rocsparse_complex_numIdEilEEv20rocsparse_direction_T4_S4_S4_S4_S4_21rocsparse_index_base_PKT2_PKT3_PKS4_S5_PS6_PS9_PS4_: ; @_ZN9rocsparseL42csr2bsr_wavefront_per_row_multipass_kernelILj256ELj64ELj16E21rocsparse_complex_numIdEilEEv20rocsparse_direction_T4_S4_S4_S4_S4_21rocsparse_index_base_PKT2_PKT3_PKS4_S5_PS6_PS9_PS4_
; %bb.0:
	s_load_dwordx2 s[4:5], s[0:1], 0x8
	s_load_dwordx4 s[8:11], s[0:1], 0x18
	s_load_dwordx2 s[12:13], s[0:1], 0x28
	s_load_dword s33, s[0:1], 0x30
	s_load_dwordx2 s[6:7], s[0:1], 0x40
	s_ashr_i32 s3, s2, 31
	v_lshrrev_b32_e32 v36, 6, v0
	s_lshl_b64 s[14:15], s[2:3], 2
	v_bfe_u32 v4, v0, 2, 4
	v_mov_b32_e32 v5, 0
	v_or_b32_e32 v1, s14, v36
	s_waitcnt lgkmcnt(0)
	v_mul_lo_u32 v6, v1, s13
	v_mad_u64_u32 v[2:3], s[16:17], v1, s12, v[4:5]
	s_mul_i32 s3, s15, s12
	v_add3_u32 v3, s3, v3, v6
	v_cmp_gt_i64_e32 vcc, s[4:5], v[2:3]
	v_cmp_gt_i64_e64 s[4:5], s[12:13], v[4:5]
	s_and_b64 s[14:15], s[4:5], vcc
	v_mov_b32_e32 v9, v5
	s_and_saveexec_b64 s[16:17], s[14:15]
	s_cbranch_execz .LBB164_2
; %bb.1:
	v_lshl_add_u64 v[6:7], v[2:3], 2, s[6:7]
	global_load_dword v1, v[6:7], off
	s_waitcnt vmcnt(0)
	v_subrev_u32_e32 v9, s33, v1
.LBB164_2:
	s_or_b64 exec, exec, s[16:17]
	s_and_saveexec_b64 s[16:17], s[14:15]
	s_cbranch_execz .LBB164_4
; %bb.3:
	v_lshl_add_u64 v[2:3], v[2:3], 2, s[6:7]
	global_load_dword v1, v[2:3], off offset:4
	s_waitcnt vmcnt(0)
	v_subrev_u32_e32 v5, s33, v1
.LBB164_4:
	s_or_b64 exec, exec, s[16:17]
	s_load_dword s36, s[0:1], 0x50
	v_lshl_or_b32 v2, s2, 2, v36
	v_mov_b32_e32 v3, 0
	v_cmp_gt_i64_e32 vcc, s[8:9], v[2:3]
	v_mov_b32_e32 v6, v3
	s_and_saveexec_b64 s[2:3], vcc
	s_cbranch_execz .LBB164_6
; %bb.5:
	s_load_dwordx2 s[6:7], s[0:1], 0x60
	s_waitcnt lgkmcnt(0)
	v_lshl_add_u64 v[2:3], v[2:3], 2, s[6:7]
	global_load_dword v1, v[2:3], off
	s_waitcnt vmcnt(0)
	v_subrev_u32_e32 v6, s36, v1
.LBB164_6:
	s_or_b64 exec, exec, s[2:3]
	v_cmp_lt_i64_e64 s[2:3], s[10:11], 1
	s_and_b64 vcc, exec, s[2:3]
	s_cbranch_vccnz .LBB164_44
; %bb.7:
	s_mul_i32 s2, s12, s13
	s_mul_hi_u32 s3, s12, s12
	s_add_i32 s3, s3, s2
	s_load_dwordx2 s[8:9], s[0:1], 0x68
	s_add_i32 s37, s3, s2
	s_load_dwordx2 s[2:3], s[0:1], 0x58
	s_load_dwordx2 s[14:15], s[0:1], 0x48
	v_and_b32_e32 v12, 3, v0
	v_mbcnt_lo_u32_b32 v0, -1, 0
	v_mov_b32_e32 v8, 0
	v_mbcnt_hi_u32_b32 v0, -1, v0
	v_lshlrev_b32_e32 v2, 4, v4
	v_mov_b32_e32 v3, v8
	s_load_dwordx2 s[16:17], s[0:1], 0x38
	s_load_dword s6, s[0:1], 0x0
	v_lshlrev_b32_e32 v7, 2, v0
	v_mad_u64_u32 v[0:1], s[0:1], v4, s12, 0
	s_waitcnt lgkmcnt(0)
	v_lshl_add_u64 v[10:11], s[2:3], 0, v[2:3]
	v_lshl_or_b32 v37, v36, 8, v2
	v_mov_b32_e32 v2, v1
	v_mad_u64_u32 v[2:3], s[0:1], v4, s13, v[2:3]
	v_mov_b32_e32 v1, v2
	v_lshl_add_u64 v[14:15], v[0:1], 4, s[2:3]
	v_or_b32_e32 v0, v37, v12
	v_mad_u64_u32 v[16:17], s[0:1], v12, s12, 0
	v_lshlrev_b32_e32 v39, 4, v0
	v_mov_b32_e32 v0, v17
	v_mad_u64_u32 v[0:1], s[0:1], v12, s13, v[0:1]
	v_mov_b32_e32 v17, v0
	v_or_b32_e32 v0, 4, v12
	v_mad_u64_u32 v[18:19], s[2:3], v0, s12, 0
	v_mov_b32_e32 v1, v8
	v_mov_b32_e32 v2, v19
	v_cmp_gt_u64_e64 s[0:1], s[12:13], v[0:1]
	v_mad_u64_u32 v[0:1], s[2:3], v0, s13, v[2:3]
	v_mov_b32_e32 v19, v0
	v_or_b32_e32 v0, 8, v12
	s_cmp_lg_u32 s6, 0
	v_mad_u64_u32 v[20:21], s[6:7], v0, s12, 0
	v_mov_b32_e32 v1, v8
	v_mov_b32_e32 v2, v21
	v_cmp_gt_u64_e64 s[2:3], s[12:13], v[0:1]
	v_mad_u64_u32 v[0:1], s[6:7], v0, s13, v[2:3]
	v_mov_b32_e32 v21, v0
	v_or_b32_e32 v0, 12, v12
	v_mad_u64_u32 v[22:23], s[20:21], v0, s12, 0
	v_mov_b32_e32 v1, v8
	v_mov_b32_e32 v2, v23
	v_cmp_gt_u64_e64 s[6:7], s[12:13], v[0:1]
	v_mad_u64_u32 v[0:1], s[20:21], v0, s13, v[2:3]
	v_mov_b32_e32 v23, v0
	v_cvt_f32_u32_e32 v0, s12
	v_or_b32_e32 v38, 12, v7
	v_or_b32_e32 v4, 0xfc, v7
	v_mov_b32_e32 v13, v8
	v_rcp_iflag_f32_e32 v7, v0
	s_mov_b32 s39, 0
	v_cmp_gt_u64_e32 vcc, s[12:13], v[12:13]
	s_mov_b32 s24, s39
	v_mul_f32_e32 v7, 0x4f7ffffe, v7
	v_cvt_u32_f32_e32 v13, v7
	s_mov_b32 s25, s39
	s_mov_b32 s26, s39
	;; [unrolled: 1-line block ×3, first 2 shown]
	v_mov_b64_e32 v[0:1], s[24:25]
	s_mul_i32 s38, s12, s12
	s_cselect_b64 s[18:19], -1, 0
	v_or_b32_e32 v40, 64, v39
	v_or_b32_e32 v41, 0x80, v39
	;; [unrolled: 1-line block ×3, first 2 shown]
	s_and_b64 s[20:21], s[4:5], vcc
	s_and_b64 s[22:23], s[4:5], s[0:1]
	s_and_b64 s[2:3], s[4:5], s[2:3]
	;; [unrolled: 1-line block ×3, first 2 shown]
	s_mov_b64 s[6:7], 0
	v_mov_b64_e32 v[26:27], 0
	v_mov_b64_e32 v[2:3], s[26:27]
	s_ashr_i32 s24, s13, 31
	v_mov_b32_e32 v43, 1
	v_mov_b32_e32 v7, 0
	s_branch .LBB164_11
.LBB164_8:                              ;   in Loop: Header=BB164_11 Depth=1
	s_nop 0
	v_mov_b32_e32 v30, s25
.LBB164_9:                              ;   in Loop: Header=BB164_11 Depth=1
	s_or_b64 exec, exec, s[28:29]
.LBB164_10:                             ;   in Loop: Header=BB164_11 Depth=1
	s_or_b64 exec, exec, s[26:27]
	v_mov_b32_dpp v26, v24 row_shr:1 row_mask:0xf bank_mask:0xf
	v_mov_b32_dpp v27, v25 row_shr:1 row_mask:0xf bank_mask:0xf
	v_cmp_lt_i64_e32 vcc, v[26:27], v[24:25]
	v_add_u32_e32 v6, v30, v6
	s_waitcnt lgkmcnt(0)
	v_cndmask_b32_e32 v25, v25, v27, vcc
	v_cndmask_b32_e32 v24, v24, v26, vcc
	s_nop 0
	v_mov_b32_dpp v27, v25 row_shr:2 row_mask:0xf bank_mask:0xf
	v_mov_b32_dpp v26, v24 row_shr:2 row_mask:0xf bank_mask:0xf
	v_cmp_lt_i64_e32 vcc, v[26:27], v[24:25]
	s_nop 1
	v_cndmask_b32_e32 v25, v25, v27, vcc
	v_cndmask_b32_e32 v24, v24, v26, vcc
	s_nop 0
	v_mov_b32_dpp v27, v25 row_shr:4 row_mask:0xf bank_mask:0xe
	v_mov_b32_dpp v26, v24 row_shr:4 row_mask:0xf bank_mask:0xe
	v_cmp_lt_i64_e32 vcc, v[26:27], v[24:25]
	s_nop 1
	;; [unrolled: 7-line block ×3, first 2 shown]
	v_cndmask_b32_e32 v25, v25, v27, vcc
	v_cndmask_b32_e32 v24, v24, v26, vcc
	s_nop 0
	v_mov_b32_dpp v27, v25 row_bcast:15 row_mask:0xa bank_mask:0xf
	v_mov_b32_dpp v26, v24 row_bcast:15 row_mask:0xa bank_mask:0xf
	v_cmp_lt_i64_e32 vcc, v[26:27], v[24:25]
	s_nop 1
	v_cndmask_b32_e32 v25, v25, v27, vcc
	v_cndmask_b32_e32 v24, v24, v26, vcc
	s_nop 0
	v_mov_b32_dpp v27, v25 row_bcast:31 row_mask:0xc bank_mask:0xf
	v_mov_b32_dpp v26, v24 row_bcast:31 row_mask:0xc bank_mask:0xf
	v_cmp_lt_i64_e32 vcc, v[26:27], v[24:25]
	s_nop 1
	v_cndmask_b32_e32 v7, v24, v26, vcc
	ds_bpermute_b32 v26, v4, v7
	s_waitcnt lgkmcnt(0)
	v_ashrrev_i32_e32 v27, 31, v26
	v_cmp_le_i64_e32 vcc, s[10:11], v[26:27]
	s_or_b64 s[6:7], vcc, s[6:7]
	v_mov_b32_e32 v7, v26
	s_andn2_b64 exec, exec, s[6:7]
	s_cbranch_execz .LBB164_44
.LBB164_11:                             ; =>This Loop Header: Depth=1
                                        ;     Child Loop BB164_14 Depth 2
	v_add_u32_e32 v28, v9, v12
	v_cmp_lt_i32_e32 vcc, v28, v5
	v_mov_b64_e32 v[24:25], s[10:11]
	v_mov_b32_e32 v9, v5
	ds_write_b8 v36, v8 offset:16384
	ds_write_b128 v39, v[0:3]
	ds_write_b128 v39, v[0:3] offset:64
	ds_write_b128 v39, v[0:3] offset:128
	;; [unrolled: 1-line block ×3, first 2 shown]
	s_waitcnt lgkmcnt(0)
	s_and_saveexec_b64 s[26:27], vcc
	s_cbranch_execz .LBB164_23
; %bb.12:                               ;   in Loop: Header=BB164_11 Depth=1
	v_mad_u64_u32 v[30:31], s[0:1], v26, s12, 0
	s_mov_b64 s[28:29], 0
	v_mov_b64_e32 v[24:25], s[10:11]
	v_mov_b32_e32 v31, v5
	s_branch .LBB164_14
.LBB164_13:                             ;   in Loop: Header=BB164_14 Depth=2
	s_or_b64 exec, exec, s[0:1]
	v_add_u32_e32 v28, 4, v28
	v_cmp_ge_i32_e64 s[0:1], v28, v5
	s_xor_b64 s[30:31], vcc, -1
	s_or_b64 s[0:1], s[30:31], s[0:1]
	s_and_b64 s[0:1], exec, s[0:1]
	s_or_b64 s[28:29], s[0:1], s[28:29]
	v_mov_b32_e32 v31, v9
	s_andn2_b64 exec, exec, s[28:29]
	s_cbranch_execz .LBB164_22
.LBB164_14:                             ;   Parent Loop BB164_11 Depth=1
                                        ; =>  This Inner Loop Header: Depth=2
	v_ashrrev_i32_e32 v29, 31, v28
	v_lshl_add_u64 v[32:33], v[28:29], 3, s[14:15]
	global_load_dwordx2 v[32:33], v[32:33], off
	v_mov_b32_e32 v9, s39
                                        ; implicit-def: $vgpr34_vgpr35
	s_waitcnt vmcnt(0)
	v_subrev_co_u32_e32 v32, vcc, s33, v32
	s_nop 1
	v_subb_co_u32_e32 v33, vcc, v33, v9, vcc
	v_or_b32_e32 v9, s13, v33
	v_cmp_ne_u64_e32 vcc, 0, v[8:9]
	s_and_saveexec_b64 s[0:1], vcc
	s_xor_b64 s[30:31], exec, s[0:1]
	s_cbranch_execz .LBB164_16
; %bb.15:                               ;   in Loop: Header=BB164_14 Depth=2
	s_add_u32 s0, s12, s24
	s_mov_b32 s25, s24
	s_addc_u32 s1, s13, s24
	s_xor_b64 s[34:35], s[0:1], s[24:25]
	v_cvt_f32_u32_e32 v9, s34
	v_cvt_f32_u32_e32 v34, s35
	s_sub_u32 s0, 0, s34
	s_subb_u32 s1, 0, s35
	v_mov_b32_e32 v45, v8
	v_fmac_f32_e32 v9, 0x4f800000, v34
	v_rcp_f32_e32 v9, v9
	s_nop 0
	v_mul_f32_e32 v9, 0x5f7ffffc, v9
	v_mul_f32_e32 v34, 0x2f800000, v9
	v_trunc_f32_e32 v34, v34
	v_fmac_f32_e32 v9, 0xcf800000, v34
	v_cvt_u32_f32_e32 v46, v34
	v_cvt_u32_f32_e32 v9, v9
	v_mul_lo_u32 v34, s0, v46
	v_mul_hi_u32 v44, s0, v9
	v_mul_lo_u32 v35, s1, v9
	v_add_u32_e32 v34, v44, v34
	v_mul_lo_u32 v47, s0, v9
	v_add_u32_e32 v48, v34, v35
	v_mul_hi_u32 v35, v9, v48
	v_mul_lo_u32 v34, v9, v48
	v_mul_hi_u32 v44, v9, v47
	v_lshl_add_u64 v[34:35], v[44:45], 0, v[34:35]
	v_mul_hi_u32 v45, v46, v47
	v_mul_lo_u32 v47, v46, v47
	v_add_co_u32_e32 v34, vcc, v34, v47
	v_mul_hi_u32 v44, v46, v48
	s_nop 0
	v_addc_co_u32_e32 v34, vcc, v35, v45, vcc
	v_mov_b32_e32 v35, v8
	s_nop 0
	v_addc_co_u32_e32 v45, vcc, 0, v44, vcc
	v_mul_lo_u32 v44, v46, v48
	v_lshl_add_u64 v[34:35], v[34:35], 0, v[44:45]
	v_add_co_u32_e32 v9, vcc, v9, v34
	v_mul_lo_u32 v44, s0, v9
	s_nop 0
	v_addc_co_u32_e32 v46, vcc, v46, v35, vcc
	v_mul_lo_u32 v34, s0, v46
	v_mul_hi_u32 v35, s0, v9
	v_add_u32_e32 v34, v35, v34
	v_mul_lo_u32 v35, s1, v9
	v_add_u32_e32 v47, v34, v35
	v_mul_hi_u32 v49, v46, v44
	v_mul_lo_u32 v50, v46, v44
	v_mul_hi_u32 v35, v9, v47
	v_mul_lo_u32 v34, v9, v47
	v_mul_hi_u32 v44, v9, v44
	v_mov_b32_e32 v45, v8
	v_lshl_add_u64 v[34:35], v[44:45], 0, v[34:35]
	v_add_co_u32_e32 v34, vcc, v34, v50
	v_mul_hi_u32 v48, v46, v47
	s_nop 0
	v_addc_co_u32_e32 v34, vcc, v35, v49, vcc
	v_mul_lo_u32 v44, v46, v47
	s_nop 0
	v_addc_co_u32_e32 v45, vcc, 0, v48, vcc
	v_mov_b32_e32 v35, v8
	v_lshl_add_u64 v[34:35], v[34:35], 0, v[44:45]
	v_add_co_u32_e32 v9, vcc, v9, v34
	v_ashrrev_i32_e32 v34, 31, v33
	s_nop 0
	v_addc_co_u32_e32 v48, vcc, v46, v35, vcc
	v_mov_b32_e32 v35, v34
	v_lshl_add_u64 v[44:45], v[32:33], 0, v[34:35]
	v_xor_b32_e32 v35, v44, v34
	v_xor_b32_e32 v33, v45, v34
	v_mad_u64_u32 v[44:45], s[0:1], v35, v48, 0
	v_mul_hi_u32 v46, v35, v9
	v_mov_b32_e32 v47, v8
	v_lshl_add_u64 v[44:45], v[46:47], 0, v[44:45]
	v_mad_u64_u32 v[46:47], s[0:1], v33, v48, 0
	v_mad_u64_u32 v[48:49], s[0:1], v33, v9, 0
	v_add_co_u32_e32 v9, vcc, v44, v48
	s_nop 1
	v_addc_co_u32_e32 v44, vcc, v45, v49, vcc
	v_mov_b32_e32 v45, v8
	s_nop 0
	v_addc_co_u32_e32 v47, vcc, 0, v47, vcc
	v_lshl_add_u64 v[44:45], v[44:45], 0, v[46:47]
	v_mul_lo_u32 v9, s35, v44
	v_mul_lo_u32 v48, s34, v45
	v_mad_u64_u32 v[46:47], s[0:1], s34, v44, 0
	v_add3_u32 v9, v47, v48, v9
	v_sub_u32_e32 v47, v33, v9
	v_mov_b32_e32 v48, s35
	v_sub_co_u32_e32 v35, vcc, v35, v46
	s_nop 1
	v_subb_co_u32_e64 v46, s[0:1], v47, v48, vcc
	v_subrev_co_u32_e64 v47, s[0:1], s34, v35
	v_subb_co_u32_e32 v9, vcc, v33, v9, vcc
	s_nop 0
	v_subbrev_co_u32_e64 v46, s[0:1], 0, v46, s[0:1]
	v_cmp_le_u32_e64 s[0:1], s35, v46
	v_cmp_le_u32_e32 vcc, s35, v9
	s_nop 0
	v_cndmask_b32_e64 v48, 0, -1, s[0:1]
	v_cmp_le_u32_e64 s[0:1], s34, v47
	v_cndmask_b32_e64 v33, 0, -1, vcc
	v_cmp_le_u32_e32 vcc, s34, v35
	v_cndmask_b32_e64 v47, 0, -1, s[0:1]
	v_cmp_eq_u32_e64 s[0:1], s35, v46
	v_cndmask_b32_e64 v35, 0, -1, vcc
	v_cmp_eq_u32_e32 vcc, s35, v9
	v_cndmask_b32_e64 v50, v48, v47, s[0:1]
	v_lshl_add_u64 v[46:47], v[44:45], 0, 2
	v_lshl_add_u64 v[48:49], v[44:45], 0, 1
	v_cmp_ne_u32_e64 s[0:1], 0, v50
	v_cndmask_b32_e32 v9, v33, v35, vcc
	v_cmp_ne_u32_e32 vcc, 0, v9
	v_cndmask_b32_e64 v33, v48, v46, s[0:1]
	v_cndmask_b32_e64 v47, v49, v47, s[0:1]
	v_cndmask_b32_e32 v33, v44, v33, vcc
	v_xor_b32_e32 v35, s24, v34
	v_cndmask_b32_e32 v9, v45, v47, vcc
	v_xor_b32_e32 v33, v33, v35
	v_xor_b32_e32 v9, v9, v35
	v_sub_co_u32_e32 v34, vcc, v33, v35
	s_nop 1
	v_subb_co_u32_e32 v35, vcc, v9, v35, vcc
.LBB164_16:                             ;   in Loop: Header=BB164_14 Depth=2
	s_andn2_saveexec_b64 s[0:1], s[30:31]
	s_cbranch_execz .LBB164_18
; %bb.17:                               ;   in Loop: Header=BB164_14 Depth=2
	s_sub_i32 s25, 0, s12
	v_mul_lo_u32 v9, s25, v13
	v_mul_hi_u32 v9, v13, v9
	v_add_u32_e32 v9, v13, v9
	v_mul_hi_u32 v9, v32, v9
	v_mul_lo_u32 v33, v9, s12
	v_sub_u32_e32 v33, v32, v33
	v_subrev_u32_e32 v34, s12, v33
	v_cmp_le_u32_e32 vcc, s12, v33
	v_mov_b32_e32 v35, v8
	s_nop 0
	v_cndmask_b32_e32 v33, v33, v34, vcc
	v_add_u32_e32 v34, 1, v9
	v_cndmask_b32_e32 v9, v9, v34, vcc
	v_add_u32_e32 v34, 1, v9
	v_cmp_le_u32_e32 vcc, s12, v33
	s_nop 1
	v_cndmask_b32_e32 v34, v9, v34, vcc
.LBB164_18:                             ;   in Loop: Header=BB164_14 Depth=2
	s_or_b64 exec, exec, s[0:1]
	v_cmp_eq_u64_e32 vcc, v[34:35], v[26:27]
	v_cmp_ne_u64_e64 s[0:1], v[34:35], v[26:27]
	s_and_saveexec_b64 s[30:31], s[0:1]
	s_xor_b64 s[30:31], exec, s[30:31]
; %bb.19:                               ;   in Loop: Header=BB164_14 Depth=2
	v_cmp_lt_i64_e64 s[0:1], v[34:35], v[24:25]
                                        ; implicit-def: $vgpr32_vgpr33
                                        ; implicit-def: $vgpr31
	s_nop 1
	v_cndmask_b32_e64 v25, v25, v35, s[0:1]
	v_cndmask_b32_e64 v24, v24, v34, s[0:1]
; %bb.20:                               ;   in Loop: Header=BB164_14 Depth=2
	s_or_saveexec_b64 s[0:1], s[30:31]
	v_mov_b32_e32 v9, v28
	s_xor_b64 exec, exec, s[0:1]
	s_cbranch_execz .LBB164_13
; %bb.21:                               ;   in Loop: Header=BB164_14 Depth=2
	v_lshl_add_u64 v[34:35], v[28:29], 4, s[16:17]
	global_load_dwordx4 v[44:47], v[34:35], off
	v_sub_u32_e32 v9, v32, v30
	v_add_lshl_u32 v9, v37, v9, 4
	ds_write_b8 v36, v43 offset:16384
	s_waitcnt vmcnt(0)
	ds_write2_b64 v9, v[44:45], v[46:47] offset1:1
	v_mov_b32_e32 v9, v31
	s_branch .LBB164_13
.LBB164_22:                             ;   in Loop: Header=BB164_11 Depth=1
	s_or_b64 exec, exec, s[28:29]
.LBB164_23:                             ;   in Loop: Header=BB164_11 Depth=1
	s_or_b64 exec, exec, s[26:27]
	v_mov_b32_dpp v26, v9 row_shr:1 row_mask:0xf bank_mask:0xf
	v_min_i32_e32 v9, v26, v9
	s_waitcnt lgkmcnt(0)
	ds_read_u8 v26, v36 offset:16384
	v_mov_b32_dpp v27, v9 row_shr:2 row_mask:0xf bank_mask:0xf
	v_min_i32_e32 v9, v27, v9
	ds_bpermute_b32 v9, v38, v9
	v_mov_b32_e32 v30, 0
	s_waitcnt lgkmcnt(1)
	v_and_b32_e32 v26, 1, v26
	v_cmp_eq_u32_e32 vcc, 1, v26
	s_and_saveexec_b64 s[26:27], vcc
	s_cbranch_execz .LBB164_10
; %bb.24:                               ;   in Loop: Header=BB164_11 Depth=1
	v_add_u32_e32 v26, s36, v7
	v_ashrrev_i32_e32 v7, 31, v6
	v_ashrrev_i32_e32 v27, 31, v26
	v_lshl_add_u64 v[28:29], v[6:7], 3, s[8:9]
	global_store_dwordx2 v[28:29], v[26:27], off
	v_mul_lo_u32 v28, s37, v6
	v_mul_lo_u32 v7, s38, v7
	v_mad_u64_u32 v[26:27], s[0:1], s38, v6, 0
	v_add3_u32 v27, v27, v7, v28
	v_lshlrev_b64 v[26:27], 4, v[26:27]
	v_lshl_add_u64 v[28:29], v[10:11], 0, v[26:27]
	v_lshl_add_u64 v[26:27], v[14:15], 0, v[26:27]
	s_and_saveexec_b64 s[0:1], s[20:21]
	s_cbranch_execz .LBB164_28
; %bb.25:                               ;   in Loop: Header=BB164_11 Depth=1
	s_and_b64 vcc, exec, s[18:19]
	s_cbranch_vccz .LBB164_39
; %bb.26:                               ;   in Loop: Header=BB164_11 Depth=1
	ds_read2_b64 v[30:33], v39 offset1:1
	v_lshl_add_u64 v[34:35], v[16:17], 4, v[28:29]
	s_waitcnt lgkmcnt(0)
	global_store_dwordx4 v[34:35], v[30:33], off
	s_cbranch_execnz .LBB164_28
.LBB164_27:                             ;   in Loop: Header=BB164_11 Depth=1
	ds_read2_b64 v[30:33], v39 offset1:1
	v_lshlrev_b32_e32 v34, 4, v12
	v_mov_b32_e32 v35, v8
	v_lshl_add_u64 v[34:35], v[26:27], 0, v[34:35]
	s_waitcnt lgkmcnt(0)
	global_store_dwordx4 v[34:35], v[30:33], off
.LBB164_28:                             ;   in Loop: Header=BB164_11 Depth=1
	s_or_b64 exec, exec, s[0:1]
	v_cndmask_b32_e64 v7, 0, 1, s[18:19]
	v_cmp_ne_u32_e64 s[0:1], 1, v7
	s_and_saveexec_b64 s[28:29], s[22:23]
	s_cbranch_execz .LBB164_32
; %bb.29:                               ;   in Loop: Header=BB164_11 Depth=1
	s_and_b64 vcc, exec, s[0:1]
	s_cbranch_vccnz .LBB164_40
; %bb.30:                               ;   in Loop: Header=BB164_11 Depth=1
	ds_read2_b64 v[30:33], v40 offset1:1
	v_lshl_add_u64 v[34:35], v[18:19], 4, v[28:29]
	s_waitcnt lgkmcnt(0)
	global_store_dwordx4 v[34:35], v[30:33], off
	s_cbranch_execnz .LBB164_32
.LBB164_31:                             ;   in Loop: Header=BB164_11 Depth=1
	ds_read2_b64 v[30:33], v40 offset1:1
	v_lshlrev_b32_e32 v34, 4, v12
	v_mov_b32_e32 v35, v8
	v_lshl_add_u64 v[34:35], v[26:27], 0, v[34:35]
	s_waitcnt lgkmcnt(0)
	global_store_dwordx4 v[34:35], v[30:33], off offset:64
.LBB164_32:                             ;   in Loop: Header=BB164_11 Depth=1
	s_or_b64 exec, exec, s[28:29]
	s_and_saveexec_b64 s[28:29], s[2:3]
	s_cbranch_execz .LBB164_36
; %bb.33:                               ;   in Loop: Header=BB164_11 Depth=1
	s_and_b64 vcc, exec, s[0:1]
	s_cbranch_vccnz .LBB164_41
; %bb.34:                               ;   in Loop: Header=BB164_11 Depth=1
	ds_read2_b64 v[30:33], v41 offset1:1
	v_lshl_add_u64 v[34:35], v[20:21], 4, v[28:29]
	s_waitcnt lgkmcnt(0)
	global_store_dwordx4 v[34:35], v[30:33], off
	s_cbranch_execnz .LBB164_36
.LBB164_35:                             ;   in Loop: Header=BB164_11 Depth=1
	ds_read2_b64 v[30:33], v41 offset1:1
	v_lshlrev_b32_e32 v34, 4, v12
	v_mov_b32_e32 v35, v8
	v_lshl_add_u64 v[34:35], v[26:27], 0, v[34:35]
	s_waitcnt lgkmcnt(0)
	global_store_dwordx4 v[34:35], v[30:33], off offset:128
.LBB164_36:                             ;   in Loop: Header=BB164_11 Depth=1
	s_or_b64 exec, exec, s[28:29]
	s_nop 0
	v_mov_b32_e32 v30, 1
	s_and_saveexec_b64 s[28:29], s[4:5]
	s_cbranch_execz .LBB164_9
; %bb.37:                               ;   in Loop: Header=BB164_11 Depth=1
	s_and_b64 vcc, exec, s[0:1]
	s_cbranch_vccnz .LBB164_42
; %bb.38:                               ;   in Loop: Header=BB164_11 Depth=1
	ds_read2_b64 v[30:33], v42 offset1:1
	v_lshl_add_u64 v[28:29], v[22:23], 4, v[28:29]
	s_mov_b32 s25, 1
	s_waitcnt lgkmcnt(0)
	global_store_dwordx4 v[28:29], v[30:33], off
	s_cbranch_execnz .LBB164_8
	s_branch .LBB164_43
.LBB164_39:                             ;   in Loop: Header=BB164_11 Depth=1
	s_branch .LBB164_27
.LBB164_40:                             ;   in Loop: Header=BB164_11 Depth=1
	s_branch .LBB164_31
.LBB164_41:                             ;   in Loop: Header=BB164_11 Depth=1
	s_branch .LBB164_35
.LBB164_42:                             ;   in Loop: Header=BB164_11 Depth=1
                                        ; implicit-def: $sgpr25
.LBB164_43:                             ;   in Loop: Header=BB164_11 Depth=1
	ds_read2_b64 v[28:31], v42 offset1:1
	v_lshlrev_b32_e32 v32, 4, v12
	v_mov_b32_e32 v33, v8
	v_lshl_add_u64 v[26:27], v[26:27], 0, v[32:33]
	s_mov_b32 s25, 1
	s_waitcnt lgkmcnt(0)
	global_store_dwordx4 v[26:27], v[28:31], off offset:192
	s_branch .LBB164_8
.LBB164_44:
	s_endpgm
	.section	.rodata,"a",@progbits
	.p2align	6, 0x0
	.amdhsa_kernel _ZN9rocsparseL42csr2bsr_wavefront_per_row_multipass_kernelILj256ELj64ELj16E21rocsparse_complex_numIdEilEEv20rocsparse_direction_T4_S4_S4_S4_S4_21rocsparse_index_base_PKT2_PKT3_PKS4_S5_PS6_PS9_PS4_
		.amdhsa_group_segment_fixed_size 16392
		.amdhsa_private_segment_fixed_size 0
		.amdhsa_kernarg_size 112
		.amdhsa_user_sgpr_count 2
		.amdhsa_user_sgpr_dispatch_ptr 0
		.amdhsa_user_sgpr_queue_ptr 0
		.amdhsa_user_sgpr_kernarg_segment_ptr 1
		.amdhsa_user_sgpr_dispatch_id 0
		.amdhsa_user_sgpr_kernarg_preload_length 0
		.amdhsa_user_sgpr_kernarg_preload_offset 0
		.amdhsa_user_sgpr_private_segment_size 0
		.amdhsa_uses_dynamic_stack 0
		.amdhsa_enable_private_segment 0
		.amdhsa_system_sgpr_workgroup_id_x 1
		.amdhsa_system_sgpr_workgroup_id_y 0
		.amdhsa_system_sgpr_workgroup_id_z 0
		.amdhsa_system_sgpr_workgroup_info 0
		.amdhsa_system_vgpr_workitem_id 0
		.amdhsa_next_free_vgpr 51
		.amdhsa_next_free_sgpr 40
		.amdhsa_accum_offset 52
		.amdhsa_reserve_vcc 1
		.amdhsa_float_round_mode_32 0
		.amdhsa_float_round_mode_16_64 0
		.amdhsa_float_denorm_mode_32 3
		.amdhsa_float_denorm_mode_16_64 3
		.amdhsa_dx10_clamp 1
		.amdhsa_ieee_mode 1
		.amdhsa_fp16_overflow 0
		.amdhsa_tg_split 0
		.amdhsa_exception_fp_ieee_invalid_op 0
		.amdhsa_exception_fp_denorm_src 0
		.amdhsa_exception_fp_ieee_div_zero 0
		.amdhsa_exception_fp_ieee_overflow 0
		.amdhsa_exception_fp_ieee_underflow 0
		.amdhsa_exception_fp_ieee_inexact 0
		.amdhsa_exception_int_div_zero 0
	.end_amdhsa_kernel
	.section	.text._ZN9rocsparseL42csr2bsr_wavefront_per_row_multipass_kernelILj256ELj64ELj16E21rocsparse_complex_numIdEilEEv20rocsparse_direction_T4_S4_S4_S4_S4_21rocsparse_index_base_PKT2_PKT3_PKS4_S5_PS6_PS9_PS4_,"axG",@progbits,_ZN9rocsparseL42csr2bsr_wavefront_per_row_multipass_kernelILj256ELj64ELj16E21rocsparse_complex_numIdEilEEv20rocsparse_direction_T4_S4_S4_S4_S4_21rocsparse_index_base_PKT2_PKT3_PKS4_S5_PS6_PS9_PS4_,comdat
.Lfunc_end164:
	.size	_ZN9rocsparseL42csr2bsr_wavefront_per_row_multipass_kernelILj256ELj64ELj16E21rocsparse_complex_numIdEilEEv20rocsparse_direction_T4_S4_S4_S4_S4_21rocsparse_index_base_PKT2_PKT3_PKS4_S5_PS6_PS9_PS4_, .Lfunc_end164-_ZN9rocsparseL42csr2bsr_wavefront_per_row_multipass_kernelILj256ELj64ELj16E21rocsparse_complex_numIdEilEEv20rocsparse_direction_T4_S4_S4_S4_S4_21rocsparse_index_base_PKT2_PKT3_PKS4_S5_PS6_PS9_PS4_
                                        ; -- End function
	.section	.AMDGPU.csdata,"",@progbits
; Kernel info:
; codeLenInByte = 2692
; NumSgprs: 46
; NumVgprs: 51
; NumAgprs: 0
; TotalNumVgprs: 51
; ScratchSize: 0
; MemoryBound: 0
; FloatMode: 240
; IeeeMode: 1
; LDSByteSize: 16392 bytes/workgroup (compile time only)
; SGPRBlocks: 5
; VGPRBlocks: 6
; NumSGPRsForWavesPerEU: 46
; NumVGPRsForWavesPerEU: 51
; AccumOffset: 52
; Occupancy: 3
; WaveLimiterHint : 0
; COMPUTE_PGM_RSRC2:SCRATCH_EN: 0
; COMPUTE_PGM_RSRC2:USER_SGPR: 2
; COMPUTE_PGM_RSRC2:TRAP_HANDLER: 0
; COMPUTE_PGM_RSRC2:TGID_X_EN: 1
; COMPUTE_PGM_RSRC2:TGID_Y_EN: 0
; COMPUTE_PGM_RSRC2:TGID_Z_EN: 0
; COMPUTE_PGM_RSRC2:TIDIG_COMP_CNT: 0
; COMPUTE_PGM_RSRC3_GFX90A:ACCUM_OFFSET: 12
; COMPUTE_PGM_RSRC3_GFX90A:TG_SPLIT: 0
	.section	.text._ZN9rocsparseL42csr2bsr_wavefront_per_row_multipass_kernelILj256ELj32ELj16E21rocsparse_complex_numIdEilEEv20rocsparse_direction_T4_S4_S4_S4_S4_21rocsparse_index_base_PKT2_PKT3_PKS4_S5_PS6_PS9_PS4_,"axG",@progbits,_ZN9rocsparseL42csr2bsr_wavefront_per_row_multipass_kernelILj256ELj32ELj16E21rocsparse_complex_numIdEilEEv20rocsparse_direction_T4_S4_S4_S4_S4_21rocsparse_index_base_PKT2_PKT3_PKS4_S5_PS6_PS9_PS4_,comdat
	.globl	_ZN9rocsparseL42csr2bsr_wavefront_per_row_multipass_kernelILj256ELj32ELj16E21rocsparse_complex_numIdEilEEv20rocsparse_direction_T4_S4_S4_S4_S4_21rocsparse_index_base_PKT2_PKT3_PKS4_S5_PS6_PS9_PS4_ ; -- Begin function _ZN9rocsparseL42csr2bsr_wavefront_per_row_multipass_kernelILj256ELj32ELj16E21rocsparse_complex_numIdEilEEv20rocsparse_direction_T4_S4_S4_S4_S4_21rocsparse_index_base_PKT2_PKT3_PKS4_S5_PS6_PS9_PS4_
	.p2align	8
	.type	_ZN9rocsparseL42csr2bsr_wavefront_per_row_multipass_kernelILj256ELj32ELj16E21rocsparse_complex_numIdEilEEv20rocsparse_direction_T4_S4_S4_S4_S4_21rocsparse_index_base_PKT2_PKT3_PKS4_S5_PS6_PS9_PS4_,@function
_ZN9rocsparseL42csr2bsr_wavefront_per_row_multipass_kernelILj256ELj32ELj16E21rocsparse_complex_numIdEilEEv20rocsparse_direction_T4_S4_S4_S4_S4_21rocsparse_index_base_PKT2_PKT3_PKS4_S5_PS6_PS9_PS4_: ; @_ZN9rocsparseL42csr2bsr_wavefront_per_row_multipass_kernelILj256ELj32ELj16E21rocsparse_complex_numIdEilEEv20rocsparse_direction_T4_S4_S4_S4_S4_21rocsparse_index_base_PKT2_PKT3_PKS4_S5_PS6_PS9_PS4_
; %bb.0:
	s_load_dwordx2 s[4:5], s[0:1], 0x8
	s_load_dwordx4 s[16:19], s[0:1], 0x18
	s_load_dwordx2 s[20:21], s[0:1], 0x28
	s_load_dword s33, s[0:1], 0x30
	s_load_dwordx2 s[6:7], s[0:1], 0x40
	s_ashr_i32 s3, s2, 31
	v_lshrrev_b32_e32 v46, 5, v0
	s_lshl_b64 s[8:9], s[2:3], 3
	v_bfe_u32 v4, v0, 1, 4
	v_mov_b32_e32 v5, 0
	v_or_b32_e32 v1, s8, v46
	s_waitcnt lgkmcnt(0)
	v_mul_lo_u32 v6, v1, s21
	v_mad_u64_u32 v[2:3], s[10:11], v1, s20, v[4:5]
	s_mul_i32 s3, s9, s20
	v_add3_u32 v3, s3, v3, v6
	v_cmp_gt_i64_e32 vcc, s[4:5], v[2:3]
	v_cmp_gt_i64_e64 s[4:5], s[20:21], v[4:5]
	s_and_b64 s[8:9], s[4:5], vcc
	v_mov_b32_e32 v9, v5
	s_and_saveexec_b64 s[10:11], s[8:9]
	s_cbranch_execz .LBB165_2
; %bb.1:
	v_lshl_add_u64 v[6:7], v[2:3], 2, s[6:7]
	global_load_dword v1, v[6:7], off
	s_waitcnt vmcnt(0)
	v_subrev_u32_e32 v9, s33, v1
.LBB165_2:
	s_or_b64 exec, exec, s[10:11]
	s_and_saveexec_b64 s[10:11], s[8:9]
	s_cbranch_execz .LBB165_4
; %bb.3:
	v_lshl_add_u64 v[2:3], v[2:3], 2, s[6:7]
	global_load_dword v1, v[2:3], off offset:4
	s_waitcnt vmcnt(0)
	v_subrev_u32_e32 v5, s33, v1
.LBB165_4:
	s_or_b64 exec, exec, s[10:11]
	s_load_dword s44, s[0:1], 0x50
	v_lshl_or_b32 v2, s2, 3, v46
	v_mov_b32_e32 v3, 0
	v_cmp_gt_i64_e32 vcc, s[16:17], v[2:3]
	v_mov_b32_e32 v6, v3
	s_and_saveexec_b64 s[2:3], vcc
	s_cbranch_execz .LBB165_6
; %bb.5:
	s_load_dwordx2 s[6:7], s[0:1], 0x60
	s_waitcnt lgkmcnt(0)
	v_lshl_add_u64 v[2:3], v[2:3], 2, s[6:7]
	global_load_dword v1, v[2:3], off
	s_waitcnt vmcnt(0)
	v_subrev_u32_e32 v6, s44, v1
.LBB165_6:
	s_or_b64 exec, exec, s[2:3]
	v_cmp_lt_i64_e64 s[2:3], s[18:19], 1
	s_and_b64 vcc, exec, s[2:3]
	s_cbranch_vccnz .LBB165_64
; %bb.7:
	s_mul_i32 s2, s20, s21
	s_mul_hi_u32 s3, s20, s20
	s_add_i32 s3, s3, s2
	s_load_dwordx2 s[16:17], s[0:1], 0x68
	s_add_i32 s45, s3, s2
	s_load_dwordx2 s[2:3], s[0:1], 0x58
	s_load_dwordx2 s[22:23], s[0:1], 0x48
	v_and_b32_e32 v12, 1, v0
	v_mbcnt_lo_u32_b32 v0, -1, 0
	v_mov_b32_e32 v8, 0
	v_mbcnt_hi_u32_b32 v0, -1, v0
	v_lshlrev_b32_e32 v2, 4, v4
	v_mov_b32_e32 v3, v8
	s_load_dwordx2 s[24:25], s[0:1], 0x38
	s_load_dword s6, s[0:1], 0x0
	v_lshlrev_b32_e32 v7, 2, v0
	v_mad_u64_u32 v[0:1], s[0:1], v4, s20, 0
	s_waitcnt lgkmcnt(0)
	v_lshl_add_u64 v[10:11], s[2:3], 0, v[2:3]
	v_lshl_or_b32 v47, v46, 8, v2
	v_mov_b32_e32 v2, v1
	v_mad_u64_u32 v[2:3], s[0:1], v4, s21, v[2:3]
	v_mov_b32_e32 v1, v2
	v_lshl_add_u64 v[14:15], v[0:1], 4, s[2:3]
	v_or_b32_e32 v0, v47, v12
	v_lshlrev_b32_e32 v49, 4, v0
	v_or_b32_e32 v0, 2, v12
	v_mad_u64_u32 v[18:19], s[2:3], v0, s20, 0
	v_mov_b32_e32 v1, v8
	v_mov_b32_e32 v2, v19
	v_cmp_gt_u64_e64 s[0:1], s[20:21], v[0:1]
	v_mad_u64_u32 v[0:1], s[2:3], v0, s21, v[2:3]
	v_mov_b32_e32 v19, v0
	v_or_b32_e32 v0, 4, v12
	s_cmp_lg_u32 s6, 0
	v_mad_u64_u32 v[20:21], s[6:7], v0, s20, 0
	v_mov_b32_e32 v1, v8
	v_mov_b32_e32 v2, v21
	v_cmp_gt_u64_e64 s[2:3], s[20:21], v[0:1]
	v_mad_u64_u32 v[0:1], s[6:7], v0, s21, v[2:3]
	v_mov_b32_e32 v21, v0
	v_or_b32_e32 v0, 6, v12
	v_mad_u64_u32 v[22:23], s[8:9], v0, s20, 0
	v_mov_b32_e32 v1, v8
	v_mov_b32_e32 v2, v23
	v_cmp_gt_u64_e64 s[6:7], s[20:21], v[0:1]
	v_mad_u64_u32 v[0:1], s[8:9], v0, s21, v[2:3]
	v_mov_b32_e32 v23, v0
	v_or_b32_e32 v0, 8, v12
	;; [unrolled: 7-line block ×5, first 2 shown]
	v_mad_u64_u32 v[30:31], s[26:27], v0, s20, 0
	v_mov_b32_e32 v1, v8
	v_mov_b32_e32 v2, v31
	v_cmp_gt_u64_e64 s[14:15], s[20:21], v[0:1]
	v_mad_u64_u32 v[0:1], s[26:27], v0, s21, v[2:3]
	v_mov_b32_e32 v31, v0
	v_cvt_f32_u32_e32 v0, s20
	v_or_b32_e32 v48, 4, v7
	v_or_b32_e32 v4, 0x7c, v7
	v_mov_b32_e32 v13, v8
	v_rcp_iflag_f32_e32 v7, v0
	s_mov_b32 s47, 0
	v_cmp_gt_u64_e32 vcc, s[20:21], v[12:13]
	s_mov_b32 s36, s47
	v_mul_f32_e32 v7, 0x4f7ffffe, v7
	v_cvt_u32_f32_e32 v13, v7
	s_mov_b32 s37, s47
	s_cselect_b64 s[26:27], -1, 0
	s_mov_b32 s38, s47
	s_mov_b32 s39, s47
	v_mov_b64_e32 v[0:1], s[36:37]
	s_mul_i32 s46, s20, s20
	v_or_b32_e32 v50, 32, v49
	v_or_b32_e32 v51, 64, v49
	;; [unrolled: 1-line block ×7, first 2 shown]
	v_mul_lo_u32 v17, v12, s21
	v_mul_lo_u32 v16, v12, s20
	s_and_b64 s[28:29], s[4:5], vcc
	s_and_b64 s[30:31], s[4:5], s[0:1]
	s_and_b64 s[2:3], s[4:5], s[2:3]
	;; [unrolled: 1-line block ×7, first 2 shown]
	s_mov_b64 s[14:15], 0
	v_mov_b64_e32 v[36:37], 0
	v_mov_b64_e32 v[2:3], s[38:39]
	v_cndmask_b32_e64 v57, 0, 1, s[26:27]
	s_ashr_i32 s34, s21, 31
	v_mov_b32_e32 v58, 1
	v_lshlrev_b32_e32 v32, 4, v12
	v_mov_b32_e32 v7, 0
	s_branch .LBB165_11
.LBB165_8:                              ;   in Loop: Header=BB165_11 Depth=1
	v_mov_b32_e32 v33, s35
.LBB165_9:                              ;   in Loop: Header=BB165_11 Depth=1
	s_or_b64 exec, exec, s[38:39]
.LBB165_10:                             ;   in Loop: Header=BB165_11 Depth=1
	s_or_b64 exec, exec, s[36:37]
	v_mov_b32_dpp v36, v34 row_shr:1 row_mask:0xf bank_mask:0xf
	v_mov_b32_dpp v37, v35 row_shr:1 row_mask:0xf bank_mask:0xf
	v_cmp_lt_i64_e32 vcc, v[36:37], v[34:35]
	v_add_u32_e32 v6, v33, v6
	s_waitcnt lgkmcnt(0)
	v_cndmask_b32_e32 v35, v35, v37, vcc
	v_cndmask_b32_e32 v34, v34, v36, vcc
	s_nop 0
	v_mov_b32_dpp v37, v35 row_shr:2 row_mask:0xf bank_mask:0xf
	v_mov_b32_dpp v36, v34 row_shr:2 row_mask:0xf bank_mask:0xf
	v_cmp_lt_i64_e32 vcc, v[36:37], v[34:35]
	s_nop 1
	v_cndmask_b32_e32 v35, v35, v37, vcc
	v_cndmask_b32_e32 v34, v34, v36, vcc
	s_nop 0
	v_mov_b32_dpp v37, v35 row_shr:4 row_mask:0xf bank_mask:0xe
	v_mov_b32_dpp v36, v34 row_shr:4 row_mask:0xf bank_mask:0xe
	v_cmp_lt_i64_e32 vcc, v[36:37], v[34:35]
	s_nop 1
	;; [unrolled: 7-line block ×3, first 2 shown]
	v_cndmask_b32_e32 v35, v35, v37, vcc
	v_cndmask_b32_e32 v34, v34, v36, vcc
	s_nop 0
	v_mov_b32_dpp v37, v35 row_bcast:15 row_mask:0xa bank_mask:0xf
	v_mov_b32_dpp v36, v34 row_bcast:15 row_mask:0xa bank_mask:0xf
	v_cmp_lt_i64_e32 vcc, v[36:37], v[34:35]
	s_nop 1
	v_cndmask_b32_e32 v7, v34, v36, vcc
	ds_bpermute_b32 v36, v4, v7
	s_waitcnt lgkmcnt(0)
	v_ashrrev_i32_e32 v37, 31, v36
	v_cmp_le_i64_e32 vcc, s[18:19], v[36:37]
	s_or_b64 s[14:15], vcc, s[14:15]
	v_mov_b32_e32 v7, v36
	s_andn2_b64 exec, exec, s[14:15]
	s_cbranch_execz .LBB165_64
.LBB165_11:                             ; =>This Loop Header: Depth=1
                                        ;     Child Loop BB165_14 Depth 2
	v_add_u32_e32 v38, v9, v12
	v_cmp_lt_i32_e32 vcc, v38, v5
	v_mov_b64_e32 v[34:35], s[18:19]
	v_mov_b32_e32 v9, v5
	ds_write_b8 v46, v8 offset:32768
	ds_write_b128 v49, v[0:3]
	ds_write_b128 v49, v[0:3] offset:32
	ds_write_b128 v49, v[0:3] offset:64
	;; [unrolled: 1-line block ×7, first 2 shown]
	s_waitcnt lgkmcnt(0)
	s_and_saveexec_b64 s[36:37], vcc
	s_cbranch_execz .LBB165_23
; %bb.12:                               ;   in Loop: Header=BB165_11 Depth=1
	v_mad_u64_u32 v[40:41], s[0:1], v36, s20, 0
	s_mov_b64 s[38:39], 0
	v_mov_b64_e32 v[34:35], s[18:19]
	v_mov_b32_e32 v33, v5
	s_branch .LBB165_14
.LBB165_13:                             ;   in Loop: Header=BB165_14 Depth=2
	s_or_b64 exec, exec, s[0:1]
	v_add_u32_e32 v38, 2, v38
	v_cmp_ge_i32_e64 s[0:1], v38, v5
	s_xor_b64 s[40:41], vcc, -1
	s_or_b64 s[0:1], s[40:41], s[0:1]
	s_and_b64 s[0:1], exec, s[0:1]
	s_or_b64 s[38:39], s[0:1], s[38:39]
	v_mov_b32_e32 v33, v9
	s_andn2_b64 exec, exec, s[38:39]
	s_cbranch_execz .LBB165_22
.LBB165_14:                             ;   Parent Loop BB165_11 Depth=1
                                        ; =>  This Inner Loop Header: Depth=2
	v_ashrrev_i32_e32 v39, 31, v38
	v_lshl_add_u64 v[42:43], v[38:39], 3, s[22:23]
	global_load_dwordx2 v[42:43], v[42:43], off
	v_mov_b32_e32 v9, s47
                                        ; implicit-def: $vgpr44_vgpr45
	s_waitcnt vmcnt(0)
	v_subrev_co_u32_e32 v42, vcc, s33, v42
	s_nop 1
	v_subb_co_u32_e32 v43, vcc, v43, v9, vcc
	v_or_b32_e32 v9, s21, v43
	v_cmp_ne_u64_e32 vcc, 0, v[8:9]
	s_and_saveexec_b64 s[0:1], vcc
	s_xor_b64 s[40:41], exec, s[0:1]
	s_cbranch_execz .LBB165_16
; %bb.15:                               ;   in Loop: Header=BB165_14 Depth=2
	s_add_u32 s0, s20, s34
	s_mov_b32 s35, s34
	s_addc_u32 s1, s21, s34
	s_xor_b64 s[42:43], s[0:1], s[34:35]
	v_cvt_f32_u32_e32 v9, s42
	v_cvt_f32_u32_e32 v41, s43
	s_sub_u32 s0, 0, s42
	s_subb_u32 s1, 0, s43
	v_mov_b32_e32 v61, v8
	v_fmac_f32_e32 v9, 0x4f800000, v41
	v_rcp_f32_e32 v9, v9
	s_nop 0
	v_mul_f32_e32 v9, 0x5f7ffffc, v9
	v_mul_f32_e32 v41, 0x2f800000, v9
	v_trunc_f32_e32 v41, v41
	v_fmac_f32_e32 v9, 0xcf800000, v41
	v_cvt_u32_f32_e32 v41, v41
	v_cvt_u32_f32_e32 v9, v9
	v_mul_lo_u32 v44, s0, v41
	v_mul_hi_u32 v59, s0, v9
	v_mul_lo_u32 v45, s1, v9
	v_add_u32_e32 v44, v59, v44
	v_mul_lo_u32 v62, s0, v9
	v_add_u32_e32 v59, v44, v45
	v_mul_hi_u32 v45, v9, v59
	v_mul_lo_u32 v44, v9, v59
	v_mul_hi_u32 v60, v9, v62
	v_lshl_add_u64 v[44:45], v[60:61], 0, v[44:45]
	v_mul_hi_u32 v61, v41, v62
	v_mul_lo_u32 v62, v41, v62
	v_add_co_u32_e32 v44, vcc, v44, v62
	v_mul_hi_u32 v60, v41, v59
	s_nop 0
	v_addc_co_u32_e32 v44, vcc, v45, v61, vcc
	v_mov_b32_e32 v45, v8
	s_nop 0
	v_addc_co_u32_e32 v61, vcc, 0, v60, vcc
	v_mul_lo_u32 v60, v41, v59
	v_lshl_add_u64 v[44:45], v[44:45], 0, v[60:61]
	v_add_co_u32_e32 v9, vcc, v9, v44
	v_mul_lo_u32 v60, s0, v9
	s_nop 0
	v_addc_co_u32_e32 v41, vcc, v41, v45, vcc
	v_mul_lo_u32 v44, s0, v41
	v_mul_hi_u32 v45, s0, v9
	v_add_u32_e32 v44, v45, v44
	v_mul_lo_u32 v45, s1, v9
	v_add_u32_e32 v59, v44, v45
	v_mul_hi_u32 v63, v41, v60
	v_mul_lo_u32 v64, v41, v60
	v_mul_hi_u32 v45, v9, v59
	v_mul_lo_u32 v44, v9, v59
	v_mul_hi_u32 v60, v9, v60
	v_mov_b32_e32 v61, v8
	v_lshl_add_u64 v[44:45], v[60:61], 0, v[44:45]
	v_add_co_u32_e32 v44, vcc, v44, v64
	v_mul_hi_u32 v62, v41, v59
	s_nop 0
	v_addc_co_u32_e32 v44, vcc, v45, v63, vcc
	v_mul_lo_u32 v60, v41, v59
	s_nop 0
	v_addc_co_u32_e32 v61, vcc, 0, v62, vcc
	v_mov_b32_e32 v45, v8
	v_lshl_add_u64 v[44:45], v[44:45], 0, v[60:61]
	v_add_co_u32_e32 v9, vcc, v9, v44
	v_ashrrev_i32_e32 v44, 31, v43
	s_nop 0
	v_addc_co_u32_e32 v41, vcc, v41, v45, vcc
	v_mov_b32_e32 v45, v44
	v_lshl_add_u64 v[60:61], v[42:43], 0, v[44:45]
	v_xor_b32_e32 v45, v60, v44
	v_xor_b32_e32 v43, v61, v44
	v_mad_u64_u32 v[60:61], s[0:1], v45, v41, 0
	v_mul_hi_u32 v62, v45, v9
	v_mov_b32_e32 v63, v8
	v_lshl_add_u64 v[60:61], v[62:63], 0, v[60:61]
	v_mad_u64_u32 v[64:65], s[0:1], v43, v9, 0
	v_add_co_u32_e32 v9, vcc, v60, v64
	v_mad_u64_u32 v[62:63], s[0:1], v43, v41, 0
	s_nop 0
	v_addc_co_u32_e32 v60, vcc, v61, v65, vcc
	v_mov_b32_e32 v61, v8
	s_nop 0
	v_addc_co_u32_e32 v63, vcc, 0, v63, vcc
	v_lshl_add_u64 v[60:61], v[60:61], 0, v[62:63]
	v_mul_lo_u32 v9, s43, v60
	v_mul_lo_u32 v41, s42, v61
	v_mad_u64_u32 v[62:63], s[0:1], s42, v60, 0
	v_add3_u32 v9, v63, v41, v9
	v_sub_u32_e32 v41, v43, v9
	v_mov_b32_e32 v59, s43
	v_sub_co_u32_e32 v45, vcc, v45, v62
	v_lshl_add_u64 v[64:65], v[60:61], 0, 1
	s_nop 0
	v_subb_co_u32_e64 v41, s[0:1], v41, v59, vcc
	v_subrev_co_u32_e64 v59, s[0:1], s42, v45
	v_subb_co_u32_e32 v9, vcc, v43, v9, vcc
	s_nop 0
	v_subbrev_co_u32_e64 v41, s[0:1], 0, v41, s[0:1]
	v_cmp_le_u32_e64 s[0:1], s43, v41
	v_cmp_le_u32_e32 vcc, s43, v9
	s_nop 0
	v_cndmask_b32_e64 v62, 0, -1, s[0:1]
	v_cmp_le_u32_e64 s[0:1], s42, v59
	v_cndmask_b32_e64 v43, 0, -1, vcc
	v_cmp_le_u32_e32 vcc, s42, v45
	v_cndmask_b32_e64 v59, 0, -1, s[0:1]
	v_cmp_eq_u32_e64 s[0:1], s43, v41
	v_cndmask_b32_e64 v45, 0, -1, vcc
	v_cmp_eq_u32_e32 vcc, s43, v9
	v_cndmask_b32_e64 v41, v62, v59, s[0:1]
	v_lshl_add_u64 v[62:63], v[60:61], 0, 2
	v_cmp_ne_u32_e64 s[0:1], 0, v41
	v_cndmask_b32_e32 v9, v43, v45, vcc
	v_cmp_ne_u32_e32 vcc, 0, v9
	v_cndmask_b32_e64 v41, v65, v63, s[0:1]
	v_xor_b32_e32 v43, s34, v44
	v_cndmask_b32_e32 v9, v61, v41, vcc
	v_cndmask_b32_e64 v41, v64, v62, s[0:1]
	v_cndmask_b32_e32 v41, v60, v41, vcc
	v_xor_b32_e32 v41, v41, v43
	v_xor_b32_e32 v9, v9, v43
	v_sub_co_u32_e32 v44, vcc, v41, v43
	s_nop 1
	v_subb_co_u32_e32 v45, vcc, v9, v43, vcc
.LBB165_16:                             ;   in Loop: Header=BB165_14 Depth=2
	s_andn2_saveexec_b64 s[0:1], s[40:41]
	s_cbranch_execz .LBB165_18
; %bb.17:                               ;   in Loop: Header=BB165_14 Depth=2
	s_sub_i32 s35, 0, s20
	v_mul_lo_u32 v9, s35, v13
	v_mul_hi_u32 v9, v13, v9
	v_add_u32_e32 v9, v13, v9
	v_mul_hi_u32 v9, v42, v9
	v_mul_lo_u32 v41, v9, s20
	v_sub_u32_e32 v41, v42, v41
	v_subrev_u32_e32 v43, s20, v41
	v_cmp_le_u32_e32 vcc, s20, v41
	v_mov_b32_e32 v45, v8
	s_nop 0
	v_cndmask_b32_e32 v41, v41, v43, vcc
	v_add_u32_e32 v43, 1, v9
	v_cndmask_b32_e32 v9, v9, v43, vcc
	v_add_u32_e32 v43, 1, v9
	v_cmp_le_u32_e32 vcc, s20, v41
	s_nop 1
	v_cndmask_b32_e32 v44, v9, v43, vcc
.LBB165_18:                             ;   in Loop: Header=BB165_14 Depth=2
	s_or_b64 exec, exec, s[0:1]
	v_cmp_eq_u64_e32 vcc, v[44:45], v[36:37]
	v_cmp_ne_u64_e64 s[0:1], v[44:45], v[36:37]
	s_and_saveexec_b64 s[40:41], s[0:1]
	s_xor_b64 s[40:41], exec, s[40:41]
; %bb.19:                               ;   in Loop: Header=BB165_14 Depth=2
	v_cmp_lt_i64_e64 s[0:1], v[44:45], v[34:35]
                                        ; implicit-def: $vgpr42_vgpr43
                                        ; implicit-def: $vgpr33
	s_nop 1
	v_cndmask_b32_e64 v35, v35, v45, s[0:1]
	v_cndmask_b32_e64 v34, v34, v44, s[0:1]
; %bb.20:                               ;   in Loop: Header=BB165_14 Depth=2
	s_or_saveexec_b64 s[0:1], s[40:41]
	v_mov_b32_e32 v9, v38
	s_xor_b64 exec, exec, s[0:1]
	s_cbranch_execz .LBB165_13
; %bb.21:                               ;   in Loop: Header=BB165_14 Depth=2
	v_lshl_add_u64 v[44:45], v[38:39], 4, s[24:25]
	global_load_dwordx4 v[60:63], v[44:45], off
	v_sub_u32_e32 v9, v42, v40
	v_add_lshl_u32 v9, v47, v9, 4
	ds_write_b8 v46, v58 offset:32768
	s_waitcnt vmcnt(0)
	ds_write2_b64 v9, v[60:61], v[62:63] offset1:1
	v_mov_b32_e32 v9, v33
	s_branch .LBB165_13
.LBB165_22:                             ;   in Loop: Header=BB165_11 Depth=1
	s_or_b64 exec, exec, s[38:39]
.LBB165_23:                             ;   in Loop: Header=BB165_11 Depth=1
	s_or_b64 exec, exec, s[36:37]
	s_waitcnt lgkmcnt(0)
	ds_read_u8 v33, v46 offset:32768
	v_mov_b32_dpp v36, v9 row_shr:1 row_mask:0xf bank_mask:0xf
	v_min_i32_e32 v9, v36, v9
	ds_bpermute_b32 v9, v48, v9
	s_waitcnt lgkmcnt(1)
	v_and_b32_e32 v33, 1, v33
	v_cmp_eq_u32_e32 vcc, 1, v33
	v_mov_b32_e32 v33, 0
	s_and_saveexec_b64 s[36:37], vcc
	s_cbranch_execz .LBB165_10
; %bb.24:                               ;   in Loop: Header=BB165_11 Depth=1
	v_add_u32_e32 v36, s44, v7
	v_ashrrev_i32_e32 v7, 31, v6
	v_ashrrev_i32_e32 v37, 31, v36
	v_lshl_add_u64 v[38:39], v[6:7], 3, s[16:17]
	global_store_dwordx2 v[38:39], v[36:37], off
	v_mul_lo_u32 v33, s45, v6
	v_mul_lo_u32 v7, s46, v7
	v_mad_u64_u32 v[36:37], s[0:1], s46, v6, 0
	v_add3_u32 v37, v37, v7, v33
	v_lshlrev_b64 v[36:37], 4, v[36:37]
	v_lshl_add_u64 v[38:39], v[10:11], 0, v[36:37]
	v_lshl_add_u64 v[36:37], v[14:15], 0, v[36:37]
	s_and_saveexec_b64 s[0:1], s[28:29]
	s_cbranch_execz .LBB165_28
; %bb.25:                               ;   in Loop: Header=BB165_11 Depth=1
	s_and_b64 vcc, exec, s[26:27]
	s_cbranch_vccz .LBB165_55
; %bb.26:                               ;   in Loop: Header=BB165_11 Depth=1
	ds_read2_b64 v[40:43], v49 offset1:1
	v_lshl_add_u64 v[44:45], v[16:17], 4, v[38:39]
	s_waitcnt lgkmcnt(0)
	global_store_dwordx4 v[44:45], v[40:43], off
	s_cbranch_execnz .LBB165_28
.LBB165_27:                             ;   in Loop: Header=BB165_11 Depth=1
	ds_read2_b64 v[40:43], v49 offset1:1
	v_mov_b32_e32 v33, v8
	v_lshl_add_u64 v[44:45], v[36:37], 0, v[32:33]
	s_waitcnt lgkmcnt(0)
	global_store_dwordx4 v[44:45], v[40:43], off
.LBB165_28:                             ;   in Loop: Header=BB165_11 Depth=1
	s_or_b64 exec, exec, s[0:1]
	v_cmp_ne_u32_e64 s[0:1], 1, v57
	s_and_saveexec_b64 s[38:39], s[30:31]
	s_cbranch_execz .LBB165_32
; %bb.29:                               ;   in Loop: Header=BB165_11 Depth=1
	s_and_b64 vcc, exec, s[0:1]
	s_cbranch_vccnz .LBB165_56
; %bb.30:                               ;   in Loop: Header=BB165_11 Depth=1
	ds_read2_b64 v[40:43], v50 offset1:1
	v_lshl_add_u64 v[44:45], v[18:19], 4, v[38:39]
	s_waitcnt lgkmcnt(0)
	global_store_dwordx4 v[44:45], v[40:43], off
	s_cbranch_execnz .LBB165_32
.LBB165_31:                             ;   in Loop: Header=BB165_11 Depth=1
	ds_read2_b64 v[40:43], v50 offset1:1
	v_mov_b32_e32 v33, v8
	v_lshl_add_u64 v[44:45], v[36:37], 0, v[32:33]
	s_waitcnt lgkmcnt(0)
	global_store_dwordx4 v[44:45], v[40:43], off offset:32
.LBB165_32:                             ;   in Loop: Header=BB165_11 Depth=1
	s_or_b64 exec, exec, s[38:39]
	s_and_saveexec_b64 s[38:39], s[2:3]
	s_cbranch_execz .LBB165_36
; %bb.33:                               ;   in Loop: Header=BB165_11 Depth=1
	s_and_b64 vcc, exec, s[0:1]
	s_cbranch_vccnz .LBB165_57
; %bb.34:                               ;   in Loop: Header=BB165_11 Depth=1
	ds_read2_b64 v[40:43], v51 offset1:1
	v_lshl_add_u64 v[44:45], v[20:21], 4, v[38:39]
	s_waitcnt lgkmcnt(0)
	global_store_dwordx4 v[44:45], v[40:43], off
	s_cbranch_execnz .LBB165_36
.LBB165_35:                             ;   in Loop: Header=BB165_11 Depth=1
	ds_read2_b64 v[40:43], v51 offset1:1
	v_mov_b32_e32 v33, v8
	v_lshl_add_u64 v[44:45], v[36:37], 0, v[32:33]
	s_waitcnt lgkmcnt(0)
	global_store_dwordx4 v[44:45], v[40:43], off offset:64
.LBB165_36:                             ;   in Loop: Header=BB165_11 Depth=1
	s_or_b64 exec, exec, s[38:39]
	s_and_saveexec_b64 s[38:39], s[6:7]
	s_cbranch_execz .LBB165_40
; %bb.37:                               ;   in Loop: Header=BB165_11 Depth=1
	s_and_b64 vcc, exec, s[0:1]
	s_cbranch_vccnz .LBB165_58
; %bb.38:                               ;   in Loop: Header=BB165_11 Depth=1
	ds_read2_b64 v[40:43], v52 offset1:1
	v_lshl_add_u64 v[44:45], v[22:23], 4, v[38:39]
	s_waitcnt lgkmcnt(0)
	global_store_dwordx4 v[44:45], v[40:43], off
	s_cbranch_execnz .LBB165_40
.LBB165_39:                             ;   in Loop: Header=BB165_11 Depth=1
	ds_read2_b64 v[40:43], v52 offset1:1
	v_mov_b32_e32 v33, v8
	v_lshl_add_u64 v[44:45], v[36:37], 0, v[32:33]
	s_waitcnt lgkmcnt(0)
	global_store_dwordx4 v[44:45], v[40:43], off offset:96
.LBB165_40:                             ;   in Loop: Header=BB165_11 Depth=1
	s_or_b64 exec, exec, s[38:39]
	s_and_saveexec_b64 s[38:39], s[8:9]
	s_cbranch_execz .LBB165_44
; %bb.41:                               ;   in Loop: Header=BB165_11 Depth=1
	s_and_b64 vcc, exec, s[0:1]
	s_cbranch_vccnz .LBB165_59
; %bb.42:                               ;   in Loop: Header=BB165_11 Depth=1
	ds_read2_b64 v[40:43], v53 offset1:1
	v_lshl_add_u64 v[44:45], v[24:25], 4, v[38:39]
	s_waitcnt lgkmcnt(0)
	global_store_dwordx4 v[44:45], v[40:43], off
	s_cbranch_execnz .LBB165_44
.LBB165_43:                             ;   in Loop: Header=BB165_11 Depth=1
	ds_read2_b64 v[40:43], v53 offset1:1
	v_mov_b32_e32 v33, v8
	v_lshl_add_u64 v[44:45], v[36:37], 0, v[32:33]
	s_waitcnt lgkmcnt(0)
	global_store_dwordx4 v[44:45], v[40:43], off offset:128
.LBB165_44:                             ;   in Loop: Header=BB165_11 Depth=1
	s_or_b64 exec, exec, s[38:39]
	s_and_saveexec_b64 s[38:39], s[10:11]
	s_cbranch_execz .LBB165_48
; %bb.45:                               ;   in Loop: Header=BB165_11 Depth=1
	s_and_b64 vcc, exec, s[0:1]
	s_cbranch_vccnz .LBB165_60
; %bb.46:                               ;   in Loop: Header=BB165_11 Depth=1
	ds_read2_b64 v[40:43], v54 offset1:1
	v_lshl_add_u64 v[44:45], v[26:27], 4, v[38:39]
	s_waitcnt lgkmcnt(0)
	global_store_dwordx4 v[44:45], v[40:43], off
	s_cbranch_execnz .LBB165_48
.LBB165_47:                             ;   in Loop: Header=BB165_11 Depth=1
	ds_read2_b64 v[40:43], v54 offset1:1
	v_mov_b32_e32 v33, v8
	v_lshl_add_u64 v[44:45], v[36:37], 0, v[32:33]
	s_waitcnt lgkmcnt(0)
	global_store_dwordx4 v[44:45], v[40:43], off offset:160
.LBB165_48:                             ;   in Loop: Header=BB165_11 Depth=1
	s_or_b64 exec, exec, s[38:39]
	s_and_saveexec_b64 s[38:39], s[12:13]
	s_cbranch_execz .LBB165_52
; %bb.49:                               ;   in Loop: Header=BB165_11 Depth=1
	s_and_b64 vcc, exec, s[0:1]
	s_cbranch_vccnz .LBB165_61
; %bb.50:                               ;   in Loop: Header=BB165_11 Depth=1
	ds_read2_b64 v[40:43], v55 offset1:1
	v_lshl_add_u64 v[44:45], v[28:29], 4, v[38:39]
	s_waitcnt lgkmcnt(0)
	global_store_dwordx4 v[44:45], v[40:43], off
	s_cbranch_execnz .LBB165_52
.LBB165_51:                             ;   in Loop: Header=BB165_11 Depth=1
	ds_read2_b64 v[40:43], v55 offset1:1
	v_mov_b32_e32 v33, v8
	v_lshl_add_u64 v[44:45], v[36:37], 0, v[32:33]
	s_waitcnt lgkmcnt(0)
	global_store_dwordx4 v[44:45], v[40:43], off offset:192
.LBB165_52:                             ;   in Loop: Header=BB165_11 Depth=1
	s_or_b64 exec, exec, s[38:39]
	v_mov_b32_e32 v33, 1
	s_and_saveexec_b64 s[38:39], s[4:5]
	s_cbranch_execz .LBB165_9
; %bb.53:                               ;   in Loop: Header=BB165_11 Depth=1
	s_and_b64 vcc, exec, s[0:1]
	s_cbranch_vccnz .LBB165_62
; %bb.54:                               ;   in Loop: Header=BB165_11 Depth=1
	ds_read2_b64 v[40:43], v56 offset1:1
	v_lshl_add_u64 v[38:39], v[30:31], 4, v[38:39]
	s_mov_b32 s35, 1
	s_waitcnt lgkmcnt(0)
	global_store_dwordx4 v[38:39], v[40:43], off
	s_cbranch_execnz .LBB165_8
	s_branch .LBB165_63
.LBB165_55:                             ;   in Loop: Header=BB165_11 Depth=1
	s_branch .LBB165_27
.LBB165_56:                             ;   in Loop: Header=BB165_11 Depth=1
	s_branch .LBB165_31
.LBB165_57:                             ;   in Loop: Header=BB165_11 Depth=1
	s_branch .LBB165_35
.LBB165_58:                             ;   in Loop: Header=BB165_11 Depth=1
	s_branch .LBB165_39
.LBB165_59:                             ;   in Loop: Header=BB165_11 Depth=1
	s_branch .LBB165_43
.LBB165_60:                             ;   in Loop: Header=BB165_11 Depth=1
	s_branch .LBB165_47
.LBB165_61:                             ;   in Loop: Header=BB165_11 Depth=1
	s_branch .LBB165_51
.LBB165_62:                             ;   in Loop: Header=BB165_11 Depth=1
                                        ; implicit-def: $sgpr35
.LBB165_63:                             ;   in Loop: Header=BB165_11 Depth=1
	ds_read2_b64 v[38:41], v56 offset1:1
	v_mov_b32_e32 v33, v8
	v_lshl_add_u64 v[36:37], v[36:37], 0, v[32:33]
	s_mov_b32 s35, 1
	s_waitcnt lgkmcnt(0)
	global_store_dwordx4 v[36:37], v[38:41], off offset:224
	s_branch .LBB165_8
.LBB165_64:
	s_endpgm
	.section	.rodata,"a",@progbits
	.p2align	6, 0x0
	.amdhsa_kernel _ZN9rocsparseL42csr2bsr_wavefront_per_row_multipass_kernelILj256ELj32ELj16E21rocsparse_complex_numIdEilEEv20rocsparse_direction_T4_S4_S4_S4_S4_21rocsparse_index_base_PKT2_PKT3_PKS4_S5_PS6_PS9_PS4_
		.amdhsa_group_segment_fixed_size 32776
		.amdhsa_private_segment_fixed_size 0
		.amdhsa_kernarg_size 112
		.amdhsa_user_sgpr_count 2
		.amdhsa_user_sgpr_dispatch_ptr 0
		.amdhsa_user_sgpr_queue_ptr 0
		.amdhsa_user_sgpr_kernarg_segment_ptr 1
		.amdhsa_user_sgpr_dispatch_id 0
		.amdhsa_user_sgpr_kernarg_preload_length 0
		.amdhsa_user_sgpr_kernarg_preload_offset 0
		.amdhsa_user_sgpr_private_segment_size 0
		.amdhsa_uses_dynamic_stack 0
		.amdhsa_enable_private_segment 0
		.amdhsa_system_sgpr_workgroup_id_x 1
		.amdhsa_system_sgpr_workgroup_id_y 0
		.amdhsa_system_sgpr_workgroup_id_z 0
		.amdhsa_system_sgpr_workgroup_info 0
		.amdhsa_system_vgpr_workitem_id 0
		.amdhsa_next_free_vgpr 66
		.amdhsa_next_free_sgpr 48
		.amdhsa_accum_offset 68
		.amdhsa_reserve_vcc 1
		.amdhsa_float_round_mode_32 0
		.amdhsa_float_round_mode_16_64 0
		.amdhsa_float_denorm_mode_32 3
		.amdhsa_float_denorm_mode_16_64 3
		.amdhsa_dx10_clamp 1
		.amdhsa_ieee_mode 1
		.amdhsa_fp16_overflow 0
		.amdhsa_tg_split 0
		.amdhsa_exception_fp_ieee_invalid_op 0
		.amdhsa_exception_fp_denorm_src 0
		.amdhsa_exception_fp_ieee_div_zero 0
		.amdhsa_exception_fp_ieee_overflow 0
		.amdhsa_exception_fp_ieee_underflow 0
		.amdhsa_exception_fp_ieee_inexact 0
		.amdhsa_exception_int_div_zero 0
	.end_amdhsa_kernel
	.section	.text._ZN9rocsparseL42csr2bsr_wavefront_per_row_multipass_kernelILj256ELj32ELj16E21rocsparse_complex_numIdEilEEv20rocsparse_direction_T4_S4_S4_S4_S4_21rocsparse_index_base_PKT2_PKT3_PKS4_S5_PS6_PS9_PS4_,"axG",@progbits,_ZN9rocsparseL42csr2bsr_wavefront_per_row_multipass_kernelILj256ELj32ELj16E21rocsparse_complex_numIdEilEEv20rocsparse_direction_T4_S4_S4_S4_S4_21rocsparse_index_base_PKT2_PKT3_PKS4_S5_PS6_PS9_PS4_,comdat
.Lfunc_end165:
	.size	_ZN9rocsparseL42csr2bsr_wavefront_per_row_multipass_kernelILj256ELj32ELj16E21rocsparse_complex_numIdEilEEv20rocsparse_direction_T4_S4_S4_S4_S4_21rocsparse_index_base_PKT2_PKT3_PKS4_S5_PS6_PS9_PS4_, .Lfunc_end165-_ZN9rocsparseL42csr2bsr_wavefront_per_row_multipass_kernelILj256ELj32ELj16E21rocsparse_complex_numIdEilEEv20rocsparse_direction_T4_S4_S4_S4_S4_21rocsparse_index_base_PKT2_PKT3_PKS4_S5_PS6_PS9_PS4_
                                        ; -- End function
	.section	.AMDGPU.csdata,"",@progbits
; Kernel info:
; codeLenInByte = 3204
; NumSgprs: 54
; NumVgprs: 66
; NumAgprs: 0
; TotalNumVgprs: 66
; ScratchSize: 0
; MemoryBound: 0
; FloatMode: 240
; IeeeMode: 1
; LDSByteSize: 32776 bytes/workgroup (compile time only)
; SGPRBlocks: 6
; VGPRBlocks: 8
; NumSGPRsForWavesPerEU: 54
; NumVGPRsForWavesPerEU: 66
; AccumOffset: 68
; Occupancy: 1
; WaveLimiterHint : 0
; COMPUTE_PGM_RSRC2:SCRATCH_EN: 0
; COMPUTE_PGM_RSRC2:USER_SGPR: 2
; COMPUTE_PGM_RSRC2:TRAP_HANDLER: 0
; COMPUTE_PGM_RSRC2:TGID_X_EN: 1
; COMPUTE_PGM_RSRC2:TGID_Y_EN: 0
; COMPUTE_PGM_RSRC2:TGID_Z_EN: 0
; COMPUTE_PGM_RSRC2:TIDIG_COMP_CNT: 0
; COMPUTE_PGM_RSRC3_GFX90A:ACCUM_OFFSET: 16
; COMPUTE_PGM_RSRC3_GFX90A:TG_SPLIT: 0
	.section	.text._ZN9rocsparseL38csr2bsr_block_per_row_multipass_kernelILj256ELj32E21rocsparse_complex_numIdEilEEv20rocsparse_direction_T3_S4_S4_S4_S4_21rocsparse_index_base_PKT1_PKT2_PKS4_S5_PS6_PS9_PS4_,"axG",@progbits,_ZN9rocsparseL38csr2bsr_block_per_row_multipass_kernelILj256ELj32E21rocsparse_complex_numIdEilEEv20rocsparse_direction_T3_S4_S4_S4_S4_21rocsparse_index_base_PKT1_PKT2_PKS4_S5_PS6_PS9_PS4_,comdat
	.globl	_ZN9rocsparseL38csr2bsr_block_per_row_multipass_kernelILj256ELj32E21rocsparse_complex_numIdEilEEv20rocsparse_direction_T3_S4_S4_S4_S4_21rocsparse_index_base_PKT1_PKT2_PKS4_S5_PS6_PS9_PS4_ ; -- Begin function _ZN9rocsparseL38csr2bsr_block_per_row_multipass_kernelILj256ELj32E21rocsparse_complex_numIdEilEEv20rocsparse_direction_T3_S4_S4_S4_S4_21rocsparse_index_base_PKT1_PKT2_PKS4_S5_PS6_PS9_PS4_
	.p2align	8
	.type	_ZN9rocsparseL38csr2bsr_block_per_row_multipass_kernelILj256ELj32E21rocsparse_complex_numIdEilEEv20rocsparse_direction_T3_S4_S4_S4_S4_21rocsparse_index_base_PKT1_PKT2_PKS4_S5_PS6_PS9_PS4_,@function
_ZN9rocsparseL38csr2bsr_block_per_row_multipass_kernelILj256ELj32E21rocsparse_complex_numIdEilEEv20rocsparse_direction_T3_S4_S4_S4_S4_21rocsparse_index_base_PKT1_PKT2_PKS4_S5_PS6_PS9_PS4_: ; @_ZN9rocsparseL38csr2bsr_block_per_row_multipass_kernelILj256ELj32E21rocsparse_complex_numIdEilEEv20rocsparse_direction_T3_S4_S4_S4_S4_21rocsparse_index_base_PKT1_PKT2_PKS4_S5_PS6_PS9_PS4_
; %bb.0:
	s_load_dwordx2 s[6:7], s[0:1], 0x8
	s_load_dwordx4 s[20:23], s[0:1], 0x20
	s_load_dword s33, s[0:1], 0x30
	s_load_dwordx2 s[4:5], s[0:1], 0x40
	s_ashr_i32 s3, s2, 31
	v_lshrrev_b32_e32 v4, 3, v0
	v_mov_b32_e32 v5, 0
	s_waitcnt lgkmcnt(0)
	s_mul_i32 s8, s2, s23
	s_mul_i32 s9, s3, s22
	v_mov_b32_e32 v1, s22
	s_add_i32 s10, s8, s9
	v_mad_u64_u32 v[2:3], s[8:9], s2, v1, v[4:5]
	v_add_u32_e32 v3, s10, v3
	v_cmp_gt_i64_e32 vcc, s[6:7], v[2:3]
	v_cmp_gt_i64_e64 s[18:19], s[22:23], v[4:5]
	s_and_b64 s[6:7], s[18:19], vcc
	v_mov_b32_e32 v7, v5
	s_and_saveexec_b64 s[8:9], s[6:7]
	s_cbranch_execnz .LBB166_3
; %bb.1:
	s_or_b64 exec, exec, s[8:9]
	s_and_saveexec_b64 s[8:9], s[6:7]
	s_cbranch_execnz .LBB166_4
.LBB166_2:
	s_or_b64 exec, exec, s[8:9]
	v_cmp_lt_i64_e64 s[4:5], s[20:21], 1
	s_and_b64 vcc, exec, s[4:5]
	s_cbranch_vccz .LBB166_5
	s_branch .LBB166_45
.LBB166_3:
	v_lshl_add_u64 v[6:7], v[2:3], 2, s[4:5]
	global_load_dword v1, v[6:7], off
	s_waitcnt vmcnt(0)
	v_subrev_u32_e32 v7, s33, v1
	s_or_b64 exec, exec, s[8:9]
	s_and_saveexec_b64 s[8:9], s[6:7]
	s_cbranch_execz .LBB166_2
.LBB166_4:
	v_lshl_add_u64 v[2:3], v[2:3], 2, s[4:5]
	global_load_dword v1, v[2:3], off offset:4
	s_waitcnt vmcnt(0)
	v_subrev_u32_e32 v5, s33, v1
	s_or_b64 exec, exec, s[8:9]
	v_cmp_lt_i64_e64 s[4:5], s[20:21], 1
	s_and_b64 vcc, exec, s[4:5]
	s_cbranch_vccnz .LBB166_45
.LBB166_5:
	s_load_dwordx2 s[24:25], s[0:1], 0x68
	s_load_dwordx4 s[4:7], s[0:1], 0x58
	s_mul_i32 s8, s22, s23
	s_mul_hi_u32 s9, s22, s22
	s_add_i32 s9, s9, s8
	s_add_i32 s60, s9, s8
	s_lshl_b64 s[2:3], s[2:3], 2
	s_waitcnt lgkmcnt(0)
	s_add_u32 s2, s6, s2
	v_mov_b32_e32 v6, 0
	s_load_dword s63, s[0:1], 0x50
	s_addc_u32 s3, s7, s3
	v_lshlrev_b32_e32 v2, 4, v4
	v_mov_b32_e32 v3, v6
	s_load_dword s6, s[2:3], 0x0
	s_load_dwordx2 s[26:27], s[0:1], 0x48
	s_load_dwordx2 s[28:29], s[0:1], 0x38
	s_load_dword s7, s[0:1], 0x0
	v_lshl_add_u64 v[8:9], s[4:5], 0, v[2:3]
	v_mad_u64_u32 v[2:3], s[2:3], v4, s22, 0
	v_mov_b32_e32 v12, v3
	v_mad_u64_u32 v[12:13], s[2:3], v4, s23, v[12:13]
	v_and_b32_e32 v10, 7, v0
	s_waitcnt lgkmcnt(0)
	s_sub_i32 s30, s6, s63
	v_lshlrev_b32_e32 v32, 5, v4
	v_mov_b32_e32 v3, v12
	s_movk_i32 s2, 0x80
	v_mbcnt_lo_u32_b32 v1, -1, 0
	s_cmp_eq_u32 s7, 0
	v_lshl_add_u64 v[2:3], v[2:3], 4, s[4:5]
	v_lshlrev_b32_e32 v4, 3, v0
	v_cmp_gt_u32_e64 s[2:3], s2, v0
	v_cmp_gt_u32_e64 s[4:5], 64, v0
	;; [unrolled: 1-line block ×7, first 2 shown]
	v_cmp_eq_u32_e64 s[16:17], 0, v0
	v_or_b32_e32 v0, v32, v10
	v_mad_u64_u32 v[14:15], s[36:37], v10, s22, 0
	v_mbcnt_hi_u32_b32 v1, -1, v1
	v_lshlrev_b32_e32 v34, 4, v0
	v_mov_b32_e32 v0, v15
	v_lshl_or_b32 v33, v1, 2, 28
	v_mad_u64_u32 v[0:1], s[36:37], v10, s23, v[0:1]
	v_mov_b32_e32 v15, v0
	v_or_b32_e32 v0, 8, v10
	v_mov_b32_e32 v11, v6
	v_lshlrev_b32_e32 v12, 4, v10
	v_mov_b32_e32 v13, v6
	v_mad_u64_u32 v[16:17], s[38:39], v0, s22, 0
	v_lshl_add_u64 v[12:13], v[2:3], 0, v[12:13]
	v_cmp_gt_i64_e32 vcc, s[22:23], v[10:11]
	v_mov_b32_e32 v1, v6
	v_mov_b32_e32 v2, v17
	v_cvt_f32_u32_e32 v11, s22
	s_cselect_b64 s[0:1], -1, 0
	s_and_b64 s[34:35], s[18:19], vcc
	v_cmp_gt_i64_e32 vcc, s[22:23], v[0:1]
	v_mad_u64_u32 v[0:1], s[38:39], v0, s23, v[2:3]
	v_mov_b32_e32 v17, v0
	v_or_b32_e32 v0, 16, v10
	v_mad_u64_u32 v[18:19], s[40:41], v0, s22, 0
	v_mov_b32_e32 v1, v6
	v_mov_b32_e32 v2, v19
	v_rcp_iflag_f32_e32 v11, v11
	s_and_b64 s[36:37], s[18:19], vcc
	v_cmp_gt_i64_e32 vcc, s[22:23], v[0:1]
	v_mad_u64_u32 v[0:1], s[40:41], v0, s23, v[2:3]
	v_mov_b32_e32 v19, v0
	v_or_b32_e32 v0, 24, v10
	v_mov_b32_e32 v1, v6
	s_and_b64 s[38:39], s[18:19], vcc
	v_cmp_gt_i64_e32 vcc, s[22:23], v[0:1]
	s_and_b64 s[40:41], s[18:19], vcc
	v_mad_u64_u32 v[20:21], s[18:19], v0, s22, 0
	v_mul_f32_e32 v11, 0x4f7ffffe, v11
	s_mov_b32 s62, 0
	v_mov_b32_e32 v2, v21
	v_cvt_u32_f32_e32 v11, v11
	v_mad_u64_u32 v[0:1], s[18:19], v0, s23, v[2:3]
	s_mov_b32 s44, s62
	s_mov_b32 s45, s62
	v_mov_b32_e32 v21, v0
	s_mov_b32 s46, s62
	s_mov_b32 s47, s62
	v_mov_b64_e32 v[0:1], s[44:45]
	s_mul_i32 s61, s22, s22
	v_or_b32_e32 v35, 0x80, v34
	v_or_b32_e32 v36, 0x100, v34
	;; [unrolled: 1-line block ×3, first 2 shown]
	s_mov_b64 s[48:49], 0
	v_mov_b64_e32 v[2:3], s[46:47]
	s_mov_b64 s[42:43], 0x80
	s_mov_b64 s[44:45], 0x100
	;; [unrolled: 1-line block ×3, first 2 shown]
	v_mov_b32_e32 v38, 1
	v_mov_b32_e32 v24, 0
	s_branch .LBB166_7
.LBB166_6:                              ;   in Loop: Header=BB166_7 Depth=1
	s_or_b64 exec, exec, s[18:19]
	s_waitcnt lgkmcnt(0)
	s_barrier
	ds_read_b64 v[24:25], v6
	v_mov_b64_e32 v[22:23], s[20:21]
	s_add_i32 s30, s31, s30
	s_waitcnt lgkmcnt(0)
	s_barrier
	v_readfirstlane_b32 s18, v24
	v_readfirstlane_b32 s19, v25
	s_bfe_i64 s[48:49], s[18:19], 0x200000
	v_cmp_lt_i64_e32 vcc, s[48:49], v[22:23]
	s_cbranch_vccz .LBB166_45
.LBB166_7:                              ; =>This Loop Header: Depth=1
                                        ;     Child Loop BB166_10 Depth 2
	v_add_u32_e32 v26, v7, v10
	v_cmp_lt_i32_e32 vcc, v26, v5
	v_mov_b64_e32 v[22:23], s[20:21]
	v_mov_b32_e32 v7, v5
	ds_write_b8 v6, v6 offset:16384
	ds_write_b128 v34, v[0:3]
	ds_write_b128 v34, v[0:3] offset:128
	ds_write_b128 v34, v[0:3] offset:256
	;; [unrolled: 1-line block ×3, first 2 shown]
	s_waitcnt lgkmcnt(0)
	s_barrier
	s_and_saveexec_b64 s[50:51], vcc
	s_cbranch_execz .LBB166_19
; %bb.8:                                ;   in Loop: Header=BB166_7 Depth=1
	s_mul_i32 s31, s48, s22
	s_mov_b64 s[52:53], 0
	v_mov_b64_e32 v[22:23], s[20:21]
	v_mov_b32_e32 v25, v5
	s_branch .LBB166_10
.LBB166_9:                              ;   in Loop: Header=BB166_10 Depth=2
	s_or_b64 exec, exec, s[18:19]
	v_add_u32_e32 v26, 8, v26
	v_cmp_ge_i32_e64 s[18:19], v26, v5
	s_xor_b64 s[54:55], vcc, -1
	s_or_b64 s[18:19], s[54:55], s[18:19]
	s_and_b64 s[18:19], exec, s[18:19]
	s_or_b64 s[52:53], s[18:19], s[52:53]
	v_mov_b32_e32 v25, v7
	s_andn2_b64 exec, exec, s[52:53]
	s_cbranch_execz .LBB166_18
.LBB166_10:                             ;   Parent Loop BB166_7 Depth=1
                                        ; =>  This Inner Loop Header: Depth=2
	v_ashrrev_i32_e32 v27, 31, v26
	v_lshl_add_u64 v[28:29], v[26:27], 3, s[26:27]
	global_load_dwordx2 v[28:29], v[28:29], off
	v_mov_b32_e32 v7, s62
                                        ; implicit-def: $vgpr30_vgpr31
	s_waitcnt vmcnt(0)
	v_subrev_co_u32_e32 v28, vcc, s33, v28
	s_nop 1
	v_subb_co_u32_e32 v29, vcc, v29, v7, vcc
	v_or_b32_e32 v7, s23, v29
	v_cmp_ne_u64_e32 vcc, 0, v[6:7]
	s_and_saveexec_b64 s[18:19], vcc
	s_xor_b64 s[54:55], exec, s[18:19]
	s_cbranch_execz .LBB166_12
; %bb.11:                               ;   in Loop: Header=BB166_10 Depth=2
	s_ashr_i32 s56, s23, 31
	s_add_u32 s18, s22, s56
	s_mov_b32 s57, s56
	s_addc_u32 s19, s23, s56
	s_xor_b64 s[58:59], s[18:19], s[56:57]
	v_cvt_f32_u32_e32 v7, s58
	v_cvt_f32_u32_e32 v30, s59
	s_sub_u32 s18, 0, s58
	s_subb_u32 s19, 0, s59
	v_mov_b32_e32 v41, v6
	v_fmac_f32_e32 v7, 0x4f800000, v30
	v_rcp_f32_e32 v7, v7
	s_nop 0
	v_mul_f32_e32 v7, 0x5f7ffffc, v7
	v_mul_f32_e32 v30, 0x2f800000, v7
	v_trunc_f32_e32 v30, v30
	v_fmac_f32_e32 v7, 0xcf800000, v30
	v_cvt_u32_f32_e32 v39, v30
	v_cvt_u32_f32_e32 v7, v7
	v_mul_lo_u32 v30, s18, v39
	v_mul_hi_u32 v40, s18, v7
	v_mul_lo_u32 v31, s19, v7
	v_add_u32_e32 v30, v40, v30
	v_mul_lo_u32 v42, s18, v7
	v_add_u32_e32 v43, v30, v31
	v_mul_hi_u32 v31, v7, v43
	v_mul_lo_u32 v30, v7, v43
	v_mul_hi_u32 v40, v7, v42
	v_lshl_add_u64 v[30:31], v[40:41], 0, v[30:31]
	v_mul_hi_u32 v41, v39, v42
	v_mul_lo_u32 v42, v39, v42
	v_add_co_u32_e32 v30, vcc, v30, v42
	v_mul_hi_u32 v40, v39, v43
	s_nop 0
	v_addc_co_u32_e32 v30, vcc, v31, v41, vcc
	v_mov_b32_e32 v31, v6
	s_nop 0
	v_addc_co_u32_e32 v41, vcc, 0, v40, vcc
	v_mul_lo_u32 v40, v39, v43
	v_lshl_add_u64 v[30:31], v[30:31], 0, v[40:41]
	v_add_co_u32_e32 v7, vcc, v7, v30
	v_mul_lo_u32 v40, s18, v7
	s_nop 0
	v_addc_co_u32_e32 v39, vcc, v39, v31, vcc
	v_mul_lo_u32 v30, s18, v39
	v_mul_hi_u32 v31, s18, v7
	v_add_u32_e32 v30, v31, v30
	v_mul_lo_u32 v31, s19, v7
	v_add_u32_e32 v42, v30, v31
	v_mul_hi_u32 v44, v39, v40
	v_mul_lo_u32 v45, v39, v40
	v_mul_hi_u32 v31, v7, v42
	v_mul_lo_u32 v30, v7, v42
	v_mul_hi_u32 v40, v7, v40
	v_mov_b32_e32 v41, v6
	v_lshl_add_u64 v[30:31], v[40:41], 0, v[30:31]
	v_add_co_u32_e32 v30, vcc, v30, v45
	v_mul_hi_u32 v43, v39, v42
	s_nop 0
	v_addc_co_u32_e32 v30, vcc, v31, v44, vcc
	v_mul_lo_u32 v40, v39, v42
	s_nop 0
	v_addc_co_u32_e32 v41, vcc, 0, v43, vcc
	v_mov_b32_e32 v31, v6
	v_lshl_add_u64 v[30:31], v[30:31], 0, v[40:41]
	v_add_co_u32_e32 v7, vcc, v7, v30
	v_ashrrev_i32_e32 v30, 31, v29
	s_nop 0
	v_addc_co_u32_e32 v39, vcc, v39, v31, vcc
	v_mov_b32_e32 v31, v30
	v_lshl_add_u64 v[40:41], v[28:29], 0, v[30:31]
	v_xor_b32_e32 v31, v40, v30
	v_xor_b32_e32 v29, v41, v30
	v_mad_u64_u32 v[40:41], s[18:19], v31, v39, 0
	v_mul_hi_u32 v42, v31, v7
	v_mov_b32_e32 v43, v6
	v_lshl_add_u64 v[40:41], v[42:43], 0, v[40:41]
	v_mad_u64_u32 v[44:45], s[18:19], v29, v7, 0
	v_add_co_u32_e32 v7, vcc, v40, v44
	v_mad_u64_u32 v[42:43], s[18:19], v29, v39, 0
	s_nop 0
	v_addc_co_u32_e32 v40, vcc, v41, v45, vcc
	v_mov_b32_e32 v41, v6
	s_nop 0
	v_addc_co_u32_e32 v43, vcc, 0, v43, vcc
	v_lshl_add_u64 v[40:41], v[40:41], 0, v[42:43]
	v_mul_lo_u32 v7, s59, v40
	v_mul_lo_u32 v39, s58, v41
	v_mad_u64_u32 v[42:43], s[18:19], s58, v40, 0
	v_add3_u32 v7, v43, v39, v7
	v_sub_u32_e32 v39, v29, v7
	v_mov_b32_e32 v43, s59
	v_sub_co_u32_e32 v31, vcc, v31, v42
	v_lshl_add_u64 v[44:45], v[40:41], 0, 1
	s_nop 0
	v_subb_co_u32_e64 v39, s[18:19], v39, v43, vcc
	v_subrev_co_u32_e64 v42, s[18:19], s58, v31
	v_subb_co_u32_e32 v7, vcc, v29, v7, vcc
	s_nop 0
	v_subbrev_co_u32_e64 v39, s[18:19], 0, v39, s[18:19]
	v_cmp_le_u32_e64 s[18:19], s59, v39
	v_cmp_le_u32_e32 vcc, s59, v7
	s_nop 0
	v_cndmask_b32_e64 v43, 0, -1, s[18:19]
	v_cmp_le_u32_e64 s[18:19], s58, v42
	v_cndmask_b32_e64 v29, 0, -1, vcc
	v_cmp_le_u32_e32 vcc, s58, v31
	v_cndmask_b32_e64 v42, 0, -1, s[18:19]
	v_cmp_eq_u32_e64 s[18:19], s59, v39
	v_cndmask_b32_e64 v31, 0, -1, vcc
	v_cmp_eq_u32_e32 vcc, s59, v7
	v_cndmask_b32_e64 v39, v43, v42, s[18:19]
	v_lshl_add_u64 v[42:43], v[40:41], 0, 2
	v_cmp_ne_u32_e64 s[18:19], 0, v39
	v_cndmask_b32_e32 v7, v29, v31, vcc
	v_cmp_ne_u32_e32 vcc, 0, v7
	v_cndmask_b32_e64 v29, v44, v42, s[18:19]
	v_cndmask_b32_e64 v39, v45, v43, s[18:19]
	v_cndmask_b32_e32 v29, v40, v29, vcc
	v_xor_b32_e32 v31, s56, v30
	v_cndmask_b32_e32 v7, v41, v39, vcc
	v_xor_b32_e32 v29, v29, v31
	v_xor_b32_e32 v7, v7, v31
	v_sub_co_u32_e32 v30, vcc, v29, v31
	s_nop 1
	v_subb_co_u32_e32 v31, vcc, v7, v31, vcc
.LBB166_12:                             ;   in Loop: Header=BB166_10 Depth=2
	s_andn2_saveexec_b64 s[18:19], s[54:55]
	s_cbranch_execz .LBB166_14
; %bb.13:                               ;   in Loop: Header=BB166_10 Depth=2
	s_sub_i32 s54, 0, s22
	v_mul_lo_u32 v7, s54, v11
	v_mul_hi_u32 v7, v11, v7
	v_add_u32_e32 v7, v11, v7
	v_mul_hi_u32 v7, v28, v7
	v_mul_lo_u32 v29, v7, s22
	v_sub_u32_e32 v29, v28, v29
	v_subrev_u32_e32 v30, s22, v29
	v_cmp_le_u32_e32 vcc, s22, v29
	v_mov_b32_e32 v31, v6
	s_nop 0
	v_cndmask_b32_e32 v29, v29, v30, vcc
	v_add_u32_e32 v30, 1, v7
	v_cndmask_b32_e32 v7, v7, v30, vcc
	v_add_u32_e32 v30, 1, v7
	v_cmp_le_u32_e32 vcc, s22, v29
	s_nop 1
	v_cndmask_b32_e32 v30, v7, v30, vcc
.LBB166_14:                             ;   in Loop: Header=BB166_10 Depth=2
	s_or_b64 exec, exec, s[18:19]
	v_cmp_eq_u64_e32 vcc, s[48:49], v[30:31]
	v_cmp_ne_u64_e64 s[18:19], s[48:49], v[30:31]
	s_and_saveexec_b64 s[54:55], s[18:19]
	s_xor_b64 s[54:55], exec, s[54:55]
; %bb.15:                               ;   in Loop: Header=BB166_10 Depth=2
	v_cmp_lt_i64_e64 s[18:19], v[30:31], v[22:23]
                                        ; implicit-def: $vgpr28_vgpr29
                                        ; implicit-def: $vgpr25
	s_nop 1
	v_cndmask_b32_e64 v23, v23, v31, s[18:19]
	v_cndmask_b32_e64 v22, v22, v30, s[18:19]
; %bb.16:                               ;   in Loop: Header=BB166_10 Depth=2
	s_or_saveexec_b64 s[18:19], s[54:55]
	v_mov_b32_e32 v7, v26
	s_xor_b64 exec, exec, s[18:19]
	s_cbranch_execz .LBB166_9
; %bb.17:                               ;   in Loop: Header=BB166_10 Depth=2
	v_lshl_add_u64 v[30:31], v[26:27], 4, s[28:29]
	global_load_dwordx4 v[40:43], v[30:31], off
	v_subrev_u32_e32 v7, s31, v28
	v_add_lshl_u32 v7, v32, v7, 4
	ds_write_b8 v6, v38 offset:16384
	s_waitcnt vmcnt(0)
	ds_write2_b64 v7, v[40:41], v[42:43] offset1:1
	v_mov_b32_e32 v7, v25
	s_branch .LBB166_9
.LBB166_18:                             ;   in Loop: Header=BB166_7 Depth=1
	s_or_b64 exec, exec, s[52:53]
.LBB166_19:                             ;   in Loop: Header=BB166_7 Depth=1
	s_or_b64 exec, exec, s[50:51]
	v_mov_b32_dpp v25, v7 row_shr:1 row_mask:0xf bank_mask:0xf
	v_min_i32_e32 v7, v25, v7
	s_waitcnt lgkmcnt(0)
	s_barrier
	v_mov_b32_dpp v25, v7 row_shr:2 row_mask:0xf bank_mask:0xf
	v_min_i32_e32 v7, v25, v7
	ds_read_u8 v25, v6 offset:16384
	s_nop 0
	v_mov_b32_dpp v26, v7 row_shr:4 row_mask:0xf bank_mask:0xe
	v_min_i32_e32 v7, v26, v7
	ds_bpermute_b32 v7, v33, v7
	s_mov_b32 s31, 0
	s_waitcnt lgkmcnt(1)
	v_cmp_eq_u32_e32 vcc, 0, v25
	s_cbranch_vccnz .LBB166_26
; %bb.20:                               ;   in Loop: Header=BB166_7 Depth=1
	s_ashr_i32 s31, s30, 31
	s_lshl_b64 s[18:19], s[30:31], 3
	v_add_u32_e32 v24, s63, v24
	s_add_u32 s18, s24, s18
	v_ashrrev_i32_e32 v25, 31, v24
	s_addc_u32 s19, s25, s19
	global_store_dwordx2 v6, v[24:25], s[18:19]
	s_mul_hi_u32 s18, s61, s30
	s_mul_i32 s19, s61, s31
	s_add_i32 s18, s18, s19
	s_mul_i32 s19, s60, s30
	s_add_i32 s19, s18, s19
	s_mul_i32 s18, s61, s30
	s_lshl_b64 s[18:19], s[18:19], 4
	v_lshl_add_u64 v[24:25], v[8:9], 0, s[18:19]
	v_lshl_add_u64 v[26:27], v[12:13], 0, s[18:19]
	s_and_saveexec_b64 s[18:19], s[34:35]
	s_cbranch_execnz .LBB166_42
; %bb.21:                               ;   in Loop: Header=BB166_7 Depth=1
	s_or_b64 exec, exec, s[18:19]
	s_and_saveexec_b64 s[18:19], s[36:37]
	s_cbranch_execnz .LBB166_43
.LBB166_22:                             ;   in Loop: Header=BB166_7 Depth=1
	s_or_b64 exec, exec, s[18:19]
	s_and_saveexec_b64 s[18:19], s[38:39]
	s_cbranch_execnz .LBB166_44
.LBB166_23:                             ;   in Loop: Header=BB166_7 Depth=1
	s_or_b64 exec, exec, s[18:19]
	s_and_saveexec_b64 s[18:19], s[40:41]
	s_cbranch_execz .LBB166_25
.LBB166_24:                             ;   in Loop: Header=BB166_7 Depth=1
	ds_read2_b64 v[28:31], v37 offset1:1
	v_lshl_add_u64 v[26:27], v[26:27], 0, s[46:47]
	v_lshl_add_u64 v[24:25], v[20:21], 4, v[24:25]
	v_cndmask_b32_e64 v25, v25, v27, s[0:1]
	v_cndmask_b32_e64 v24, v24, v26, s[0:1]
	s_waitcnt lgkmcnt(0)
	global_store_dwordx4 v[24:25], v[28:31], off
.LBB166_25:                             ;   in Loop: Header=BB166_7 Depth=1
	s_or_b64 exec, exec, s[18:19]
	s_mov_b32 s31, 1
.LBB166_26:                             ;   in Loop: Header=BB166_7 Depth=1
	s_waitcnt lgkmcnt(0)
	s_barrier
	ds_write_b64 v4, v[22:23]
	s_waitcnt lgkmcnt(0)
	s_barrier
	s_and_saveexec_b64 s[18:19], s[2:3]
	s_cbranch_execz .LBB166_28
; %bb.27:                               ;   in Loop: Header=BB166_7 Depth=1
	ds_read2st64_b64 v[22:25], v4 offset1:2
	s_waitcnt lgkmcnt(0)
	v_cmp_lt_i64_e32 vcc, v[24:25], v[22:23]
	s_nop 1
	v_cndmask_b32_e32 v23, v23, v25, vcc
	v_cndmask_b32_e32 v22, v22, v24, vcc
	ds_write_b64 v4, v[22:23]
.LBB166_28:                             ;   in Loop: Header=BB166_7 Depth=1
	s_or_b64 exec, exec, s[18:19]
	s_waitcnt lgkmcnt(0)
	s_barrier
	s_and_saveexec_b64 s[18:19], s[4:5]
	s_cbranch_execz .LBB166_30
; %bb.29:                               ;   in Loop: Header=BB166_7 Depth=1
	ds_read2st64_b64 v[22:25], v4 offset1:1
	s_waitcnt lgkmcnt(0)
	v_cmp_lt_i64_e32 vcc, v[24:25], v[22:23]
	s_nop 1
	v_cndmask_b32_e32 v23, v23, v25, vcc
	v_cndmask_b32_e32 v22, v22, v24, vcc
	ds_write_b64 v4, v[22:23]
.LBB166_30:                             ;   in Loop: Header=BB166_7 Depth=1
	s_or_b64 exec, exec, s[18:19]
	s_waitcnt lgkmcnt(0)
	s_barrier
	s_and_saveexec_b64 s[18:19], s[6:7]
	s_cbranch_execz .LBB166_32
; %bb.31:                               ;   in Loop: Header=BB166_7 Depth=1
	ds_read2_b64 v[22:25], v4 offset1:32
	s_waitcnt lgkmcnt(0)
	v_cmp_lt_i64_e32 vcc, v[24:25], v[22:23]
	s_nop 1
	v_cndmask_b32_e32 v23, v23, v25, vcc
	v_cndmask_b32_e32 v22, v22, v24, vcc
	ds_write_b64 v4, v[22:23]
.LBB166_32:                             ;   in Loop: Header=BB166_7 Depth=1
	s_or_b64 exec, exec, s[18:19]
	s_waitcnt lgkmcnt(0)
	s_barrier
	s_and_saveexec_b64 s[18:19], s[8:9]
	s_cbranch_execz .LBB166_34
; %bb.33:                               ;   in Loop: Header=BB166_7 Depth=1
	ds_read2_b64 v[22:25], v4 offset1:16
	s_waitcnt lgkmcnt(0)
	v_cmp_lt_i64_e32 vcc, v[24:25], v[22:23]
	s_nop 1
	v_cndmask_b32_e32 v23, v23, v25, vcc
	v_cndmask_b32_e32 v22, v22, v24, vcc
	ds_write_b64 v4, v[22:23]
.LBB166_34:                             ;   in Loop: Header=BB166_7 Depth=1
	;; [unrolled: 14-line block ×5, first 2 shown]
	s_or_b64 exec, exec, s[18:19]
	s_waitcnt lgkmcnt(0)
	s_barrier
	s_and_saveexec_b64 s[18:19], s[16:17]
	s_cbranch_execz .LBB166_6
; %bb.41:                               ;   in Loop: Header=BB166_7 Depth=1
	ds_read_b128 v[22:25], v6
	s_waitcnt lgkmcnt(0)
	v_cmp_lt_i64_e32 vcc, v[24:25], v[22:23]
	s_nop 1
	v_cndmask_b32_e32 v23, v23, v25, vcc
	v_cndmask_b32_e32 v22, v22, v24, vcc
	ds_write_b64 v6, v[22:23]
	s_branch .LBB166_6
.LBB166_42:                             ;   in Loop: Header=BB166_7 Depth=1
	ds_read2_b64 v[28:31], v34 offset1:1
	v_lshl_add_u64 v[40:41], v[14:15], 4, v[24:25]
	v_cndmask_b32_e64 v41, v41, v27, s[0:1]
	v_cndmask_b32_e64 v40, v40, v26, s[0:1]
	s_waitcnt lgkmcnt(0)
	global_store_dwordx4 v[40:41], v[28:31], off
	s_or_b64 exec, exec, s[18:19]
	s_and_saveexec_b64 s[18:19], s[36:37]
	s_cbranch_execz .LBB166_22
.LBB166_43:                             ;   in Loop: Header=BB166_7 Depth=1
	ds_read2_b64 v[28:31], v35 offset1:1
	v_lshl_add_u64 v[40:41], v[26:27], 0, s[42:43]
	v_lshl_add_u64 v[42:43], v[16:17], 4, v[24:25]
	v_cndmask_b32_e64 v41, v43, v41, s[0:1]
	v_cndmask_b32_e64 v40, v42, v40, s[0:1]
	s_waitcnt lgkmcnt(0)
	global_store_dwordx4 v[40:41], v[28:31], off
	s_or_b64 exec, exec, s[18:19]
	s_and_saveexec_b64 s[18:19], s[38:39]
	s_cbranch_execz .LBB166_23
.LBB166_44:                             ;   in Loop: Header=BB166_7 Depth=1
	ds_read2_b64 v[28:31], v36 offset1:1
	v_lshl_add_u64 v[40:41], v[26:27], 0, s[44:45]
	v_lshl_add_u64 v[42:43], v[18:19], 4, v[24:25]
	v_cndmask_b32_e64 v41, v43, v41, s[0:1]
	v_cndmask_b32_e64 v40, v42, v40, s[0:1]
	s_waitcnt lgkmcnt(0)
	global_store_dwordx4 v[40:41], v[28:31], off
	s_or_b64 exec, exec, s[18:19]
	s_and_saveexec_b64 s[18:19], s[40:41]
	s_cbranch_execnz .LBB166_24
	s_branch .LBB166_25
.LBB166_45:
	s_endpgm
	.section	.rodata,"a",@progbits
	.p2align	6, 0x0
	.amdhsa_kernel _ZN9rocsparseL38csr2bsr_block_per_row_multipass_kernelILj256ELj32E21rocsparse_complex_numIdEilEEv20rocsparse_direction_T3_S4_S4_S4_S4_21rocsparse_index_base_PKT1_PKT2_PKS4_S5_PS6_PS9_PS4_
		.amdhsa_group_segment_fixed_size 16392
		.amdhsa_private_segment_fixed_size 0
		.amdhsa_kernarg_size 112
		.amdhsa_user_sgpr_count 2
		.amdhsa_user_sgpr_dispatch_ptr 0
		.amdhsa_user_sgpr_queue_ptr 0
		.amdhsa_user_sgpr_kernarg_segment_ptr 1
		.amdhsa_user_sgpr_dispatch_id 0
		.amdhsa_user_sgpr_kernarg_preload_length 0
		.amdhsa_user_sgpr_kernarg_preload_offset 0
		.amdhsa_user_sgpr_private_segment_size 0
		.amdhsa_uses_dynamic_stack 0
		.amdhsa_enable_private_segment 0
		.amdhsa_system_sgpr_workgroup_id_x 1
		.amdhsa_system_sgpr_workgroup_id_y 0
		.amdhsa_system_sgpr_workgroup_id_z 0
		.amdhsa_system_sgpr_workgroup_info 0
		.amdhsa_system_vgpr_workitem_id 0
		.amdhsa_next_free_vgpr 46
		.amdhsa_next_free_sgpr 64
		.amdhsa_accum_offset 48
		.amdhsa_reserve_vcc 1
		.amdhsa_float_round_mode_32 0
		.amdhsa_float_round_mode_16_64 0
		.amdhsa_float_denorm_mode_32 3
		.amdhsa_float_denorm_mode_16_64 3
		.amdhsa_dx10_clamp 1
		.amdhsa_ieee_mode 1
		.amdhsa_fp16_overflow 0
		.amdhsa_tg_split 0
		.amdhsa_exception_fp_ieee_invalid_op 0
		.amdhsa_exception_fp_denorm_src 0
		.amdhsa_exception_fp_ieee_div_zero 0
		.amdhsa_exception_fp_ieee_overflow 0
		.amdhsa_exception_fp_ieee_underflow 0
		.amdhsa_exception_fp_ieee_inexact 0
		.amdhsa_exception_int_div_zero 0
	.end_amdhsa_kernel
	.section	.text._ZN9rocsparseL38csr2bsr_block_per_row_multipass_kernelILj256ELj32E21rocsparse_complex_numIdEilEEv20rocsparse_direction_T3_S4_S4_S4_S4_21rocsparse_index_base_PKT1_PKT2_PKS4_S5_PS6_PS9_PS4_,"axG",@progbits,_ZN9rocsparseL38csr2bsr_block_per_row_multipass_kernelILj256ELj32E21rocsparse_complex_numIdEilEEv20rocsparse_direction_T3_S4_S4_S4_S4_21rocsparse_index_base_PKT1_PKT2_PKS4_S5_PS6_PS9_PS4_,comdat
.Lfunc_end166:
	.size	_ZN9rocsparseL38csr2bsr_block_per_row_multipass_kernelILj256ELj32E21rocsparse_complex_numIdEilEEv20rocsparse_direction_T3_S4_S4_S4_S4_21rocsparse_index_base_PKT1_PKT2_PKS4_S5_PS6_PS9_PS4_, .Lfunc_end166-_ZN9rocsparseL38csr2bsr_block_per_row_multipass_kernelILj256ELj32E21rocsparse_complex_numIdEilEEv20rocsparse_direction_T3_S4_S4_S4_S4_21rocsparse_index_base_PKT1_PKT2_PKS4_S5_PS6_PS9_PS4_
                                        ; -- End function
	.section	.AMDGPU.csdata,"",@progbits
; Kernel info:
; codeLenInByte = 2908
; NumSgprs: 70
; NumVgprs: 46
; NumAgprs: 0
; TotalNumVgprs: 46
; ScratchSize: 0
; MemoryBound: 0
; FloatMode: 240
; IeeeMode: 1
; LDSByteSize: 16392 bytes/workgroup (compile time only)
; SGPRBlocks: 8
; VGPRBlocks: 5
; NumSGPRsForWavesPerEU: 70
; NumVGPRsForWavesPerEU: 46
; AccumOffset: 48
; Occupancy: 3
; WaveLimiterHint : 1
; COMPUTE_PGM_RSRC2:SCRATCH_EN: 0
; COMPUTE_PGM_RSRC2:USER_SGPR: 2
; COMPUTE_PGM_RSRC2:TRAP_HANDLER: 0
; COMPUTE_PGM_RSRC2:TGID_X_EN: 1
; COMPUTE_PGM_RSRC2:TGID_Y_EN: 0
; COMPUTE_PGM_RSRC2:TGID_Z_EN: 0
; COMPUTE_PGM_RSRC2:TIDIG_COMP_CNT: 0
; COMPUTE_PGM_RSRC3_GFX90A:ACCUM_OFFSET: 11
; COMPUTE_PGM_RSRC3_GFX90A:TG_SPLIT: 0
	.section	.text._ZN9rocsparseL21csr2bsr_65_inf_kernelILj32E21rocsparse_complex_numIdEilEEv20rocsparse_direction_T2_S4_S4_S4_S4_S4_21rocsparse_index_base_PKT0_PKT1_PKS4_S5_PS6_PS9_PS4_SF_SG_SE_,"axG",@progbits,_ZN9rocsparseL21csr2bsr_65_inf_kernelILj32E21rocsparse_complex_numIdEilEEv20rocsparse_direction_T2_S4_S4_S4_S4_S4_21rocsparse_index_base_PKT0_PKT1_PKS4_S5_PS6_PS9_PS4_SF_SG_SE_,comdat
	.globl	_ZN9rocsparseL21csr2bsr_65_inf_kernelILj32E21rocsparse_complex_numIdEilEEv20rocsparse_direction_T2_S4_S4_S4_S4_S4_21rocsparse_index_base_PKT0_PKT1_PKS4_S5_PS6_PS9_PS4_SF_SG_SE_ ; -- Begin function _ZN9rocsparseL21csr2bsr_65_inf_kernelILj32E21rocsparse_complex_numIdEilEEv20rocsparse_direction_T2_S4_S4_S4_S4_S4_21rocsparse_index_base_PKT0_PKT1_PKS4_S5_PS6_PS9_PS4_SF_SG_SE_
	.p2align	8
	.type	_ZN9rocsparseL21csr2bsr_65_inf_kernelILj32E21rocsparse_complex_numIdEilEEv20rocsparse_direction_T2_S4_S4_S4_S4_S4_21rocsparse_index_base_PKT0_PKT1_PKS4_S5_PS6_PS9_PS4_SF_SG_SE_,@function
_ZN9rocsparseL21csr2bsr_65_inf_kernelILj32E21rocsparse_complex_numIdEilEEv20rocsparse_direction_T2_S4_S4_S4_S4_S4_21rocsparse_index_base_PKT0_PKT1_PKS4_S5_PS6_PS9_PS4_SF_SG_SE_: ; @_ZN9rocsparseL21csr2bsr_65_inf_kernelILj32E21rocsparse_complex_numIdEilEEv20rocsparse_direction_T2_S4_S4_S4_S4_S4_21rocsparse_index_base_PKT0_PKT1_PKS4_S5_PS6_PS9_PS4_SF_SG_SE_
; %bb.0:
	s_load_dwordx2 s[4:5], s[0:1], 0x18
	s_load_dwordx4 s[8:11], s[0:1], 0x8
	s_mov_b32 s3, 0
	s_mov_b64 s[6:7], 0
	s_waitcnt lgkmcnt(0)
	v_mov_b32_e32 v2, s4
	v_mov_b32_e32 v3, s5
	s_load_dwordx2 s[4:5], s[0:1], 0x78
	s_load_dword s16, s[0:1], 0x58
	v_cmp_ge_i64_e32 vcc, s[2:3], v[2:3]
	s_cbranch_vccnz .LBB167_2
; %bb.1:
	s_load_dwordx2 s[6:7], s[0:1], 0x68
	s_lshl_b64 s[12:13], s[2:3], 2
	s_waitcnt lgkmcnt(0)
	s_add_u32 s6, s6, s12
	s_addc_u32 s7, s7, s13
	s_load_dword s3, s[6:7], 0x0
	s_waitcnt lgkmcnt(0)
	s_sub_i32 s6, s3, s16
	s_ashr_i32 s7, s6, 31
.LBB167_2:
	s_load_dwordx4 s[12:15], s[0:1], 0x28
	s_load_dword s33, s[0:1], 0x38
	v_mov_b32_e32 v1, 0
	s_waitcnt lgkmcnt(0)
	s_mul_i32 s3, s2, s15
	s_mul_hi_u32 s17, s2, s14
	s_mul_i32 s18, s2, s14
	s_add_i32 s19, s17, s3
	s_lshl_b64 s[18:19], s[18:19], 8
	s_add_u32 s4, s4, s18
	s_addc_u32 s5, s5, s19
	v_mad_u64_u32 v[2:3], s[18:19], v0, s14, 0
	v_mov_b32_e32 v4, v3
	v_mad_u64_u32 v[4:5], s[18:19], v0, s15, v[4:5]
	v_mov_b32_e32 v3, v4
	v_lshlrev_b64 v[4:5], 2, v[2:3]
	s_lshl_b64 s[18:19], s[14:15], 7
	v_lshl_add_u64 v[6:7], s[4:5], 0, v[4:5]
	s_add_u32 s4, s4, s18
	s_addc_u32 s5, s5, s19
	v_lshl_add_u64 v[8:9], s[4:5], 0, v[4:5]
	v_cmp_lt_i64_e64 s[4:5], s[14:15], 1
	v_cmp_gt_i64_e64 s[36:37], s[14:15], 0
	s_and_b64 vcc, exec, s[4:5]
	s_cbranch_vccnz .LBB167_7
; %bb.3:
	s_load_dwordx2 s[4:5], s[0:1], 0x48
	v_mov_b32_e32 v4, s12
	s_mul_i32 s3, s2, s13
	v_mad_u64_u32 v[4:5], s[20:21], s2, v4, v[0:1]
	v_add_u32_e32 v5, s3, v5
	s_mul_hi_u32 s17, s2, s12
	s_waitcnt lgkmcnt(0)
	v_lshl_add_u64 v[4:5], v[4:5], 2, s[4:5]
	s_add_i32 s19, s17, s3
	s_mul_i32 s18, s2, s12
	v_lshl_add_u64 v[4:5], v[4:5], 0, 4
	s_mov_b64 s[20:21], 0x80
	v_mov_b64_e32 v[10:11], v[8:9]
	v_mov_b64_e32 v[12:13], v[6:7]
	;; [unrolled: 1-line block ×3, first 2 shown]
	s_mov_b64 s[22:23], s[14:15]
	s_branch .LBB167_5
.LBB167_4:                              ;   in Loop: Header=BB167_5 Depth=1
	s_or_b64 exec, exec, s[4:5]
	s_add_u32 s22, s22, -1
	s_addc_u32 s23, s23, -1
	v_lshl_add_u64 v[14:15], v[14:15], 0, 32
	v_lshl_add_u64 v[12:13], v[12:13], 0, 4
	;; [unrolled: 1-line block ×3, first 2 shown]
	s_cmp_eq_u64 s[22:23], 0
	v_lshl_add_u64 v[10:11], v[10:11], 0, 4
	s_cbranch_scc1 .LBB167_7
.LBB167_5:                              ; =>This Inner Loop Header: Depth=1
	v_lshl_add_u64 v[16:17], s[18:19], 0, v[14:15]
	v_cmp_gt_i64_e32 vcc, s[8:9], v[16:17]
	v_cmp_gt_i64_e64 s[4:5], s[12:13], v[14:15]
	s_and_b64 s[24:25], vcc, s[4:5]
	global_store_dword v[12:13], v1, off
	global_store_dword v[10:11], v1, off
	s_and_saveexec_b64 s[4:5], s[24:25]
	s_cbranch_execz .LBB167_4
; %bb.6:                                ;   in Loop: Header=BB167_5 Depth=1
	global_load_dwordx2 v[16:17], v[4:5], off offset:-4
	s_waitcnt vmcnt(0)
	v_subrev_u32_e32 v16, s33, v16
	v_subrev_u32_e32 v17, s33, v17
	global_store_dword v[12:13], v16, off
	global_store_dword v[10:11], v17, off
	s_branch .LBB167_4
.LBB167_7:
	v_cmp_lt_i64_e64 s[4:5], s[10:11], 1
	s_and_b64 vcc, exec, s[4:5]
	s_cbranch_vccnz .LBB167_52
; %bb.8:
	s_load_dwordx4 s[20:23], s[0:1], 0x80
	s_load_dwordx2 s[4:5], s[0:1], 0x70
	s_lshl_b64 s[8:9], s[14:15], 5
	s_mul_i32 s3, s9, s2
	s_mul_hi_u32 s9, s8, s2
	s_add_i32 s3, s9, s3
	s_mul_i32 s2, s8, s2
	s_lshl_b64 s[8:9], s[2:3], 3
	s_waitcnt lgkmcnt(0)
	s_add_u32 s8, s20, s8
	s_addc_u32 s9, s21, s9
	s_lshl_b64 s[2:3], s[2:3], 4
	v_lshl_add_u64 v[10:11], v[2:3], 3, s[8:9]
	s_add_u32 s2, s22, s2
	s_load_dwordx2 s[8:9], s[0:1], 0x60
	s_load_dwordx2 s[18:19], s[0:1], 0x50
	;; [unrolled: 1-line block ×3, first 2 shown]
	s_load_dword s24, s[0:1], 0x0
	s_addc_u32 s3, s23, s3
	v_lshl_add_u64 v[12:13], v[2:3], 4, s[2:3]
	s_lshl_b64 s[2:3], s[6:7], 3
	s_add_u32 s22, s4, s2
	s_addc_u32 s23, s5, s3
	v_mbcnt_lo_u32_b32 v3, -1, 0
	v_mov_b32_e32 v2, 0
	v_mbcnt_hi_u32_b32 v3, -1, v3
	v_mov_b32_e32 v4, 0x7c
	s_waitcnt lgkmcnt(0)
	s_cmp_lg_u32 s24, 0
	s_mov_b32 s48, 0
	v_lshl_or_b32 v36, v3, 2, v4
	s_cselect_b64 s[24:25], -1, 0
	s_add_u32 s26, s6, -1
	v_lshlrev_b32_e32 v4, 4, v0
	v_mov_b32_e32 v5, v2
	v_mov_b64_e32 v[20:21], 0
	v_cndmask_b32_e64 v3, 0, 1, s[36:37]
	v_cmp_eq_u32_e64 s[0:1], 31, v0
	s_mov_b32 s17, s48
	s_addc_u32 s27, s7, -1
	s_lshl_b64 s[28:29], s[12:13], 4
	s_lshl_b64 s[30:31], s[12:13], 9
	v_lshl_add_u64 v[14:15], s[8:9], 0, v[4:5]
	s_mov_b64 s[34:35], 0
	v_cmp_ne_u32_e64 s[2:3], 1, v3
	s_mov_b64 s[36:37], 0x200
	v_mov_b64_e32 v[18:19], v[20:21]
	v_mov_b64_e32 v[16:17], v[20:21]
	s_branch .LBB167_10
.LBB167_9:                              ;   in Loop: Header=BB167_10 Depth=1
	s_waitcnt lgkmcnt(2)
	v_lshl_add_u64 v[20:21], v[4:5], 0, 1
	v_cmp_le_i64_e32 vcc, s[10:11], v[20:21]
	s_or_b64 s[34:35], vcc, s[34:35]
	s_andn2_b64 exec, exec, s[34:35]
	s_cbranch_execz .LBB167_52
.LBB167_10:                             ; =>This Loop Header: Depth=1
                                        ;     Child Loop BB167_14 Depth 2
                                        ;       Child Loop BB167_17 Depth 3
                                        ;     Child Loop BB167_33 Depth 2
	s_and_b64 vcc, exec, s[2:3]
	v_mov_b64_e32 v[22:23], s[10:11]
	s_cbranch_vccnz .LBB167_23
; %bb.11:                               ;   in Loop: Header=BB167_10 Depth=1
	s_mov_b64 s[4:5], 0
	v_mov_b64_e32 v[22:23], s[10:11]
	s_branch .LBB167_14
.LBB167_12:                             ;   in Loop: Header=BB167_14 Depth=2
	s_or_b64 exec, exec, s[38:39]
.LBB167_13:                             ;   in Loop: Header=BB167_14 Depth=2
	s_or_b64 exec, exec, s[6:7]
	s_add_u32 s4, s4, 1
	s_addc_u32 s5, s5, 0
	s_cmp_eq_u64 s[4:5], s[14:15]
	s_cbranch_scc1 .LBB167_23
.LBB167_14:                             ;   Parent Loop BB167_10 Depth=1
                                        ; =>  This Loop Header: Depth=2
                                        ;       Child Loop BB167_17 Depth 3
	s_lshl_b64 s[6:7], s[4:5], 2
	v_lshl_add_u64 v[24:25], v[6:7], 0, s[6:7]
	v_lshl_add_u64 v[4:5], v[8:9], 0, s[6:7]
	global_load_dword v28, v[24:25], off
	global_load_dword v37, v[4:5], off
	v_lshl_add_u64 v[26:27], s[4:5], 4, v[12:13]
	v_mov_b32_e32 v3, v2
	v_mov_b32_e32 v4, v2
	;; [unrolled: 1-line block ×3, first 2 shown]
	global_store_dwordx4 v[26:27], v[2:5], off
	v_mov_b64_e32 v[30:31], s[10:11]
	s_waitcnt vmcnt(1)
	v_cmp_lt_i32_e32 vcc, v28, v37
	v_lshl_add_u64 v[4:5], s[4:5], 3, v[10:11]
	global_store_dwordx2 v[4:5], v[30:31], off
	s_and_saveexec_b64 s[6:7], vcc
	s_cbranch_execz .LBB167_13
; %bb.15:                               ;   in Loop: Header=BB167_14 Depth=2
	v_ashrrev_i32_e32 v29, 31, v28
	v_lshl_add_u64 v[32:33], v[28:29], 4, s[20:21]
	v_lshl_add_u64 v[34:35], v[28:29], 3, s[18:19]
	s_mov_b64 s[38:39], 0
                                        ; implicit-def: $sgpr40_sgpr41
                                        ; implicit-def: $sgpr44_sgpr45
                                        ; implicit-def: $sgpr42_sgpr43
	s_branch .LBB167_17
.LBB167_16:                             ;   in Loop: Header=BB167_17 Depth=3
	s_or_b64 exec, exec, s[46:47]
	s_and_b64 s[46:47], exec, s[44:45]
	s_or_b64 s[38:39], s[46:47], s[38:39]
	s_andn2_b64 s[40:41], s[40:41], exec
	s_and_b64 s[46:47], s[42:43], exec
	s_or_b64 s[40:41], s[40:41], s[46:47]
	s_andn2_b64 exec, exec, s[38:39]
	s_cbranch_execz .LBB167_19
.LBB167_17:                             ;   Parent Loop BB167_10 Depth=1
                                        ;     Parent Loop BB167_14 Depth=2
                                        ; =>    This Inner Loop Header: Depth=3
	global_load_dwordx4 v[38:41], v[32:33], off
	v_mov_b32_e32 v3, v28
	v_mov_b32_e32 v28, s48
	s_or_b64 s[42:43], s[42:43], exec
	s_or_b64 s[44:45], s[44:45], exec
	s_waitcnt vmcnt(0)
	global_store_dwordx4 v[26:27], v[38:41], off
	global_load_dwordx2 v[30:31], v[34:35], off
	s_waitcnt vmcnt(0)
	v_subrev_co_u32_e32 v30, vcc, s33, v30
	s_nop 1
	v_subb_co_u32_e32 v31, vcc, v31, v28, vcc
	v_cmp_lt_i64_e32 vcc, v[30:31], v[20:21]
                                        ; implicit-def: $vgpr28
	s_and_saveexec_b64 s[46:47], vcc
	s_cbranch_execz .LBB167_16
; %bb.18:                               ;   in Loop: Header=BB167_17 Depth=3
	v_add_u32_e32 v28, 1, v3
	v_cmp_ge_i32_e32 vcc, v28, v37
	s_andn2_b64 s[44:45], s[44:45], exec
	s_and_b64 s[50:51], vcc, exec
	v_lshl_add_u64 v[32:33], v[32:33], 0, 16
	v_lshl_add_u64 v[34:35], v[34:35], 0, 8
	s_andn2_b64 s[42:43], s[42:43], exec
	s_or_b64 s[44:45], s[44:45], s[50:51]
	s_branch .LBB167_16
.LBB167_19:                             ;   in Loop: Header=BB167_14 Depth=2
	s_or_b64 exec, exec, s[38:39]
	s_xor_b64 s[38:39], s[40:41], -1
	s_and_saveexec_b64 s[40:41], s[38:39]
	s_xor_b64 s[38:39], exec, s[40:41]
	s_cbranch_execz .LBB167_21
; %bb.20:                               ;   in Loop: Header=BB167_14 Depth=2
	global_store_dwordx2 v[4:5], v[30:31], off
                                        ; implicit-def: $vgpr4_vgpr5
                                        ; implicit-def: $vgpr24_vgpr25
.LBB167_21:                             ;   in Loop: Header=BB167_14 Depth=2
	s_andn2_saveexec_b64 s[38:39], s[38:39]
	s_cbranch_execz .LBB167_12
; %bb.22:                               ;   in Loop: Header=BB167_14 Depth=2
	v_cmp_lt_i64_e32 vcc, v[30:31], v[22:23]
	global_store_dwordx2 v[4:5], v[30:31], off
	global_store_dword v[24:25], v3, off
	v_cndmask_b32_e32 v23, v23, v31, vcc
	v_cndmask_b32_e32 v22, v22, v30, vcc
	s_branch .LBB167_12
.LBB167_23:                             ;   in Loop: Header=BB167_10 Depth=1
	s_nop 0
	v_mov_b32_dpp v4, v22 row_shr:1 row_mask:0xf bank_mask:0xf
	v_mov_b32_dpp v5, v23 row_shr:1 row_mask:0xf bank_mask:0xf
	v_cmp_lt_i64_e32 vcc, v[4:5], v[22:23]
	s_nop 1
	v_cndmask_b32_e32 v5, v23, v5, vcc
	v_cndmask_b32_e32 v4, v22, v4, vcc
	s_nop 0
	v_mov_b32_dpp v21, v5 row_shr:2 row_mask:0xf bank_mask:0xf
	v_mov_b32_dpp v20, v4 row_shr:2 row_mask:0xf bank_mask:0xf
	v_cmp_lt_i64_e32 vcc, v[20:21], v[4:5]
	s_nop 1
	v_cndmask_b32_e32 v5, v5, v21, vcc
	v_cndmask_b32_e32 v4, v4, v20, vcc
	;; [unrolled: 7-line block ×4, first 2 shown]
	s_nop 0
	v_mov_b32_dpp v21, v5 row_bcast:15 row_mask:0xa bank_mask:0xf
	v_mov_b32_dpp v20, v4 row_bcast:15 row_mask:0xa bank_mask:0xf
	v_cmp_lt_i64_e32 vcc, v[20:21], v[4:5]
	s_nop 1
	v_cndmask_b32_e32 v5, v5, v21, vcc
	v_cndmask_b32_e32 v4, v4, v20, vcc
	v_cmp_gt_i64_e32 vcc, s[10:11], v[4:5]
	s_and_b64 s[4:5], s[0:1], vcc
	s_and_saveexec_b64 s[6:7], s[4:5]
	s_cbranch_execz .LBB167_29
; %bb.24:                               ;   in Loop: Header=BB167_10 Depth=1
	v_or_b32_e32 v3, s13, v5
	v_cmp_ne_u64_e32 vcc, 0, v[2:3]
                                        ; implicit-def: $vgpr20_vgpr21
	s_and_saveexec_b64 s[4:5], vcc
	s_xor_b64 s[38:39], exec, s[4:5]
	s_cbranch_execnz .LBB167_50
; %bb.25:                               ;   in Loop: Header=BB167_10 Depth=1
	s_andn2_saveexec_b64 s[4:5], s[38:39]
	s_cbranch_execnz .LBB167_51
.LBB167_26:                             ;   in Loop: Header=BB167_10 Depth=1
	s_or_b64 exec, exec, s[4:5]
	v_cmp_ge_i64_e32 vcc, v[20:21], v[18:19]
	s_and_saveexec_b64 s[4:5], vcc
	s_cbranch_execz .LBB167_28
.LBB167_27:                             ;   in Loop: Header=BB167_10 Depth=1
	v_lshl_add_u64 v[18:19], v[20:21], 0, s[16:17]
	s_waitcnt lgkmcnt(0)
	v_lshl_add_u64 v[22:23], v[16:17], 3, s[22:23]
	global_store_dwordx2 v[22:23], v[18:19], off
	v_lshl_add_u64 v[16:17], v[16:17], 0, 1
	v_lshl_add_u64 v[18:19], v[20:21], 0, 1
.LBB167_28:                             ;   in Loop: Header=BB167_10 Depth=1
	s_or_b64 exec, exec, s[4:5]
.LBB167_29:                             ;   in Loop: Header=BB167_10 Depth=1
	s_or_b64 exec, exec, s[6:7]
	ds_bpermute_b32 v4, v36, v4
	ds_bpermute_b32 v5, v36, v5
	s_waitcnt lgkmcnt(3)
	ds_bpermute_b32 v16, v36, v16
	s_waitcnt lgkmcnt(3)
	ds_bpermute_b32 v17, v36, v17
	s_and_b64 vcc, exec, s[2:3]
	s_cbranch_vccnz .LBB167_9
; %bb.30:                               ;   in Loop: Header=BB167_10 Depth=1
	s_waitcnt lgkmcnt(0)
	v_lshl_add_u64 v[20:21], s[26:27], 0, v[16:17]
	v_mov_b32_e32 v3, v17
	v_mul_lo_u32 v24, v21, s12
	v_mul_lo_u32 v25, v20, s13
	v_mad_u64_u32 v[20:21], s[4:5], v20, s12, 0
	v_mov_b32_e32 v22, v16
	v_mov_b32_e32 v23, v2
	v_add3_u32 v21, v21, v25, v24
	v_lshl_add_u64 v[24:25], s[26:27], 0, v[2:3]
	v_lshl_add_u64 v[22:23], v[24:25], 0, v[22:23]
	v_mul_lo_u32 v3, s12, v23
	v_mul_lo_u32 v24, s13, v22
	v_mad_u64_u32 v[22:23], s[4:5], s12, v22, v[0:1]
	v_add3_u32 v3, v24, v23, v3
	v_mov_b64_e32 v[24:25], s[8:9]
	v_mul_lo_u32 v3, s28, v3
	v_mul_lo_u32 v26, s29, v22
	v_mad_u64_u32 v[22:23], s[4:5], s28, v22, v[24:25]
	v_add3_u32 v23, v26, v23, v3
	v_mov_b64_e32 v[24:25], v[10:11]
	v_mov_b64_e32 v[26:27], v[12:13]
	;; [unrolled: 1-line block ×3, first 2 shown]
	s_mov_b64 s[38:39], s[14:15]
	s_branch .LBB167_33
.LBB167_31:                             ;   in Loop: Header=BB167_33 Depth=2
	s_or_b64 exec, exec, s[4:5]
	global_load_dwordx4 v[38:41], v[26:27], off
	v_lshl_add_u64 v[30:31], v[32:33], 4, v[22:23]
	s_waitcnt vmcnt(0)
	global_store_dwordx4 v[30:31], v[38:41], off
.LBB167_32:                             ;   in Loop: Header=BB167_33 Depth=2
	s_or_b64 exec, exec, s[40:41]
	s_add_u32 s38, s38, -1
	s_addc_u32 s39, s39, -1
	v_lshl_add_u64 v[22:23], v[22:23], 0, s[30:31]
	v_lshl_add_u64 v[28:29], v[28:29], 0, s[36:37]
	;; [unrolled: 1-line block ×3, first 2 shown]
	s_cmp_eq_u64 s[38:39], 0
	v_lshl_add_u64 v[24:25], v[24:25], 0, 8
	s_cbranch_scc1 .LBB167_9
.LBB167_33:                             ;   Parent Loop BB167_10 Depth=1
                                        ; =>  This Inner Loop Header: Depth=2
	global_load_dwordx2 v[30:31], v[24:25], off
	s_waitcnt vmcnt(0)
	v_cmp_gt_i64_e32 vcc, s[10:11], v[30:31]
	s_and_saveexec_b64 s[40:41], vcc
	s_cbranch_execz .LBB167_32
; %bb.34:                               ;   in Loop: Header=BB167_33 Depth=2
	v_or_b32_e32 v37, s13, v31
	v_mov_b32_e32 v3, v37
	v_cmp_ne_u64_e32 vcc, 0, v[2:3]
                                        ; implicit-def: $vgpr32_vgpr33
	s_and_saveexec_b64 s[4:5], vcc
	s_xor_b64 s[6:7], exec, s[4:5]
	s_cbranch_execz .LBB167_36
; %bb.35:                               ;   in Loop: Header=BB167_33 Depth=2
	s_ashr_i32 s42, s13, 31
	s_add_u32 s4, s12, s42
	s_mov_b32 s43, s42
	s_addc_u32 s5, s13, s42
	s_xor_b64 s[44:45], s[4:5], s[42:43]
	v_cvt_f32_u32_e32 v3, s44
	v_cvt_f32_u32_e32 v32, s45
	s_sub_u32 s4, 0, s44
	s_subb_u32 s5, 0, s45
	v_mov_b32_e32 v35, v2
	v_fmac_f32_e32 v3, 0x4f800000, v32
	v_rcp_f32_e32 v3, v3
	s_nop 0
	v_mul_f32_e32 v3, 0x5f7ffffc, v3
	v_mul_f32_e32 v32, 0x2f800000, v3
	v_trunc_f32_e32 v32, v32
	v_fmac_f32_e32 v3, 0xcf800000, v32
	v_cvt_u32_f32_e32 v38, v32
	v_cvt_u32_f32_e32 v3, v3
	v_mul_lo_u32 v32, s4, v38
	v_mul_hi_u32 v34, s4, v3
	v_mul_lo_u32 v33, s5, v3
	v_add_u32_e32 v32, v34, v32
	v_mul_lo_u32 v39, s4, v3
	v_add_u32_e32 v40, v32, v33
	v_mul_hi_u32 v33, v3, v40
	v_mul_lo_u32 v32, v3, v40
	v_mul_hi_u32 v34, v3, v39
	v_lshl_add_u64 v[32:33], v[34:35], 0, v[32:33]
	v_mul_hi_u32 v35, v38, v39
	v_mul_lo_u32 v39, v38, v39
	v_add_co_u32_e32 v32, vcc, v32, v39
	v_mul_hi_u32 v34, v38, v40
	s_nop 0
	v_addc_co_u32_e32 v32, vcc, v33, v35, vcc
	v_mov_b32_e32 v33, v2
	s_nop 0
	v_addc_co_u32_e32 v35, vcc, 0, v34, vcc
	v_mul_lo_u32 v34, v38, v40
	v_lshl_add_u64 v[32:33], v[32:33], 0, v[34:35]
	v_add_co_u32_e32 v3, vcc, v3, v32
	v_mul_lo_u32 v34, s4, v3
	s_nop 0
	v_addc_co_u32_e32 v38, vcc, v38, v33, vcc
	v_mul_lo_u32 v32, s4, v38
	v_mul_hi_u32 v33, s4, v3
	v_add_u32_e32 v32, v33, v32
	v_mul_lo_u32 v33, s5, v3
	v_add_u32_e32 v39, v32, v33
	v_mul_hi_u32 v41, v38, v34
	v_mul_lo_u32 v42, v38, v34
	v_mul_hi_u32 v33, v3, v39
	v_mul_lo_u32 v32, v3, v39
	v_mul_hi_u32 v34, v3, v34
	v_mov_b32_e32 v35, v2
	v_lshl_add_u64 v[32:33], v[34:35], 0, v[32:33]
	v_add_co_u32_e32 v32, vcc, v32, v42
	v_mul_hi_u32 v40, v38, v39
	s_nop 0
	v_addc_co_u32_e32 v32, vcc, v33, v41, vcc
	v_mul_lo_u32 v34, v38, v39
	s_nop 0
	v_addc_co_u32_e32 v35, vcc, 0, v40, vcc
	v_mov_b32_e32 v33, v2
	v_lshl_add_u64 v[32:33], v[32:33], 0, v[34:35]
	v_add_co_u32_e32 v3, vcc, v3, v32
	v_ashrrev_i32_e32 v32, 31, v31
	s_nop 0
	v_addc_co_u32_e32 v40, vcc, v38, v33, vcc
	v_mov_b32_e32 v33, v32
	v_lshl_add_u64 v[34:35], v[30:31], 0, v[32:33]
	v_xor_b32_e32 v42, v34, v32
	v_xor_b32_e32 v33, v35, v32
	v_mad_u64_u32 v[34:35], s[4:5], v42, v40, 0
	v_mul_hi_u32 v38, v42, v3
	v_mov_b32_e32 v39, v2
	v_lshl_add_u64 v[34:35], v[38:39], 0, v[34:35]
	v_mad_u64_u32 v[38:39], s[4:5], v33, v40, 0
	v_mad_u64_u32 v[40:41], s[4:5], v33, v3, 0
	v_add_co_u32_e32 v3, vcc, v34, v40
	s_nop 1
	v_addc_co_u32_e32 v34, vcc, v35, v41, vcc
	v_mov_b32_e32 v35, v2
	s_nop 0
	v_addc_co_u32_e32 v39, vcc, 0, v39, vcc
	v_lshl_add_u64 v[34:35], v[34:35], 0, v[38:39]
	v_mul_lo_u32 v3, s45, v34
	v_mul_lo_u32 v40, s44, v35
	v_mad_u64_u32 v[38:39], s[4:5], s44, v34, 0
	v_add3_u32 v3, v39, v40, v3
	v_sub_u32_e32 v39, v33, v3
	v_mov_b32_e32 v40, s45
	v_sub_co_u32_e32 v42, vcc, v42, v38
	s_nop 1
	v_subb_co_u32_e64 v38, s[4:5], v39, v40, vcc
	v_subrev_co_u32_e64 v39, s[4:5], s44, v42
	v_subb_co_u32_e32 v3, vcc, v33, v3, vcc
	s_nop 0
	v_subbrev_co_u32_e64 v38, s[4:5], 0, v38, s[4:5]
	v_cmp_le_u32_e64 s[4:5], s45, v38
	v_cmp_le_u32_e32 vcc, s45, v3
	s_nop 0
	v_cndmask_b32_e64 v40, 0, -1, s[4:5]
	v_cmp_le_u32_e64 s[4:5], s44, v39
	v_cndmask_b32_e64 v33, 0, -1, vcc
	v_cmp_le_u32_e32 vcc, s44, v42
	v_cndmask_b32_e64 v39, 0, -1, s[4:5]
	v_cmp_eq_u32_e64 s[4:5], s45, v38
	s_nop 1
	v_cndmask_b32_e64 v43, v40, v39, s[4:5]
	v_lshl_add_u64 v[38:39], v[34:35], 0, 2
	v_lshl_add_u64 v[40:41], v[34:35], 0, 1
	v_cmp_ne_u32_e64 s[4:5], 0, v43
	s_nop 1
	v_cndmask_b32_e64 v39, v41, v39, s[4:5]
	v_cndmask_b32_e64 v41, 0, -1, vcc
	v_cmp_eq_u32_e32 vcc, s45, v3
	s_nop 1
	v_cndmask_b32_e32 v3, v33, v41, vcc
	v_cmp_ne_u32_e32 vcc, 0, v3
	v_cndmask_b32_e64 v33, v40, v38, s[4:5]
	s_nop 0
	v_cndmask_b32_e32 v33, v34, v33, vcc
	v_xor_b32_e32 v34, s42, v32
	v_cndmask_b32_e32 v3, v35, v39, vcc
	v_xor_b32_e32 v32, v33, v34
	v_xor_b32_e32 v3, v3, v34
	v_sub_co_u32_e32 v32, vcc, v32, v34
	s_nop 1
	v_subb_co_u32_e32 v33, vcc, v3, v34, vcc
.LBB167_36:                             ;   in Loop: Header=BB167_33 Depth=2
	s_andn2_saveexec_b64 s[4:5], s[6:7]
	s_cbranch_execz .LBB167_38
; %bb.37:                               ;   in Loop: Header=BB167_33 Depth=2
	v_cvt_f32_u32_e32 v3, s12
	s_sub_i32 s6, 0, s12
	v_rcp_iflag_f32_e32 v3, v3
	s_nop 0
	v_mul_f32_e32 v3, 0x4f7ffffe, v3
	v_cvt_u32_f32_e32 v3, v3
	v_mul_lo_u32 v32, s6, v3
	v_mul_hi_u32 v32, v3, v32
	v_add_u32_e32 v3, v3, v32
	v_mul_hi_u32 v3, v30, v3
	v_mul_lo_u32 v32, v3, s12
	v_sub_u32_e32 v32, v30, v32
	v_add_u32_e32 v33, 1, v3
	v_subrev_u32_e32 v34, s12, v32
	v_cmp_le_u32_e32 vcc, s12, v32
	s_nop 1
	v_cndmask_b32_e32 v32, v32, v34, vcc
	v_cndmask_b32_e32 v3, v3, v33, vcc
	v_add_u32_e32 v33, 1, v3
	v_cmp_le_u32_e32 vcc, s12, v32
	s_nop 1
	v_cndmask_b32_e32 v32, v3, v33, vcc
	v_mov_b32_e32 v33, v2
.LBB167_38:                             ;   in Loop: Header=BB167_33 Depth=2
	s_or_b64 exec, exec, s[4:5]
	v_or_b32_e32 v3, s13, v5
	v_cmp_ne_u64_e32 vcc, 0, v[2:3]
                                        ; implicit-def: $vgpr34_vgpr35
	s_and_saveexec_b64 s[4:5], vcc
	s_xor_b64 s[6:7], exec, s[4:5]
	s_cbranch_execnz .LBB167_41
; %bb.39:                               ;   in Loop: Header=BB167_33 Depth=2
	s_andn2_saveexec_b64 s[4:5], s[6:7]
	s_cbranch_execnz .LBB167_42
.LBB167_40:                             ;   in Loop: Header=BB167_33 Depth=2
	s_or_b64 exec, exec, s[4:5]
	v_cmp_eq_u64_e32 vcc, v[32:33], v[34:35]
	s_and_b64 exec, exec, vcc
	s_cbranch_execz .LBB167_32
	s_branch .LBB167_43
.LBB167_41:                             ;   in Loop: Header=BB167_33 Depth=2
	s_ashr_i32 s42, s13, 31
	s_add_u32 s4, s12, s42
	s_mov_b32 s43, s42
	s_addc_u32 s5, s13, s42
	s_xor_b64 s[44:45], s[4:5], s[42:43]
	v_cvt_f32_u32_e32 v3, s44
	v_cvt_f32_u32_e32 v34, s45
	s_sub_u32 s4, 0, s44
	s_subb_u32 s5, 0, s45
	v_mov_b32_e32 v39, v2
	v_fmac_f32_e32 v3, 0x4f800000, v34
	v_rcp_f32_e32 v3, v3
	s_nop 0
	v_mul_f32_e32 v3, 0x5f7ffffc, v3
	v_mul_f32_e32 v34, 0x2f800000, v3
	v_trunc_f32_e32 v34, v34
	v_fmac_f32_e32 v3, 0xcf800000, v34
	v_cvt_u32_f32_e32 v40, v34
	v_cvt_u32_f32_e32 v3, v3
	v_mul_lo_u32 v34, s4, v40
	v_mul_hi_u32 v38, s4, v3
	v_mul_lo_u32 v35, s5, v3
	v_add_u32_e32 v34, v38, v34
	v_mul_lo_u32 v41, s4, v3
	v_add_u32_e32 v42, v34, v35
	v_mul_hi_u32 v35, v3, v42
	v_mul_lo_u32 v34, v3, v42
	v_mul_hi_u32 v38, v3, v41
	v_lshl_add_u64 v[34:35], v[38:39], 0, v[34:35]
	v_mul_hi_u32 v39, v40, v41
	v_mul_lo_u32 v41, v40, v41
	v_add_co_u32_e32 v34, vcc, v34, v41
	v_mul_hi_u32 v38, v40, v42
	s_nop 0
	v_addc_co_u32_e32 v34, vcc, v35, v39, vcc
	v_mov_b32_e32 v35, v2
	s_nop 0
	v_addc_co_u32_e32 v39, vcc, 0, v38, vcc
	v_mul_lo_u32 v38, v40, v42
	v_lshl_add_u64 v[34:35], v[34:35], 0, v[38:39]
	v_add_co_u32_e32 v3, vcc, v3, v34
	v_mul_lo_u32 v38, s4, v3
	s_nop 0
	v_addc_co_u32_e32 v40, vcc, v40, v35, vcc
	v_mul_lo_u32 v34, s4, v40
	v_mul_hi_u32 v35, s4, v3
	v_add_u32_e32 v34, v35, v34
	v_mul_lo_u32 v35, s5, v3
	v_add_u32_e32 v41, v34, v35
	v_mul_hi_u32 v43, v40, v38
	v_mul_lo_u32 v44, v40, v38
	v_mul_hi_u32 v35, v3, v41
	v_mul_lo_u32 v34, v3, v41
	v_mul_hi_u32 v38, v3, v38
	v_mov_b32_e32 v39, v2
	v_lshl_add_u64 v[34:35], v[38:39], 0, v[34:35]
	v_add_co_u32_e32 v34, vcc, v34, v44
	v_mul_hi_u32 v42, v40, v41
	s_nop 0
	v_addc_co_u32_e32 v34, vcc, v35, v43, vcc
	v_mul_lo_u32 v38, v40, v41
	s_nop 0
	v_addc_co_u32_e32 v39, vcc, 0, v42, vcc
	v_mov_b32_e32 v35, v2
	v_lshl_add_u64 v[34:35], v[34:35], 0, v[38:39]
	v_add_co_u32_e32 v3, vcc, v3, v34
	v_ashrrev_i32_e32 v34, 31, v5
	s_nop 0
	v_addc_co_u32_e32 v42, vcc, v40, v35, vcc
	v_mov_b32_e32 v35, v34
	v_lshl_add_u64 v[38:39], v[4:5], 0, v[34:35]
	v_xor_b32_e32 v44, v38, v34
	v_xor_b32_e32 v35, v39, v34
	v_mad_u64_u32 v[38:39], s[4:5], v44, v42, 0
	v_mul_hi_u32 v40, v44, v3
	v_mov_b32_e32 v41, v2
	v_lshl_add_u64 v[38:39], v[40:41], 0, v[38:39]
	v_mad_u64_u32 v[40:41], s[4:5], v35, v42, 0
	v_mad_u64_u32 v[42:43], s[4:5], v35, v3, 0
	v_add_co_u32_e32 v3, vcc, v38, v42
	s_nop 1
	v_addc_co_u32_e32 v38, vcc, v39, v43, vcc
	v_mov_b32_e32 v39, v2
	s_nop 0
	v_addc_co_u32_e32 v41, vcc, 0, v41, vcc
	v_lshl_add_u64 v[38:39], v[38:39], 0, v[40:41]
	v_mul_lo_u32 v3, s45, v38
	v_mul_lo_u32 v42, s44, v39
	v_mad_u64_u32 v[40:41], s[4:5], s44, v38, 0
	v_add3_u32 v3, v41, v42, v3
	v_sub_u32_e32 v41, v35, v3
	v_mov_b32_e32 v42, s45
	v_sub_co_u32_e32 v44, vcc, v44, v40
	s_nop 1
	v_subb_co_u32_e64 v40, s[4:5], v41, v42, vcc
	v_subrev_co_u32_e64 v41, s[4:5], s44, v44
	v_subb_co_u32_e32 v3, vcc, v35, v3, vcc
	s_nop 0
	v_subbrev_co_u32_e64 v40, s[4:5], 0, v40, s[4:5]
	v_cmp_le_u32_e64 s[4:5], s45, v40
	v_cmp_le_u32_e32 vcc, s45, v3
	s_nop 0
	v_cndmask_b32_e64 v42, 0, -1, s[4:5]
	v_cmp_le_u32_e64 s[4:5], s44, v41
	v_cndmask_b32_e64 v35, 0, -1, vcc
	v_cmp_le_u32_e32 vcc, s44, v44
	v_cndmask_b32_e64 v41, 0, -1, s[4:5]
	v_cmp_eq_u32_e64 s[4:5], s45, v40
	s_nop 1
	v_cndmask_b32_e64 v45, v42, v41, s[4:5]
	v_lshl_add_u64 v[40:41], v[38:39], 0, 2
	v_lshl_add_u64 v[42:43], v[38:39], 0, 1
	v_cmp_ne_u32_e64 s[4:5], 0, v45
	s_nop 1
	v_cndmask_b32_e64 v41, v43, v41, s[4:5]
	v_cndmask_b32_e64 v43, 0, -1, vcc
	v_cmp_eq_u32_e32 vcc, s45, v3
	s_nop 1
	v_cndmask_b32_e32 v3, v35, v43, vcc
	v_cmp_ne_u32_e32 vcc, 0, v3
	v_cndmask_b32_e64 v35, v42, v40, s[4:5]
	s_nop 0
	v_cndmask_b32_e32 v35, v38, v35, vcc
	v_xor_b32_e32 v38, s42, v34
	v_cndmask_b32_e32 v3, v39, v41, vcc
	v_xor_b32_e32 v34, v35, v38
	v_xor_b32_e32 v3, v3, v38
	v_sub_co_u32_e32 v34, vcc, v34, v38
	s_nop 1
	v_subb_co_u32_e32 v35, vcc, v3, v38, vcc
	s_andn2_saveexec_b64 s[4:5], s[6:7]
	s_cbranch_execz .LBB167_40
.LBB167_42:                             ;   in Loop: Header=BB167_33 Depth=2
	v_cvt_f32_u32_e32 v3, s12
	s_sub_i32 s6, 0, s12
	v_rcp_iflag_f32_e32 v3, v3
	s_nop 0
	v_mul_f32_e32 v3, 0x4f7ffffe, v3
	v_cvt_u32_f32_e32 v3, v3
	v_mul_lo_u32 v34, s6, v3
	v_mul_hi_u32 v34, v3, v34
	v_add_u32_e32 v3, v3, v34
	v_mul_hi_u32 v3, v4, v3
	v_mul_lo_u32 v34, v3, s12
	v_sub_u32_e32 v34, v4, v34
	v_add_u32_e32 v35, 1, v3
	v_subrev_u32_e32 v38, s12, v34
	v_cmp_le_u32_e32 vcc, s12, v34
	s_nop 1
	v_cndmask_b32_e32 v34, v34, v38, vcc
	v_cndmask_b32_e32 v3, v3, v35, vcc
	v_add_u32_e32 v35, 1, v3
	v_cmp_le_u32_e32 vcc, s12, v34
	s_nop 1
	v_cndmask_b32_e32 v34, v3, v35, vcc
	v_mov_b32_e32 v35, v2
	s_or_b64 exec, exec, s[4:5]
	v_cmp_eq_u64_e32 vcc, v[32:33], v[34:35]
	s_and_b64 exec, exec, vcc
	s_cbranch_execz .LBB167_32
.LBB167_43:                             ;   in Loop: Header=BB167_33 Depth=2
	s_and_b64 vcc, exec, s[24:25]
	s_cbranch_vccz .LBB167_45
; %bb.44:                               ;   in Loop: Header=BB167_33 Depth=2
	global_load_dwordx4 v[38:41], v[26:27], off
	v_mul_lo_u32 v3, v33, s12
	v_mul_lo_u32 v34, v32, s13
	v_mad_u64_u32 v[32:33], s[4:5], v32, s12, 0
	v_add3_u32 v3, v33, v34, v3
	v_sub_co_u32_e32 v32, vcc, v30, v32
	s_nop 1
	v_subb_co_u32_e32 v33, vcc, v31, v3, vcc
	v_lshl_add_u64 v[32:33], v[32:33], 0, v[20:21]
	v_mul_lo_u32 v3, s28, v33
	v_mul_lo_u32 v34, s29, v32
	v_mad_u64_u32 v[32:33], s[4:5], s28, v32, v[28:29]
	v_add3_u32 v33, v34, v33, v3
	s_waitcnt vmcnt(0)
	global_store_dwordx4 v[32:33], v[38:41], off
	s_cbranch_execnz .LBB167_32
	s_branch .LBB167_46
.LBB167_45:                             ;   in Loop: Header=BB167_33 Depth=2
.LBB167_46:                             ;   in Loop: Header=BB167_33 Depth=2
	v_mov_b32_e32 v3, v37
	v_cmp_ne_u64_e32 vcc, 0, v[2:3]
                                        ; implicit-def: $vgpr32_vgpr33
	s_and_saveexec_b64 s[4:5], vcc
	s_xor_b64 s[42:43], exec, s[4:5]
	s_cbranch_execz .LBB167_48
; %bb.47:                               ;   in Loop: Header=BB167_33 Depth=2
	s_ashr_i32 s4, s13, 31
	s_add_u32 s6, s12, s4
	s_mov_b32 s5, s4
	s_addc_u32 s7, s13, s4
	s_xor_b64 s[44:45], s[6:7], s[4:5]
	v_cvt_f32_u32_e32 v3, s44
	v_cvt_f32_u32_e32 v32, s45
	s_sub_u32 s4, 0, s44
	s_subb_u32 s5, 0, s45
	v_mov_b32_e32 v35, v2
	v_fmac_f32_e32 v3, 0x4f800000, v32
	v_rcp_f32_e32 v3, v3
	s_nop 0
	v_mul_f32_e32 v3, 0x5f7ffffc, v3
	v_mul_f32_e32 v32, 0x2f800000, v3
	v_trunc_f32_e32 v32, v32
	v_fmac_f32_e32 v3, 0xcf800000, v32
	v_cvt_u32_f32_e32 v37, v32
	v_cvt_u32_f32_e32 v3, v3
	v_mul_lo_u32 v32, s4, v37
	v_mul_hi_u32 v34, s4, v3
	v_mul_lo_u32 v33, s5, v3
	v_add_u32_e32 v32, v34, v32
	v_mul_lo_u32 v38, s4, v3
	v_add_u32_e32 v39, v32, v33
	v_mul_hi_u32 v33, v3, v39
	v_mul_lo_u32 v32, v3, v39
	v_mul_hi_u32 v34, v3, v38
	v_lshl_add_u64 v[32:33], v[34:35], 0, v[32:33]
	v_mul_hi_u32 v35, v37, v38
	v_mul_lo_u32 v38, v37, v38
	v_add_co_u32_e32 v32, vcc, v32, v38
	v_mul_hi_u32 v34, v37, v39
	s_nop 0
	v_addc_co_u32_e32 v32, vcc, v33, v35, vcc
	v_mov_b32_e32 v33, v2
	s_nop 0
	v_addc_co_u32_e32 v35, vcc, 0, v34, vcc
	v_mul_lo_u32 v34, v37, v39
	v_lshl_add_u64 v[32:33], v[32:33], 0, v[34:35]
	v_add_co_u32_e32 v3, vcc, v3, v32
	v_mul_lo_u32 v34, s4, v3
	s_nop 0
	v_addc_co_u32_e32 v37, vcc, v37, v33, vcc
	v_mul_lo_u32 v32, s4, v37
	v_mul_hi_u32 v33, s4, v3
	v_add_u32_e32 v32, v33, v32
	v_mul_lo_u32 v33, s5, v3
	v_add_u32_e32 v38, v32, v33
	v_mul_hi_u32 v40, v37, v34
	v_mul_lo_u32 v41, v37, v34
	v_mul_hi_u32 v33, v3, v38
	v_mul_lo_u32 v32, v3, v38
	v_mul_hi_u32 v34, v3, v34
	v_mov_b32_e32 v35, v2
	v_lshl_add_u64 v[32:33], v[34:35], 0, v[32:33]
	v_add_co_u32_e32 v32, vcc, v32, v41
	v_mul_hi_u32 v39, v37, v38
	s_nop 0
	v_addc_co_u32_e32 v32, vcc, v33, v40, vcc
	v_mul_lo_u32 v34, v37, v38
	s_nop 0
	v_addc_co_u32_e32 v35, vcc, 0, v39, vcc
	v_mov_b32_e32 v33, v2
	v_lshl_add_u64 v[32:33], v[32:33], 0, v[34:35]
	v_ashrrev_i32_e32 v34, 31, v31
	v_mov_b32_e32 v35, v34
	v_add_co_u32_e32 v3, vcc, v3, v32
	v_lshl_add_u64 v[30:31], v[30:31], 0, v[34:35]
	s_nop 0
	v_addc_co_u32_e32 v37, vcc, v37, v33, vcc
	v_xor_b32_e32 v40, v30, v34
	v_xor_b32_e32 v35, v31, v34
	v_mad_u64_u32 v[30:31], s[4:5], v40, v37, 0
	v_mul_hi_u32 v32, v40, v3
	v_mov_b32_e32 v33, v2
	v_lshl_add_u64 v[30:31], v[32:33], 0, v[30:31]
	v_mad_u64_u32 v[38:39], s[4:5], v35, v3, 0
	v_add_co_u32_e32 v3, vcc, v30, v38
	v_mad_u64_u32 v[32:33], s[4:5], v35, v37, 0
	s_nop 0
	v_addc_co_u32_e32 v30, vcc, v31, v39, vcc
	v_mov_b32_e32 v31, v2
	s_nop 0
	v_addc_co_u32_e32 v33, vcc, 0, v33, vcc
	v_lshl_add_u64 v[30:31], v[30:31], 0, v[32:33]
	v_mul_lo_u32 v3, s45, v30
	v_mul_lo_u32 v32, s44, v31
	v_mad_u64_u32 v[30:31], s[4:5], s44, v30, 0
	v_add3_u32 v3, v31, v32, v3
	v_sub_u32_e32 v31, v35, v3
	v_mov_b32_e32 v32, s45
	v_sub_co_u32_e32 v30, vcc, v40, v30
	s_nop 1
	v_subb_co_u32_e64 v31, s[4:5], v31, v32, vcc
	v_subrev_co_u32_e64 v33, s[4:5], s44, v30
	v_subb_co_u32_e32 v3, vcc, v35, v3, vcc
	s_nop 0
	v_subbrev_co_u32_e64 v37, s[6:7], 0, v31, s[4:5]
	v_cmp_le_u32_e64 s[6:7], s45, v37
	v_subb_co_u32_e64 v31, s[4:5], v31, v32, s[4:5]
	s_nop 0
	v_cndmask_b32_e64 v38, 0, -1, s[6:7]
	v_cmp_le_u32_e64 s[6:7], s44, v33
	v_subrev_co_u32_e64 v32, s[4:5], s44, v33
	s_nop 0
	v_cndmask_b32_e64 v39, 0, -1, s[6:7]
	v_cmp_eq_u32_e64 s[6:7], s45, v37
	v_subbrev_co_u32_e64 v31, s[4:5], 0, v31, s[4:5]
	s_nop 0
	v_cndmask_b32_e64 v38, v38, v39, s[6:7]
	v_cmp_le_u32_e32 vcc, s45, v3
	v_cmp_ne_u32_e64 s[4:5], 0, v38
	s_nop 0
	v_cndmask_b32_e64 v35, 0, -1, vcc
	v_cmp_le_u32_e32 vcc, s44, v30
	v_cndmask_b32_e64 v31, v37, v31, s[4:5]
	s_nop 0
	v_cndmask_b32_e64 v37, 0, -1, vcc
	v_cmp_eq_u32_e32 vcc, s45, v3
	s_nop 1
	v_cndmask_b32_e32 v35, v35, v37, vcc
	v_cmp_ne_u32_e32 vcc, 0, v35
	s_nop 1
	v_cndmask_b32_e32 v3, v3, v31, vcc
	v_cndmask_b32_e64 v31, v33, v32, s[4:5]
	v_cndmask_b32_e32 v30, v30, v31, vcc
	v_xor_b32_e32 v30, v30, v34
	v_xor_b32_e32 v3, v3, v34
	v_sub_co_u32_e32 v32, vcc, v30, v34
                                        ; implicit-def: $vgpr30_vgpr31
	s_nop 1
	v_subb_co_u32_e32 v33, vcc, v3, v34, vcc
.LBB167_48:                             ;   in Loop: Header=BB167_33 Depth=2
	s_andn2_saveexec_b64 s[4:5], s[42:43]
	s_cbranch_execz .LBB167_31
; %bb.49:                               ;   in Loop: Header=BB167_33 Depth=2
	v_cvt_f32_u32_e32 v3, s12
	s_sub_i32 s6, 0, s12
	v_mov_b32_e32 v33, v2
	v_rcp_iflag_f32_e32 v3, v3
	s_nop 0
	v_mul_f32_e32 v3, 0x4f7ffffe, v3
	v_cvt_u32_f32_e32 v3, v3
	v_mul_lo_u32 v31, s6, v3
	v_mul_hi_u32 v31, v3, v31
	v_add_u32_e32 v3, v3, v31
	v_mul_hi_u32 v3, v30, v3
	v_mul_lo_u32 v3, v3, s12
	v_sub_u32_e32 v3, v30, v3
	v_subrev_u32_e32 v30, s12, v3
	v_cmp_le_u32_e32 vcc, s12, v3
	s_nop 1
	v_cndmask_b32_e32 v3, v3, v30, vcc
	v_subrev_u32_e32 v30, s12, v3
	v_cmp_le_u32_e32 vcc, s12, v3
	s_nop 1
	v_cndmask_b32_e32 v32, v3, v30, vcc
	s_branch .LBB167_31
.LBB167_50:                             ;   in Loop: Header=BB167_10 Depth=1
	s_ashr_i32 s40, s13, 31
	s_add_u32 s4, s12, s40
	s_mov_b32 s41, s40
	s_addc_u32 s5, s13, s40
	s_xor_b64 s[42:43], s[4:5], s[40:41]
	v_cvt_f32_u32_e32 v3, s42
	v_cvt_f32_u32_e32 v20, s43
	s_sub_u32 s4, 0, s42
	s_subb_u32 s5, 0, s43
	v_mov_b32_e32 v23, v2
	v_fmac_f32_e32 v3, 0x4f800000, v20
	v_rcp_f32_e32 v3, v3
	s_nop 0
	v_mul_f32_e32 v3, 0x5f7ffffc, v3
	v_mul_f32_e32 v20, 0x2f800000, v3
	v_trunc_f32_e32 v20, v20
	v_fmac_f32_e32 v3, 0xcf800000, v20
	v_cvt_u32_f32_e32 v24, v20
	v_cvt_u32_f32_e32 v3, v3
	v_mul_lo_u32 v20, s4, v24
	v_mul_hi_u32 v22, s4, v3
	v_mul_lo_u32 v21, s5, v3
	v_add_u32_e32 v20, v22, v20
	v_mul_lo_u32 v25, s4, v3
	v_add_u32_e32 v26, v20, v21
	v_mul_hi_u32 v21, v3, v26
	v_mul_lo_u32 v20, v3, v26
	v_mul_hi_u32 v22, v3, v25
	v_lshl_add_u64 v[20:21], v[22:23], 0, v[20:21]
	v_mul_hi_u32 v23, v24, v25
	v_mul_lo_u32 v25, v24, v25
	v_add_co_u32_e32 v20, vcc, v20, v25
	v_mul_hi_u32 v22, v24, v26
	s_nop 0
	v_addc_co_u32_e32 v20, vcc, v21, v23, vcc
	v_mov_b32_e32 v21, v2
	s_nop 0
	v_addc_co_u32_e32 v23, vcc, 0, v22, vcc
	v_mul_lo_u32 v22, v24, v26
	v_lshl_add_u64 v[20:21], v[20:21], 0, v[22:23]
	v_add_co_u32_e32 v3, vcc, v3, v20
	v_mul_lo_u32 v22, s4, v3
	s_nop 0
	v_addc_co_u32_e32 v24, vcc, v24, v21, vcc
	v_mul_lo_u32 v20, s4, v24
	v_mul_hi_u32 v21, s4, v3
	v_add_u32_e32 v20, v21, v20
	v_mul_lo_u32 v21, s5, v3
	v_add_u32_e32 v25, v20, v21
	v_mul_hi_u32 v27, v24, v22
	v_mul_lo_u32 v28, v24, v22
	v_mul_hi_u32 v21, v3, v25
	v_mul_lo_u32 v20, v3, v25
	v_mul_hi_u32 v22, v3, v22
	v_mov_b32_e32 v23, v2
	v_lshl_add_u64 v[20:21], v[22:23], 0, v[20:21]
	v_add_co_u32_e32 v20, vcc, v20, v28
	v_mul_hi_u32 v26, v24, v25
	s_nop 0
	v_addc_co_u32_e32 v20, vcc, v21, v27, vcc
	v_mul_lo_u32 v22, v24, v25
	s_nop 0
	v_addc_co_u32_e32 v23, vcc, 0, v26, vcc
	v_mov_b32_e32 v21, v2
	v_lshl_add_u64 v[20:21], v[20:21], 0, v[22:23]
	v_add_co_u32_e32 v3, vcc, v3, v20
	v_ashrrev_i32_e32 v20, 31, v5
	s_nop 0
	v_addc_co_u32_e32 v26, vcc, v24, v21, vcc
	v_mov_b32_e32 v21, v20
	v_lshl_add_u64 v[22:23], v[4:5], 0, v[20:21]
	v_xor_b32_e32 v28, v22, v20
	v_xor_b32_e32 v21, v23, v20
	v_mad_u64_u32 v[22:23], s[4:5], v28, v26, 0
	v_mul_hi_u32 v24, v28, v3
	v_mov_b32_e32 v25, v2
	v_lshl_add_u64 v[22:23], v[24:25], 0, v[22:23]
	v_mad_u64_u32 v[24:25], s[4:5], v21, v26, 0
	v_mad_u64_u32 v[26:27], s[4:5], v21, v3, 0
	v_add_co_u32_e32 v3, vcc, v22, v26
	s_nop 1
	v_addc_co_u32_e32 v22, vcc, v23, v27, vcc
	v_mov_b32_e32 v23, v2
	s_nop 0
	v_addc_co_u32_e32 v25, vcc, 0, v25, vcc
	v_lshl_add_u64 v[22:23], v[22:23], 0, v[24:25]
	v_mul_lo_u32 v3, s43, v22
	v_mul_lo_u32 v26, s42, v23
	v_mad_u64_u32 v[24:25], s[4:5], s42, v22, 0
	v_add3_u32 v3, v25, v26, v3
	v_sub_u32_e32 v25, v21, v3
	v_mov_b32_e32 v26, s43
	v_sub_co_u32_e32 v28, vcc, v28, v24
	s_nop 1
	v_subb_co_u32_e64 v24, s[4:5], v25, v26, vcc
	v_subrev_co_u32_e64 v25, s[4:5], s42, v28
	v_subb_co_u32_e32 v3, vcc, v21, v3, vcc
	s_nop 0
	v_subbrev_co_u32_e64 v24, s[4:5], 0, v24, s[4:5]
	v_cmp_le_u32_e64 s[4:5], s43, v24
	v_cmp_le_u32_e32 vcc, s43, v3
	s_nop 0
	v_cndmask_b32_e64 v26, 0, -1, s[4:5]
	v_cmp_le_u32_e64 s[4:5], s42, v25
	v_cndmask_b32_e64 v21, 0, -1, vcc
	v_cmp_le_u32_e32 vcc, s42, v28
	v_cndmask_b32_e64 v25, 0, -1, s[4:5]
	v_cmp_eq_u32_e64 s[4:5], s43, v24
	s_nop 1
	v_cndmask_b32_e64 v29, v26, v25, s[4:5]
	v_lshl_add_u64 v[24:25], v[22:23], 0, 2
	v_lshl_add_u64 v[26:27], v[22:23], 0, 1
	v_cmp_ne_u32_e64 s[4:5], 0, v29
	s_nop 1
	v_cndmask_b32_e64 v25, v27, v25, s[4:5]
	v_cndmask_b32_e64 v27, 0, -1, vcc
	v_cmp_eq_u32_e32 vcc, s43, v3
	s_nop 1
	v_cndmask_b32_e32 v3, v21, v27, vcc
	v_cmp_ne_u32_e32 vcc, 0, v3
	v_cndmask_b32_e64 v21, v26, v24, s[4:5]
	s_nop 0
	v_cndmask_b32_e32 v21, v22, v21, vcc
	v_xor_b32_e32 v22, s40, v20
	v_cndmask_b32_e32 v3, v23, v25, vcc
	v_xor_b32_e32 v20, v21, v22
	v_xor_b32_e32 v3, v3, v22
	v_sub_co_u32_e32 v20, vcc, v20, v22
	s_nop 1
	v_subb_co_u32_e32 v21, vcc, v3, v22, vcc
	s_andn2_saveexec_b64 s[4:5], s[38:39]
	s_cbranch_execz .LBB167_26
.LBB167_51:                             ;   in Loop: Header=BB167_10 Depth=1
	v_cvt_f32_u32_e32 v3, s12
	s_sub_i32 s38, 0, s12
	v_rcp_iflag_f32_e32 v3, v3
	s_nop 0
	v_mul_f32_e32 v3, 0x4f7ffffe, v3
	v_cvt_u32_f32_e32 v3, v3
	v_mul_lo_u32 v20, s38, v3
	v_mul_hi_u32 v20, v3, v20
	v_add_u32_e32 v3, v3, v20
	v_mul_hi_u32 v3, v4, v3
	v_mul_lo_u32 v20, v3, s12
	v_sub_u32_e32 v20, v4, v20
	v_add_u32_e32 v21, 1, v3
	v_subrev_u32_e32 v22, s12, v20
	v_cmp_le_u32_e32 vcc, s12, v20
	s_nop 1
	v_cndmask_b32_e32 v20, v20, v22, vcc
	v_cndmask_b32_e32 v3, v3, v21, vcc
	v_add_u32_e32 v21, 1, v3
	v_cmp_le_u32_e32 vcc, s12, v20
	s_nop 1
	v_cndmask_b32_e32 v20, v3, v21, vcc
	v_mov_b32_e32 v21, v2
	s_or_b64 exec, exec, s[4:5]
	v_cmp_ge_i64_e32 vcc, v[20:21], v[18:19]
	s_and_saveexec_b64 s[4:5], vcc
	s_cbranch_execnz .LBB167_27
	s_branch .LBB167_28
.LBB167_52:
	s_endpgm
	.section	.rodata,"a",@progbits
	.p2align	6, 0x0
	.amdhsa_kernel _ZN9rocsparseL21csr2bsr_65_inf_kernelILj32E21rocsparse_complex_numIdEilEEv20rocsparse_direction_T2_S4_S4_S4_S4_S4_21rocsparse_index_base_PKT0_PKT1_PKS4_S5_PS6_PS9_PS4_SF_SG_SE_
		.amdhsa_group_segment_fixed_size 0
		.amdhsa_private_segment_fixed_size 0
		.amdhsa_kernarg_size 144
		.amdhsa_user_sgpr_count 2
		.amdhsa_user_sgpr_dispatch_ptr 0
		.amdhsa_user_sgpr_queue_ptr 0
		.amdhsa_user_sgpr_kernarg_segment_ptr 1
		.amdhsa_user_sgpr_dispatch_id 0
		.amdhsa_user_sgpr_kernarg_preload_length 0
		.amdhsa_user_sgpr_kernarg_preload_offset 0
		.amdhsa_user_sgpr_private_segment_size 0
		.amdhsa_uses_dynamic_stack 0
		.amdhsa_enable_private_segment 0
		.amdhsa_system_sgpr_workgroup_id_x 1
		.amdhsa_system_sgpr_workgroup_id_y 0
		.amdhsa_system_sgpr_workgroup_id_z 0
		.amdhsa_system_sgpr_workgroup_info 0
		.amdhsa_system_vgpr_workitem_id 0
		.amdhsa_next_free_vgpr 46
		.amdhsa_next_free_sgpr 52
		.amdhsa_accum_offset 48
		.amdhsa_reserve_vcc 1
		.amdhsa_float_round_mode_32 0
		.amdhsa_float_round_mode_16_64 0
		.amdhsa_float_denorm_mode_32 3
		.amdhsa_float_denorm_mode_16_64 3
		.amdhsa_dx10_clamp 1
		.amdhsa_ieee_mode 1
		.amdhsa_fp16_overflow 0
		.amdhsa_tg_split 0
		.amdhsa_exception_fp_ieee_invalid_op 0
		.amdhsa_exception_fp_denorm_src 0
		.amdhsa_exception_fp_ieee_div_zero 0
		.amdhsa_exception_fp_ieee_overflow 0
		.amdhsa_exception_fp_ieee_underflow 0
		.amdhsa_exception_fp_ieee_inexact 0
		.amdhsa_exception_int_div_zero 0
	.end_amdhsa_kernel
	.section	.text._ZN9rocsparseL21csr2bsr_65_inf_kernelILj32E21rocsparse_complex_numIdEilEEv20rocsparse_direction_T2_S4_S4_S4_S4_S4_21rocsparse_index_base_PKT0_PKT1_PKS4_S5_PS6_PS9_PS4_SF_SG_SE_,"axG",@progbits,_ZN9rocsparseL21csr2bsr_65_inf_kernelILj32E21rocsparse_complex_numIdEilEEv20rocsparse_direction_T2_S4_S4_S4_S4_S4_21rocsparse_index_base_PKT0_PKT1_PKS4_S5_PS6_PS9_PS4_SF_SG_SE_,comdat
.Lfunc_end167:
	.size	_ZN9rocsparseL21csr2bsr_65_inf_kernelILj32E21rocsparse_complex_numIdEilEEv20rocsparse_direction_T2_S4_S4_S4_S4_S4_21rocsparse_index_base_PKT0_PKT1_PKS4_S5_PS6_PS9_PS4_SF_SG_SE_, .Lfunc_end167-_ZN9rocsparseL21csr2bsr_65_inf_kernelILj32E21rocsparse_complex_numIdEilEEv20rocsparse_direction_T2_S4_S4_S4_S4_S4_21rocsparse_index_base_PKT0_PKT1_PKS4_S5_PS6_PS9_PS4_SF_SG_SE_
                                        ; -- End function
	.section	.AMDGPU.csdata,"",@progbits
; Kernel info:
; codeLenInByte = 5512
; NumSgprs: 58
; NumVgprs: 46
; NumAgprs: 0
; TotalNumVgprs: 46
; ScratchSize: 0
; MemoryBound: 0
; FloatMode: 240
; IeeeMode: 1
; LDSByteSize: 0 bytes/workgroup (compile time only)
; SGPRBlocks: 7
; VGPRBlocks: 5
; NumSGPRsForWavesPerEU: 58
; NumVGPRsForWavesPerEU: 46
; AccumOffset: 48
; Occupancy: 8
; WaveLimiterHint : 1
; COMPUTE_PGM_RSRC2:SCRATCH_EN: 0
; COMPUTE_PGM_RSRC2:USER_SGPR: 2
; COMPUTE_PGM_RSRC2:TRAP_HANDLER: 0
; COMPUTE_PGM_RSRC2:TGID_X_EN: 1
; COMPUTE_PGM_RSRC2:TGID_Y_EN: 0
; COMPUTE_PGM_RSRC2:TGID_Z_EN: 0
; COMPUTE_PGM_RSRC2:TIDIG_COMP_CNT: 0
; COMPUTE_PGM_RSRC3_GFX90A:ACCUM_OFFSET: 11
; COMPUTE_PGM_RSRC3_GFX90A:TG_SPLIT: 0
	.section	.text._ZN9rocsparseL35csr2bsr_block_dim_equals_one_kernelILj256E21rocsparse_complex_numIdEllEEvT2_S3_S3_S3_21rocsparse_index_base_PKT0_PKT1_PKS3_S4_PS5_PS8_PS3_,"axG",@progbits,_ZN9rocsparseL35csr2bsr_block_dim_equals_one_kernelILj256E21rocsparse_complex_numIdEllEEvT2_S3_S3_S3_21rocsparse_index_base_PKT0_PKT1_PKS3_S4_PS5_PS8_PS3_,comdat
	.globl	_ZN9rocsparseL35csr2bsr_block_dim_equals_one_kernelILj256E21rocsparse_complex_numIdEllEEvT2_S3_S3_S3_21rocsparse_index_base_PKT0_PKT1_PKS3_S4_PS5_PS8_PS3_ ; -- Begin function _ZN9rocsparseL35csr2bsr_block_dim_equals_one_kernelILj256E21rocsparse_complex_numIdEllEEvT2_S3_S3_S3_21rocsparse_index_base_PKT0_PKT1_PKS3_S4_PS5_PS8_PS3_
	.p2align	8
	.type	_ZN9rocsparseL35csr2bsr_block_dim_equals_one_kernelILj256E21rocsparse_complex_numIdEllEEvT2_S3_S3_S3_21rocsparse_index_base_PKT0_PKT1_PKS3_S4_PS5_PS8_PS3_,@function
_ZN9rocsparseL35csr2bsr_block_dim_equals_one_kernelILj256E21rocsparse_complex_numIdEllEEvT2_S3_S3_S3_21rocsparse_index_base_PKT0_PKT1_PKS3_S4_PS5_PS8_PS3_: ; @_ZN9rocsparseL35csr2bsr_block_dim_equals_one_kernelILj256E21rocsparse_complex_numIdEllEEvT2_S3_S3_S3_21rocsparse_index_base_PKT0_PKT1_PKS3_S4_PS5_PS8_PS3_
; %bb.0:
	s_load_dwordx2 s[8:9], s[0:1], 0x0
	s_load_dwordx4 s[4:7], s[0:1], 0x28
	v_lshl_or_b32 v0, s2, 8, v0
	v_mov_b32_e32 v1, 0
	s_waitcnt lgkmcnt(0)
	s_lshl_b64 s[8:9], s[8:9], 3
	s_add_u32 s8, s6, s8
	s_addc_u32 s9, s7, s9
	s_load_dwordx2 s[10:11], s[8:9], 0x0
	s_load_dwordx2 s[12:13], s[6:7], 0x0
	s_waitcnt lgkmcnt(0)
	s_sub_u32 s2, s10, s12
	s_subb_u32 s3, s11, s13
	v_cmp_gt_i64_e32 vcc, s[2:3], v[0:1]
	s_and_saveexec_b64 s[6:7], vcc
	s_cbranch_execz .LBB168_3
; %bb.1:
	s_load_dword s12, s[0:1], 0x40
	s_load_dwordx2 s[6:7], s[0:1], 0x48
	s_load_dword s13, s[0:1], 0x20
	s_load_dwordx2 s[8:9], s[0:1], 0x38
	;; [unrolled: 2-line block ×3, first 2 shown]
	s_mov_b32 s1, 0
	s_waitcnt lgkmcnt(0)
	s_sub_u32 s12, s12, s13
	s_subb_u32 s13, 0, 0
	s_lshl_b32 s0, s14, 8
	v_lshlrev_b64 v[2:3], 4, v[0:1]
	s_lshl_b64 s[14:15], s[0:1], 4
	v_lshlrev_b64 v[4:5], 3, v[0:1]
	s_lshl_b64 s[16:17], s[0:1], 3
	s_mov_b64 s[18:19], 0
.LBB168_2:                              ; =>This Inner Loop Header: Depth=1
	v_lshl_add_u64 v[6:7], s[8:9], 0, v[4:5]
	global_load_dwordx2 v[6:7], v[6:7], off
	v_lshl_add_u64 v[8:9], s[10:11], 0, v[4:5]
	v_lshl_add_u64 v[10:11], s[4:5], 0, v[2:3]
	;; [unrolled: 1-line block ×3, first 2 shown]
	v_cmp_le_i64_e32 vcc, s[2:3], v[0:1]
	v_lshl_add_u64 v[4:5], v[4:5], 0, s[16:17]
	s_or_b64 s[18:19], vcc, s[18:19]
	s_waitcnt vmcnt(0)
	v_lshl_add_u64 v[6:7], s[12:13], 0, v[6:7]
	global_store_dwordx2 v[8:9], v[6:7], off
	global_load_dwordx4 v[6:9], v[10:11], off
	v_lshl_add_u64 v[10:11], s[6:7], 0, v[2:3]
	v_lshl_add_u64 v[2:3], v[2:3], 0, s[14:15]
	s_waitcnt vmcnt(0)
	global_store_dwordx4 v[10:11], v[6:9], off
	s_andn2_b64 exec, exec, s[18:19]
	s_cbranch_execnz .LBB168_2
.LBB168_3:
	s_endpgm
	.section	.rodata,"a",@progbits
	.p2align	6, 0x0
	.amdhsa_kernel _ZN9rocsparseL35csr2bsr_block_dim_equals_one_kernelILj256E21rocsparse_complex_numIdEllEEvT2_S3_S3_S3_21rocsparse_index_base_PKT0_PKT1_PKS3_S4_PS5_PS8_PS3_
		.amdhsa_group_segment_fixed_size 0
		.amdhsa_private_segment_fixed_size 0
		.amdhsa_kernarg_size 352
		.amdhsa_user_sgpr_count 2
		.amdhsa_user_sgpr_dispatch_ptr 0
		.amdhsa_user_sgpr_queue_ptr 0
		.amdhsa_user_sgpr_kernarg_segment_ptr 1
		.amdhsa_user_sgpr_dispatch_id 0
		.amdhsa_user_sgpr_kernarg_preload_length 0
		.amdhsa_user_sgpr_kernarg_preload_offset 0
		.amdhsa_user_sgpr_private_segment_size 0
		.amdhsa_uses_dynamic_stack 0
		.amdhsa_enable_private_segment 0
		.amdhsa_system_sgpr_workgroup_id_x 1
		.amdhsa_system_sgpr_workgroup_id_y 0
		.amdhsa_system_sgpr_workgroup_id_z 0
		.amdhsa_system_sgpr_workgroup_info 0
		.amdhsa_system_vgpr_workitem_id 0
		.amdhsa_next_free_vgpr 12
		.amdhsa_next_free_sgpr 20
		.amdhsa_accum_offset 12
		.amdhsa_reserve_vcc 1
		.amdhsa_float_round_mode_32 0
		.amdhsa_float_round_mode_16_64 0
		.amdhsa_float_denorm_mode_32 3
		.amdhsa_float_denorm_mode_16_64 3
		.amdhsa_dx10_clamp 1
		.amdhsa_ieee_mode 1
		.amdhsa_fp16_overflow 0
		.amdhsa_tg_split 0
		.amdhsa_exception_fp_ieee_invalid_op 0
		.amdhsa_exception_fp_denorm_src 0
		.amdhsa_exception_fp_ieee_div_zero 0
		.amdhsa_exception_fp_ieee_overflow 0
		.amdhsa_exception_fp_ieee_underflow 0
		.amdhsa_exception_fp_ieee_inexact 0
		.amdhsa_exception_int_div_zero 0
	.end_amdhsa_kernel
	.section	.text._ZN9rocsparseL35csr2bsr_block_dim_equals_one_kernelILj256E21rocsparse_complex_numIdEllEEvT2_S3_S3_S3_21rocsparse_index_base_PKT0_PKT1_PKS3_S4_PS5_PS8_PS3_,"axG",@progbits,_ZN9rocsparseL35csr2bsr_block_dim_equals_one_kernelILj256E21rocsparse_complex_numIdEllEEvT2_S3_S3_S3_21rocsparse_index_base_PKT0_PKT1_PKS3_S4_PS5_PS8_PS3_,comdat
.Lfunc_end168:
	.size	_ZN9rocsparseL35csr2bsr_block_dim_equals_one_kernelILj256E21rocsparse_complex_numIdEllEEvT2_S3_S3_S3_21rocsparse_index_base_PKT0_PKT1_PKS3_S4_PS5_PS8_PS3_, .Lfunc_end168-_ZN9rocsparseL35csr2bsr_block_dim_equals_one_kernelILj256E21rocsparse_complex_numIdEllEEvT2_S3_S3_S3_21rocsparse_index_base_PKT0_PKT1_PKS3_S4_PS5_PS8_PS3_
                                        ; -- End function
	.section	.AMDGPU.csdata,"",@progbits
; Kernel info:
; codeLenInByte = 304
; NumSgprs: 26
; NumVgprs: 12
; NumAgprs: 0
; TotalNumVgprs: 12
; ScratchSize: 0
; MemoryBound: 0
; FloatMode: 240
; IeeeMode: 1
; LDSByteSize: 0 bytes/workgroup (compile time only)
; SGPRBlocks: 3
; VGPRBlocks: 1
; NumSGPRsForWavesPerEU: 26
; NumVGPRsForWavesPerEU: 12
; AccumOffset: 12
; Occupancy: 8
; WaveLimiterHint : 0
; COMPUTE_PGM_RSRC2:SCRATCH_EN: 0
; COMPUTE_PGM_RSRC2:USER_SGPR: 2
; COMPUTE_PGM_RSRC2:TRAP_HANDLER: 0
; COMPUTE_PGM_RSRC2:TGID_X_EN: 1
; COMPUTE_PGM_RSRC2:TGID_Y_EN: 0
; COMPUTE_PGM_RSRC2:TGID_Z_EN: 0
; COMPUTE_PGM_RSRC2:TIDIG_COMP_CNT: 0
; COMPUTE_PGM_RSRC3_GFX90A:ACCUM_OFFSET: 2
; COMPUTE_PGM_RSRC3_GFX90A:TG_SPLIT: 0
	.section	.text._ZN9rocsparseL42csr2bsr_wavefront_per_row_multipass_kernelILj256ELj16ELj4E21rocsparse_complex_numIdEllEEv20rocsparse_direction_T4_S4_S4_S4_S4_21rocsparse_index_base_PKT2_PKT3_PKS4_S5_PS6_PS9_PS4_,"axG",@progbits,_ZN9rocsparseL42csr2bsr_wavefront_per_row_multipass_kernelILj256ELj16ELj4E21rocsparse_complex_numIdEllEEv20rocsparse_direction_T4_S4_S4_S4_S4_21rocsparse_index_base_PKT2_PKT3_PKS4_S5_PS6_PS9_PS4_,comdat
	.globl	_ZN9rocsparseL42csr2bsr_wavefront_per_row_multipass_kernelILj256ELj16ELj4E21rocsparse_complex_numIdEllEEv20rocsparse_direction_T4_S4_S4_S4_S4_21rocsparse_index_base_PKT2_PKT3_PKS4_S5_PS6_PS9_PS4_ ; -- Begin function _ZN9rocsparseL42csr2bsr_wavefront_per_row_multipass_kernelILj256ELj16ELj4E21rocsparse_complex_numIdEllEEv20rocsparse_direction_T4_S4_S4_S4_S4_21rocsparse_index_base_PKT2_PKT3_PKS4_S5_PS6_PS9_PS4_
	.p2align	8
	.type	_ZN9rocsparseL42csr2bsr_wavefront_per_row_multipass_kernelILj256ELj16ELj4E21rocsparse_complex_numIdEllEEv20rocsparse_direction_T4_S4_S4_S4_S4_21rocsparse_index_base_PKT2_PKT3_PKS4_S5_PS6_PS9_PS4_,@function
_ZN9rocsparseL42csr2bsr_wavefront_per_row_multipass_kernelILj256ELj16ELj4E21rocsparse_complex_numIdEllEEv20rocsparse_direction_T4_S4_S4_S4_S4_21rocsparse_index_base_PKT2_PKT3_PKS4_S5_PS6_PS9_PS4_: ; @_ZN9rocsparseL42csr2bsr_wavefront_per_row_multipass_kernelILj256ELj16ELj4E21rocsparse_complex_numIdEllEEv20rocsparse_direction_T4_S4_S4_S4_S4_21rocsparse_index_base_PKT2_PKT3_PKS4_S5_PS6_PS9_PS4_
; %bb.0:
	s_load_dwordx2 s[4:5], s[0:1], 0x8
	s_load_dwordx4 s[8:11], s[0:1], 0x18
	s_load_dwordx2 s[6:7], s[0:1], 0x28
	s_load_dword s28, s[0:1], 0x30
	s_load_dwordx2 s[12:13], s[0:1], 0x40
	s_ashr_i32 s3, s2, 31
	v_lshrrev_b32_e32 v32, 4, v0
	s_lshl_b64 s[14:15], s[2:3], 4
	v_bfe_u32 v2, v0, 2, 2
	v_mov_b32_e32 v3, 0
	v_or_b32_e32 v1, s14, v32
	s_waitcnt lgkmcnt(0)
	v_mul_lo_u32 v4, v1, s7
	v_mad_u64_u32 v[6:7], s[16:17], v1, s6, v[2:3]
	s_mul_i32 s3, s15, s6
	v_add3_u32 v7, s3, v7, v4
	v_cmp_gt_i64_e32 vcc, s[4:5], v[6:7]
	v_cmp_gt_i64_e64 s[4:5], s[6:7], v[2:3]
	v_mov_b64_e32 v[4:5], 0
	s_and_b64 s[14:15], s[4:5], vcc
	v_mov_b64_e32 v[18:19], v[4:5]
	s_and_saveexec_b64 s[16:17], s[14:15]
	s_cbranch_execz .LBB169_2
; %bb.1:
	v_lshl_add_u64 v[8:9], v[6:7], 3, s[12:13]
	global_load_dwordx2 v[8:9], v[8:9], off
	s_waitcnt vmcnt(0)
	v_subrev_co_u32_e32 v18, vcc, s28, v8
	s_nop 1
	v_subbrev_co_u32_e32 v19, vcc, 0, v9, vcc
.LBB169_2:
	s_or_b64 exec, exec, s[16:17]
	s_and_saveexec_b64 s[16:17], s[14:15]
	s_cbranch_execz .LBB169_4
; %bb.3:
	v_lshl_add_u64 v[4:5], v[6:7], 3, s[12:13]
	global_load_dwordx2 v[4:5], v[4:5], off offset:8
	s_waitcnt vmcnt(0)
	v_subrev_co_u32_e32 v4, vcc, s28, v4
	s_nop 1
	v_subbrev_co_u32_e32 v5, vcc, 0, v5, vcc
.LBB169_4:
	s_or_b64 exec, exec, s[16:17]
	s_load_dword s12, s[0:1], 0x50
	v_lshl_or_b32 v8, s2, 4, v32
	v_mov_b32_e32 v9, 0
	v_cmp_gt_i64_e32 vcc, s[8:9], v[8:9]
	v_mov_b64_e32 v[6:7], 0
	s_and_saveexec_b64 s[2:3], vcc
	s_cbranch_execz .LBB169_6
; %bb.5:
	s_load_dwordx2 s[8:9], s[0:1], 0x60
	s_waitcnt lgkmcnt(0)
	v_lshl_add_u64 v[6:7], v[8:9], 3, s[8:9]
	global_load_dwordx2 v[6:7], v[6:7], off
	s_waitcnt vmcnt(0)
	v_subrev_co_u32_e32 v6, vcc, s12, v6
	s_nop 1
	v_subbrev_co_u32_e32 v7, vcc, 0, v7, vcc
.LBB169_6:
	s_or_b64 exec, exec, s[2:3]
	v_cmp_lt_i64_e64 s[2:3], s[10:11], 1
	s_and_b64 vcc, exec, s[2:3]
	s_cbranch_vccnz .LBB169_25
; %bb.7:
	v_and_b32_e32 v8, 3, v0
	v_and_b32_e32 v0, 0xf0, v0
	v_lshl_or_b32 v33, v2, 2, v0
	v_or_b32_e32 v0, v33, v8
	v_lshlrev_b32_e32 v34, 4, v0
	v_mbcnt_lo_u32_b32 v0, -1, 0
	v_mbcnt_hi_u32_b32 v0, -1, v0
	s_load_dwordx2 s[2:3], s[0:1], 0x68
	s_load_dwordx2 s[16:17], s[0:1], 0x58
	;; [unrolled: 1-line block ×4, first 2 shown]
	s_load_dword s18, s[0:1], 0x0
	v_lshlrev_b32_e32 v11, 2, v0
	v_mad_u64_u32 v[0:1], s[0:1], v8, s6, 0
	v_mov_b32_e32 v12, v1
	v_mad_u64_u32 v[12:13], s[0:1], v8, s7, v[12:13]
	v_mov_b32_e32 v10, 0
	v_mov_b32_e32 v1, v12
	s_waitcnt lgkmcnt(0)
	v_lshl_add_u64 v[0:1], v[0:1], 4, s[16:17]
	v_lshlrev_b32_e32 v12, 4, v2
	v_mov_b32_e32 v13, v10
	v_lshl_add_u64 v[0:1], v[0:1], 0, v[12:13]
	v_mad_u64_u32 v[12:13], s[0:1], v2, s6, 0
	v_mov_b32_e32 v9, v10
	v_mov_b32_e32 v14, v13
	v_cmp_gt_i64_e32 vcc, s[6:7], v[8:9]
	v_mad_u64_u32 v[2:3], s[0:1], v2, s7, v[14:15]
	s_and_b64 s[4:5], s[4:5], vcc
	v_mov_b32_e32 v13, v2
	s_cmp_eq_u32 s18, 0
	s_mul_i32 s18, s6, s7
	s_mul_hi_u32 s19, s6, s6
	v_lshl_add_u64 v[2:3], v[12:13], 4, s[16:17]
	v_lshlrev_b32_e32 v12, 4, v8
	v_mov_b32_e32 v13, v10
	s_mov_b32 s29, 0
	v_lshl_add_u64 v[2:3], v[2:3], 0, v[12:13]
	s_cselect_b64 vcc, -1, 0
	s_add_i32 s0, s19, s18
	v_or_b32_e32 v35, 12, v11
	s_mov_b32 s13, s29
	s_add_i32 s30, s0, s18
	s_mul_i32 s31, s6, s6
	v_or_b32_e32 v36, 60, v11
	v_cndmask_b32_e32 v13, v1, v3, vcc
	v_cndmask_b32_e32 v12, v0, v2, vcc
	s_mov_b64 s[16:17], 0
	v_mov_b64_e32 v[14:15], 0
	v_mov_b32_e32 v0, 0
	v_mov_b32_e32 v1, v10
	;; [unrolled: 1-line block ×4, first 2 shown]
	s_ashr_i32 s18, s7, 31
	v_mov_b32_e32 v37, 1
	s_branch .LBB169_10
.LBB169_8:                              ;   in Loop: Header=BB169_10 Depth=1
	s_or_b64 exec, exec, s[20:21]
	v_mov_b64_e32 v[20:21], 1
.LBB169_9:                              ;   in Loop: Header=BB169_10 Depth=1
	s_or_b64 exec, exec, s[0:1]
	v_mov_b32_dpp v14, v16 row_shr:1 row_mask:0xf bank_mask:0xf
	v_mov_b32_dpp v15, v17 row_shr:1 row_mask:0xf bank_mask:0xf
	v_cmp_lt_i64_e32 vcc, v[14:15], v[16:17]
	v_lshl_add_u64 v[6:7], v[20:21], 0, v[6:7]
	s_waitcnt lgkmcnt(0)
	v_cndmask_b32_e32 v15, v17, v15, vcc
	v_cndmask_b32_e32 v14, v16, v14, vcc
	s_nop 0
	v_mov_b32_dpp v17, v15 row_shr:2 row_mask:0xf bank_mask:0xf
	v_mov_b32_dpp v16, v14 row_shr:2 row_mask:0xf bank_mask:0xf
	v_cmp_lt_i64_e32 vcc, v[16:17], v[14:15]
	s_nop 1
	v_cndmask_b32_e32 v15, v15, v17, vcc
	v_cndmask_b32_e32 v14, v14, v16, vcc
	s_nop 0
	v_mov_b32_dpp v17, v15 row_shr:4 row_mask:0xf bank_mask:0xe
	v_mov_b32_dpp v16, v14 row_shr:4 row_mask:0xf bank_mask:0xe
	v_cmp_lt_i64_e32 vcc, v[16:17], v[14:15]
	s_nop 1
	;; [unrolled: 7-line block ×3, first 2 shown]
	v_cndmask_b32_e32 v11, v15, v17, vcc
	v_cndmask_b32_e32 v14, v14, v16, vcc
	ds_bpermute_b32 v14, v36, v14
	ds_bpermute_b32 v15, v36, v11
	s_waitcnt lgkmcnt(0)
	v_cmp_le_i64_e32 vcc, s[10:11], v[14:15]
	s_or_b64 s[16:17], vcc, s[16:17]
	s_andn2_b64 exec, exec, s[16:17]
	s_cbranch_execz .LBB169_25
.LBB169_10:                             ; =>This Loop Header: Depth=1
                                        ;     Child Loop BB169_13 Depth 2
	v_lshl_add_u64 v[18:19], v[18:19], 0, v[8:9]
	v_cmp_lt_i64_e32 vcc, v[18:19], v[4:5]
	v_mov_b64_e32 v[16:17], s[10:11]
	v_mov_b64_e32 v[30:31], v[4:5]
	ds_write_b8 v32, v10 offset:4096
	ds_write_b128 v34, v[0:3]
	s_waitcnt lgkmcnt(0)
	s_and_saveexec_b64 s[20:21], vcc
	s_cbranch_execz .LBB169_22
; %bb.11:                               ;   in Loop: Header=BB169_10 Depth=1
	v_mad_u64_u32 v[20:21], s[0:1], v14, s6, 0
	v_lshl_add_u64 v[22:23], v[18:19], 4, s[14:15]
	v_lshl_add_u64 v[24:25], v[18:19], 3, s[8:9]
	s_mov_b64 s[22:23], 0
	v_mov_b64_e32 v[16:17], s[10:11]
	v_mov_b64_e32 v[26:27], v[4:5]
	s_branch .LBB169_13
.LBB169_12:                             ;   in Loop: Header=BB169_13 Depth=2
	s_or_b64 exec, exec, s[0:1]
	v_lshl_add_u64 v[18:19], v[18:19], 0, 4
	v_cmp_ge_i64_e64 s[0:1], v[18:19], v[4:5]
	s_xor_b64 s[24:25], vcc, -1
	s_or_b64 s[0:1], s[24:25], s[0:1]
	s_and_b64 s[0:1], exec, s[0:1]
	v_lshl_add_u64 v[22:23], v[22:23], 0, 64
	v_lshl_add_u64 v[24:25], v[24:25], 0, 32
	s_or_b64 s[22:23], s[0:1], s[22:23]
	v_mov_b64_e32 v[26:27], v[30:31]
	s_andn2_b64 exec, exec, s[22:23]
	s_cbranch_execz .LBB169_21
.LBB169_13:                             ;   Parent Loop BB169_10 Depth=1
                                        ; =>  This Inner Loop Header: Depth=2
	global_load_dwordx2 v[28:29], v[24:25], off
	v_mov_b32_e32 v11, s29
                                        ; implicit-def: $vgpr30_vgpr31
	s_waitcnt vmcnt(0)
	v_subrev_co_u32_e32 v28, vcc, s28, v28
	s_nop 1
	v_subb_co_u32_e32 v29, vcc, v29, v11, vcc
	v_or_b32_e32 v11, s7, v29
	v_cmp_ne_u64_e32 vcc, 0, v[10:11]
	s_and_saveexec_b64 s[0:1], vcc
	s_xor_b64 s[24:25], exec, s[0:1]
	s_cbranch_execz .LBB169_15
; %bb.14:                               ;   in Loop: Header=BB169_13 Depth=2
	s_add_u32 s0, s6, s18
	s_mov_b32 s19, s18
	s_addc_u32 s1, s7, s18
	s_xor_b64 s[26:27], s[0:1], s[18:19]
	v_cvt_f32_u32_e32 v11, s26
	v_cvt_f32_u32_e32 v21, s27
	s_sub_u32 s0, 0, s26
	s_subb_u32 s1, 0, s27
	v_mov_b32_e32 v39, v10
	v_fmac_f32_e32 v11, 0x4f800000, v21
	v_rcp_f32_e32 v11, v11
	s_nop 0
	v_mul_f32_e32 v11, 0x5f7ffffc, v11
	v_mul_f32_e32 v21, 0x2f800000, v11
	v_trunc_f32_e32 v21, v21
	v_fmac_f32_e32 v11, 0xcf800000, v21
	v_cvt_u32_f32_e32 v21, v21
	v_cvt_u32_f32_e32 v11, v11
	v_mul_lo_u32 v30, s0, v21
	v_mul_hi_u32 v38, s0, v11
	v_mul_lo_u32 v31, s1, v11
	v_add_u32_e32 v30, v38, v30
	v_mul_lo_u32 v40, s0, v11
	v_add_u32_e32 v41, v30, v31
	v_mul_hi_u32 v31, v11, v41
	v_mul_lo_u32 v30, v11, v41
	v_mul_hi_u32 v38, v11, v40
	v_lshl_add_u64 v[30:31], v[38:39], 0, v[30:31]
	v_mul_hi_u32 v39, v21, v40
	v_mul_lo_u32 v40, v21, v40
	v_add_co_u32_e32 v30, vcc, v30, v40
	v_mul_hi_u32 v38, v21, v41
	s_nop 0
	v_addc_co_u32_e32 v30, vcc, v31, v39, vcc
	v_mov_b32_e32 v31, v10
	s_nop 0
	v_addc_co_u32_e32 v39, vcc, 0, v38, vcc
	v_mul_lo_u32 v38, v21, v41
	v_lshl_add_u64 v[30:31], v[30:31], 0, v[38:39]
	v_add_co_u32_e32 v11, vcc, v11, v30
	v_mul_lo_u32 v38, s0, v11
	s_nop 0
	v_addc_co_u32_e32 v21, vcc, v21, v31, vcc
	v_mul_lo_u32 v30, s0, v21
	v_mul_hi_u32 v31, s0, v11
	v_add_u32_e32 v30, v31, v30
	v_mul_lo_u32 v31, s1, v11
	v_add_u32_e32 v40, v30, v31
	v_mul_hi_u32 v42, v21, v38
	v_mul_lo_u32 v43, v21, v38
	v_mul_hi_u32 v31, v11, v40
	v_mul_lo_u32 v30, v11, v40
	v_mul_hi_u32 v38, v11, v38
	v_mov_b32_e32 v39, v10
	v_lshl_add_u64 v[30:31], v[38:39], 0, v[30:31]
	v_add_co_u32_e32 v30, vcc, v30, v43
	v_mul_hi_u32 v41, v21, v40
	s_nop 0
	v_addc_co_u32_e32 v30, vcc, v31, v42, vcc
	v_mul_lo_u32 v38, v21, v40
	s_nop 0
	v_addc_co_u32_e32 v39, vcc, 0, v41, vcc
	v_mov_b32_e32 v31, v10
	v_lshl_add_u64 v[30:31], v[30:31], 0, v[38:39]
	v_add_co_u32_e32 v11, vcc, v11, v30
	v_ashrrev_i32_e32 v30, 31, v29
	s_nop 0
	v_addc_co_u32_e32 v21, vcc, v21, v31, vcc
	v_mov_b32_e32 v31, v30
	v_lshl_add_u64 v[38:39], v[28:29], 0, v[30:31]
	v_xor_b32_e32 v31, v38, v30
	v_xor_b32_e32 v29, v39, v30
	v_mad_u64_u32 v[38:39], s[0:1], v31, v21, 0
	v_mul_hi_u32 v40, v31, v11
	v_mov_b32_e32 v41, v10
	v_lshl_add_u64 v[38:39], v[40:41], 0, v[38:39]
	v_mad_u64_u32 v[42:43], s[0:1], v29, v11, 0
	v_add_co_u32_e32 v11, vcc, v38, v42
	v_mad_u64_u32 v[40:41], s[0:1], v29, v21, 0
	s_nop 0
	v_addc_co_u32_e32 v38, vcc, v39, v43, vcc
	v_mov_b32_e32 v39, v10
	s_nop 0
	v_addc_co_u32_e32 v41, vcc, 0, v41, vcc
	v_lshl_add_u64 v[38:39], v[38:39], 0, v[40:41]
	v_mul_lo_u32 v11, s27, v38
	v_mul_lo_u32 v21, s26, v39
	v_mad_u64_u32 v[40:41], s[0:1], s26, v38, 0
	v_add3_u32 v11, v41, v21, v11
	v_sub_u32_e32 v21, v29, v11
	v_mov_b32_e32 v41, s27
	v_sub_co_u32_e32 v31, vcc, v31, v40
	v_lshl_add_u64 v[42:43], v[38:39], 0, 1
	s_nop 0
	v_subb_co_u32_e64 v21, s[0:1], v21, v41, vcc
	v_subrev_co_u32_e64 v40, s[0:1], s26, v31
	v_subb_co_u32_e32 v11, vcc, v29, v11, vcc
	s_nop 0
	v_subbrev_co_u32_e64 v21, s[0:1], 0, v21, s[0:1]
	v_cmp_le_u32_e64 s[0:1], s27, v21
	v_cmp_le_u32_e32 vcc, s27, v11
	s_nop 0
	v_cndmask_b32_e64 v41, 0, -1, s[0:1]
	v_cmp_le_u32_e64 s[0:1], s26, v40
	v_cndmask_b32_e64 v29, 0, -1, vcc
	v_cmp_le_u32_e32 vcc, s26, v31
	v_cndmask_b32_e64 v40, 0, -1, s[0:1]
	v_cmp_eq_u32_e64 s[0:1], s27, v21
	v_cndmask_b32_e64 v31, 0, -1, vcc
	v_cmp_eq_u32_e32 vcc, s27, v11
	v_cndmask_b32_e64 v21, v41, v40, s[0:1]
	v_lshl_add_u64 v[40:41], v[38:39], 0, 2
	v_cmp_ne_u32_e64 s[0:1], 0, v21
	v_cndmask_b32_e32 v11, v29, v31, vcc
	v_cmp_ne_u32_e32 vcc, 0, v11
	v_cndmask_b32_e64 v21, v43, v41, s[0:1]
	v_xor_b32_e32 v29, s18, v30
	v_cndmask_b32_e32 v11, v39, v21, vcc
	v_cndmask_b32_e64 v21, v42, v40, s[0:1]
	v_cndmask_b32_e32 v21, v38, v21, vcc
	v_xor_b32_e32 v21, v21, v29
	v_xor_b32_e32 v11, v11, v29
	v_sub_co_u32_e32 v30, vcc, v21, v29
	s_nop 1
	v_subb_co_u32_e32 v31, vcc, v11, v29, vcc
.LBB169_15:                             ;   in Loop: Header=BB169_13 Depth=2
	s_andn2_saveexec_b64 s[0:1], s[24:25]
	s_cbranch_execz .LBB169_17
; %bb.16:                               ;   in Loop: Header=BB169_13 Depth=2
	v_cvt_f32_u32_e32 v11, s6
	s_sub_i32 s19, 0, s6
	v_mov_b32_e32 v31, v10
	v_rcp_iflag_f32_e32 v11, v11
	s_nop 0
	v_mul_f32_e32 v11, 0x4f7ffffe, v11
	v_cvt_u32_f32_e32 v11, v11
	v_mul_lo_u32 v21, s19, v11
	v_mul_hi_u32 v21, v11, v21
	v_add_u32_e32 v11, v11, v21
	v_mul_hi_u32 v11, v28, v11
	v_mul_lo_u32 v21, v11, s6
	v_sub_u32_e32 v21, v28, v21
	v_add_u32_e32 v29, 1, v11
	v_subrev_u32_e32 v30, s6, v21
	v_cmp_le_u32_e32 vcc, s6, v21
	s_nop 1
	v_cndmask_b32_e32 v21, v21, v30, vcc
	v_cndmask_b32_e32 v11, v11, v29, vcc
	v_add_u32_e32 v29, 1, v11
	v_cmp_le_u32_e32 vcc, s6, v21
	s_nop 1
	v_cndmask_b32_e32 v30, v11, v29, vcc
.LBB169_17:                             ;   in Loop: Header=BB169_13 Depth=2
	s_or_b64 exec, exec, s[0:1]
	v_cmp_eq_u64_e32 vcc, v[30:31], v[14:15]
	v_cmp_ne_u64_e64 s[0:1], v[30:31], v[14:15]
	s_and_saveexec_b64 s[24:25], s[0:1]
	s_xor_b64 s[24:25], exec, s[24:25]
; %bb.18:                               ;   in Loop: Header=BB169_13 Depth=2
	v_cmp_lt_i64_e64 s[0:1], v[30:31], v[16:17]
                                        ; implicit-def: $vgpr28_vgpr29
                                        ; implicit-def: $vgpr26_vgpr27
	s_nop 1
	v_cndmask_b32_e64 v17, v17, v31, s[0:1]
	v_cndmask_b32_e64 v16, v16, v30, s[0:1]
; %bb.19:                               ;   in Loop: Header=BB169_13 Depth=2
	s_or_saveexec_b64 s[0:1], s[24:25]
	v_mov_b64_e32 v[30:31], v[18:19]
	s_xor_b64 exec, exec, s[0:1]
	s_cbranch_execz .LBB169_12
; %bb.20:                               ;   in Loop: Header=BB169_13 Depth=2
	global_load_dwordx4 v[38:41], v[22:23], off
	v_sub_u32_e32 v11, v28, v20
	v_add_lshl_u32 v11, v33, v11, 4
	v_mov_b64_e32 v[30:31], v[26:27]
	ds_write_b8 v32, v37 offset:4096
	s_waitcnt vmcnt(0)
	ds_write2_b64 v11, v[38:39], v[40:41] offset1:1
	s_branch .LBB169_12
.LBB169_21:                             ;   in Loop: Header=BB169_10 Depth=1
	s_or_b64 exec, exec, s[22:23]
.LBB169_22:                             ;   in Loop: Header=BB169_10 Depth=1
	s_or_b64 exec, exec, s[20:21]
	v_mov_b32_dpp v18, v30 row_shr:1 row_mask:0xf bank_mask:0xf
	v_mov_b32_dpp v19, v31 row_shr:1 row_mask:0xf bank_mask:0xf
	v_cmp_lt_i64_e32 vcc, v[18:19], v[30:31]
	s_waitcnt lgkmcnt(0)
	s_nop 0
	v_cndmask_b32_e32 v19, v31, v19, vcc
	v_cndmask_b32_e32 v18, v30, v18, vcc
	s_nop 0
	v_mov_b32_dpp v21, v19 row_shr:2 row_mask:0xf bank_mask:0xf
	v_mov_b32_dpp v20, v18 row_shr:2 row_mask:0xf bank_mask:0xf
	v_cmp_lt_i64_e32 vcc, v[20:21], v[18:19]
	s_nop 1
	v_cndmask_b32_e32 v11, v19, v21, vcc
	ds_read_u8 v21, v32 offset:4096
	v_cndmask_b32_e32 v18, v18, v20, vcc
	ds_bpermute_b32 v18, v35, v18
	ds_bpermute_b32 v19, v35, v11
	s_waitcnt lgkmcnt(2)
	v_and_b32_e32 v11, 1, v21
	v_cmp_eq_u32_e32 vcc, 1, v11
	v_mov_b64_e32 v[20:21], 0
	s_and_saveexec_b64 s[0:1], vcc
	s_cbranch_execz .LBB169_9
; %bb.23:                               ;   in Loop: Header=BB169_10 Depth=1
	v_lshl_add_u64 v[14:15], v[14:15], 0, s[12:13]
	v_lshl_add_u64 v[20:21], v[6:7], 3, s[2:3]
	global_store_dwordx2 v[20:21], v[14:15], off
	s_and_saveexec_b64 s[20:21], s[4:5]
	s_cbranch_execz .LBB169_8
; %bb.24:                               ;   in Loop: Header=BB169_10 Depth=1
	ds_read2_b64 v[20:23], v34 offset1:1
	v_mul_lo_u32 v11, s30, v6
	v_mul_lo_u32 v24, s31, v7
	v_mad_u64_u32 v[14:15], s[22:23], s31, v6, 0
	v_add3_u32 v15, v15, v24, v11
	v_lshl_add_u64 v[14:15], v[14:15], 4, v[12:13]
	s_waitcnt lgkmcnt(0)
	global_store_dwordx4 v[14:15], v[20:23], off
	s_branch .LBB169_8
.LBB169_25:
	s_endpgm
	.section	.rodata,"a",@progbits
	.p2align	6, 0x0
	.amdhsa_kernel _ZN9rocsparseL42csr2bsr_wavefront_per_row_multipass_kernelILj256ELj16ELj4E21rocsparse_complex_numIdEllEEv20rocsparse_direction_T4_S4_S4_S4_S4_21rocsparse_index_base_PKT2_PKT3_PKS4_S5_PS6_PS9_PS4_
		.amdhsa_group_segment_fixed_size 4112
		.amdhsa_private_segment_fixed_size 0
		.amdhsa_kernarg_size 112
		.amdhsa_user_sgpr_count 2
		.amdhsa_user_sgpr_dispatch_ptr 0
		.amdhsa_user_sgpr_queue_ptr 0
		.amdhsa_user_sgpr_kernarg_segment_ptr 1
		.amdhsa_user_sgpr_dispatch_id 0
		.amdhsa_user_sgpr_kernarg_preload_length 0
		.amdhsa_user_sgpr_kernarg_preload_offset 0
		.amdhsa_user_sgpr_private_segment_size 0
		.amdhsa_uses_dynamic_stack 0
		.amdhsa_enable_private_segment 0
		.amdhsa_system_sgpr_workgroup_id_x 1
		.amdhsa_system_sgpr_workgroup_id_y 0
		.amdhsa_system_sgpr_workgroup_id_z 0
		.amdhsa_system_sgpr_workgroup_info 0
		.amdhsa_system_vgpr_workitem_id 0
		.amdhsa_next_free_vgpr 44
		.amdhsa_next_free_sgpr 32
		.amdhsa_accum_offset 44
		.amdhsa_reserve_vcc 1
		.amdhsa_float_round_mode_32 0
		.amdhsa_float_round_mode_16_64 0
		.amdhsa_float_denorm_mode_32 3
		.amdhsa_float_denorm_mode_16_64 3
		.amdhsa_dx10_clamp 1
		.amdhsa_ieee_mode 1
		.amdhsa_fp16_overflow 0
		.amdhsa_tg_split 0
		.amdhsa_exception_fp_ieee_invalid_op 0
		.amdhsa_exception_fp_denorm_src 0
		.amdhsa_exception_fp_ieee_div_zero 0
		.amdhsa_exception_fp_ieee_overflow 0
		.amdhsa_exception_fp_ieee_underflow 0
		.amdhsa_exception_fp_ieee_inexact 0
		.amdhsa_exception_int_div_zero 0
	.end_amdhsa_kernel
	.section	.text._ZN9rocsparseL42csr2bsr_wavefront_per_row_multipass_kernelILj256ELj16ELj4E21rocsparse_complex_numIdEllEEv20rocsparse_direction_T4_S4_S4_S4_S4_21rocsparse_index_base_PKT2_PKT3_PKS4_S5_PS6_PS9_PS4_,"axG",@progbits,_ZN9rocsparseL42csr2bsr_wavefront_per_row_multipass_kernelILj256ELj16ELj4E21rocsparse_complex_numIdEllEEv20rocsparse_direction_T4_S4_S4_S4_S4_21rocsparse_index_base_PKT2_PKT3_PKS4_S5_PS6_PS9_PS4_,comdat
.Lfunc_end169:
	.size	_ZN9rocsparseL42csr2bsr_wavefront_per_row_multipass_kernelILj256ELj16ELj4E21rocsparse_complex_numIdEllEEv20rocsparse_direction_T4_S4_S4_S4_S4_21rocsparse_index_base_PKT2_PKT3_PKS4_S5_PS6_PS9_PS4_, .Lfunc_end169-_ZN9rocsparseL42csr2bsr_wavefront_per_row_multipass_kernelILj256ELj16ELj4E21rocsparse_complex_numIdEllEEv20rocsparse_direction_T4_S4_S4_S4_S4_21rocsparse_index_base_PKT2_PKT3_PKS4_S5_PS6_PS9_PS4_
                                        ; -- End function
	.section	.AMDGPU.csdata,"",@progbits
; Kernel info:
; codeLenInByte = 2192
; NumSgprs: 38
; NumVgprs: 44
; NumAgprs: 0
; TotalNumVgprs: 44
; ScratchSize: 0
; MemoryBound: 0
; FloatMode: 240
; IeeeMode: 1
; LDSByteSize: 4112 bytes/workgroup (compile time only)
; SGPRBlocks: 4
; VGPRBlocks: 5
; NumSGPRsForWavesPerEU: 38
; NumVGPRsForWavesPerEU: 44
; AccumOffset: 44
; Occupancy: 8
; WaveLimiterHint : 0
; COMPUTE_PGM_RSRC2:SCRATCH_EN: 0
; COMPUTE_PGM_RSRC2:USER_SGPR: 2
; COMPUTE_PGM_RSRC2:TRAP_HANDLER: 0
; COMPUTE_PGM_RSRC2:TGID_X_EN: 1
; COMPUTE_PGM_RSRC2:TGID_Y_EN: 0
; COMPUTE_PGM_RSRC2:TGID_Z_EN: 0
; COMPUTE_PGM_RSRC2:TIDIG_COMP_CNT: 0
; COMPUTE_PGM_RSRC3_GFX90A:ACCUM_OFFSET: 10
; COMPUTE_PGM_RSRC3_GFX90A:TG_SPLIT: 0
	.section	.text._ZN9rocsparseL42csr2bsr_wavefront_per_row_multipass_kernelILj256ELj64ELj8E21rocsparse_complex_numIdEllEEv20rocsparse_direction_T4_S4_S4_S4_S4_21rocsparse_index_base_PKT2_PKT3_PKS4_S5_PS6_PS9_PS4_,"axG",@progbits,_ZN9rocsparseL42csr2bsr_wavefront_per_row_multipass_kernelILj256ELj64ELj8E21rocsparse_complex_numIdEllEEv20rocsparse_direction_T4_S4_S4_S4_S4_21rocsparse_index_base_PKT2_PKT3_PKS4_S5_PS6_PS9_PS4_,comdat
	.globl	_ZN9rocsparseL42csr2bsr_wavefront_per_row_multipass_kernelILj256ELj64ELj8E21rocsparse_complex_numIdEllEEv20rocsparse_direction_T4_S4_S4_S4_S4_21rocsparse_index_base_PKT2_PKT3_PKS4_S5_PS6_PS9_PS4_ ; -- Begin function _ZN9rocsparseL42csr2bsr_wavefront_per_row_multipass_kernelILj256ELj64ELj8E21rocsparse_complex_numIdEllEEv20rocsparse_direction_T4_S4_S4_S4_S4_21rocsparse_index_base_PKT2_PKT3_PKS4_S5_PS6_PS9_PS4_
	.p2align	8
	.type	_ZN9rocsparseL42csr2bsr_wavefront_per_row_multipass_kernelILj256ELj64ELj8E21rocsparse_complex_numIdEllEEv20rocsparse_direction_T4_S4_S4_S4_S4_21rocsparse_index_base_PKT2_PKT3_PKS4_S5_PS6_PS9_PS4_,@function
_ZN9rocsparseL42csr2bsr_wavefront_per_row_multipass_kernelILj256ELj64ELj8E21rocsparse_complex_numIdEllEEv20rocsparse_direction_T4_S4_S4_S4_S4_21rocsparse_index_base_PKT2_PKT3_PKS4_S5_PS6_PS9_PS4_: ; @_ZN9rocsparseL42csr2bsr_wavefront_per_row_multipass_kernelILj256ELj64ELj8E21rocsparse_complex_numIdEllEEv20rocsparse_direction_T4_S4_S4_S4_S4_21rocsparse_index_base_PKT2_PKT3_PKS4_S5_PS6_PS9_PS4_
; %bb.0:
	s_load_dwordx2 s[4:5], s[0:1], 0x8
	s_load_dwordx4 s[8:11], s[0:1], 0x18
	s_load_dwordx2 s[6:7], s[0:1], 0x28
	s_load_dword s30, s[0:1], 0x30
	s_load_dwordx2 s[12:13], s[0:1], 0x40
	s_ashr_i32 s3, s2, 31
	v_lshrrev_b32_e32 v32, 6, v0
	s_lshl_b64 s[14:15], s[2:3], 2
	v_bfe_u32 v2, v0, 3, 3
	v_mov_b32_e32 v3, 0
	v_or_b32_e32 v1, s14, v32
	s_waitcnt lgkmcnt(0)
	v_mul_lo_u32 v4, v1, s7
	v_mad_u64_u32 v[6:7], s[16:17], v1, s6, v[2:3]
	s_mul_i32 s3, s15, s6
	v_add3_u32 v7, s3, v7, v4
	v_cmp_gt_i64_e32 vcc, s[4:5], v[6:7]
	v_cmp_gt_i64_e64 s[4:5], s[6:7], v[2:3]
	v_mov_b64_e32 v[4:5], 0
	s_and_b64 s[14:15], s[4:5], vcc
	v_mov_b64_e32 v[18:19], v[4:5]
	s_and_saveexec_b64 s[16:17], s[14:15]
	s_cbranch_execz .LBB170_2
; %bb.1:
	v_lshl_add_u64 v[8:9], v[6:7], 3, s[12:13]
	global_load_dwordx2 v[8:9], v[8:9], off
	s_waitcnt vmcnt(0)
	v_subrev_co_u32_e32 v18, vcc, s30, v8
	s_nop 1
	v_subbrev_co_u32_e32 v19, vcc, 0, v9, vcc
.LBB170_2:
	s_or_b64 exec, exec, s[16:17]
	s_and_saveexec_b64 s[16:17], s[14:15]
	s_cbranch_execz .LBB170_4
; %bb.3:
	v_lshl_add_u64 v[4:5], v[6:7], 3, s[12:13]
	global_load_dwordx2 v[4:5], v[4:5], off offset:8
	s_waitcnt vmcnt(0)
	v_subrev_co_u32_e32 v4, vcc, s30, v4
	s_nop 1
	v_subbrev_co_u32_e32 v5, vcc, 0, v5, vcc
.LBB170_4:
	s_or_b64 exec, exec, s[16:17]
	s_load_dword s12, s[0:1], 0x50
	v_lshl_or_b32 v8, s2, 2, v32
	v_mov_b32_e32 v9, 0
	v_cmp_gt_i64_e32 vcc, s[8:9], v[8:9]
	v_mov_b64_e32 v[6:7], 0
	s_and_saveexec_b64 s[2:3], vcc
	s_cbranch_execz .LBB170_6
; %bb.5:
	s_load_dwordx2 s[8:9], s[0:1], 0x60
	s_waitcnt lgkmcnt(0)
	v_lshl_add_u64 v[6:7], v[8:9], 3, s[8:9]
	global_load_dwordx2 v[6:7], v[6:7], off
	s_waitcnt vmcnt(0)
	v_subrev_co_u32_e32 v6, vcc, s12, v6
	s_nop 1
	v_subbrev_co_u32_e32 v7, vcc, 0, v7, vcc
.LBB170_6:
	s_or_b64 exec, exec, s[2:3]
	v_cmp_lt_i64_e64 s[2:3], s[10:11], 1
	s_and_b64 vcc, exec, s[2:3]
	s_cbranch_vccnz .LBB170_25
; %bb.7:
	v_and_b32_e32 v8, 7, v0
	v_and_b32_e32 v0, 0xc0, v0
	v_lshl_or_b32 v33, v2, 3, v0
	v_or_b32_e32 v0, v33, v8
	v_lshlrev_b32_e32 v34, 4, v0
	v_mbcnt_lo_u32_b32 v0, -1, 0
	v_mbcnt_hi_u32_b32 v0, -1, v0
	s_load_dwordx2 s[2:3], s[0:1], 0x68
	s_load_dwordx2 s[16:17], s[0:1], 0x58
	;; [unrolled: 1-line block ×4, first 2 shown]
	s_load_dword s18, s[0:1], 0x0
	v_lshlrev_b32_e32 v11, 2, v0
	v_mad_u64_u32 v[0:1], s[0:1], v8, s6, 0
	v_mov_b32_e32 v12, v1
	v_mad_u64_u32 v[12:13], s[0:1], v8, s7, v[12:13]
	v_mov_b32_e32 v10, 0
	v_mov_b32_e32 v1, v12
	s_waitcnt lgkmcnt(0)
	v_lshl_add_u64 v[0:1], v[0:1], 4, s[16:17]
	v_lshlrev_b32_e32 v12, 4, v2
	v_mov_b32_e32 v13, v10
	v_lshl_add_u64 v[0:1], v[0:1], 0, v[12:13]
	v_mad_u64_u32 v[12:13], s[0:1], v2, s6, 0
	v_mov_b32_e32 v9, v10
	v_mov_b32_e32 v14, v13
	v_cmp_gt_i64_e32 vcc, s[6:7], v[8:9]
	v_mad_u64_u32 v[2:3], s[0:1], v2, s7, v[14:15]
	s_and_b64 s[4:5], s[4:5], vcc
	v_mov_b32_e32 v13, v2
	s_cmp_eq_u32 s18, 0
	s_mul_i32 s18, s6, s7
	s_mul_hi_u32 s19, s6, s6
	v_lshl_add_u64 v[2:3], v[12:13], 4, s[16:17]
	v_lshlrev_b32_e32 v12, 4, v8
	v_mov_b32_e32 v13, v10
	s_mov_b32 s31, 0
	v_lshl_add_u64 v[2:3], v[2:3], 0, v[12:13]
	s_cselect_b64 vcc, -1, 0
	s_add_i32 s0, s19, s18
	v_or_b32_e32 v35, 28, v11
	s_mov_b32 s13, s31
	s_add_i32 s33, s0, s18
	s_mul_i32 s34, s6, s6
	v_or_b32_e32 v36, 0xfc, v11
	v_cndmask_b32_e32 v13, v1, v3, vcc
	v_cndmask_b32_e32 v12, v0, v2, vcc
	s_mov_b64 s[16:17], 0
	v_mov_b64_e32 v[14:15], 0
	v_mov_b32_e32 v0, 0
	v_mov_b32_e32 v1, v10
	;; [unrolled: 1-line block ×4, first 2 shown]
	s_ashr_i32 s18, s7, 31
	s_mov_b64 s[20:21], 0x80
	v_mov_b32_e32 v37, 1
	s_branch .LBB170_10
.LBB170_8:                              ;   in Loop: Header=BB170_10 Depth=1
	s_or_b64 exec, exec, s[22:23]
	v_mov_b64_e32 v[20:21], 1
.LBB170_9:                              ;   in Loop: Header=BB170_10 Depth=1
	s_or_b64 exec, exec, s[0:1]
	v_mov_b32_dpp v14, v16 row_shr:1 row_mask:0xf bank_mask:0xf
	v_mov_b32_dpp v15, v17 row_shr:1 row_mask:0xf bank_mask:0xf
	v_cmp_lt_i64_e32 vcc, v[14:15], v[16:17]
	v_lshl_add_u64 v[6:7], v[20:21], 0, v[6:7]
	s_waitcnt lgkmcnt(0)
	v_cndmask_b32_e32 v15, v17, v15, vcc
	v_cndmask_b32_e32 v14, v16, v14, vcc
	s_nop 0
	v_mov_b32_dpp v17, v15 row_shr:2 row_mask:0xf bank_mask:0xf
	v_mov_b32_dpp v16, v14 row_shr:2 row_mask:0xf bank_mask:0xf
	v_cmp_lt_i64_e32 vcc, v[16:17], v[14:15]
	s_nop 1
	v_cndmask_b32_e32 v15, v15, v17, vcc
	v_cndmask_b32_e32 v14, v14, v16, vcc
	s_nop 0
	v_mov_b32_dpp v17, v15 row_shr:4 row_mask:0xf bank_mask:0xe
	v_mov_b32_dpp v16, v14 row_shr:4 row_mask:0xf bank_mask:0xe
	v_cmp_lt_i64_e32 vcc, v[16:17], v[14:15]
	s_nop 1
	v_cndmask_b32_e32 v15, v15, v17, vcc
	v_cndmask_b32_e32 v14, v14, v16, vcc
	s_nop 0
	v_mov_b32_dpp v17, v15 row_shr:8 row_mask:0xf bank_mask:0xc
	v_mov_b32_dpp v16, v14 row_shr:8 row_mask:0xf bank_mask:0xc
	v_cmp_lt_i64_e32 vcc, v[16:17], v[14:15]
	s_nop 1
	v_cndmask_b32_e32 v15, v15, v17, vcc
	v_cndmask_b32_e32 v14, v14, v16, vcc
	s_nop 0
	v_mov_b32_dpp v17, v15 row_bcast:15 row_mask:0xa bank_mask:0xf
	v_mov_b32_dpp v16, v14 row_bcast:15 row_mask:0xa bank_mask:0xf
	v_cmp_lt_i64_e32 vcc, v[16:17], v[14:15]
	s_nop 1
	v_cndmask_b32_e32 v15, v15, v17, vcc
	v_cndmask_b32_e32 v14, v14, v16, vcc
	s_nop 0
	v_mov_b32_dpp v17, v15 row_bcast:31 row_mask:0xc bank_mask:0xf
	v_mov_b32_dpp v16, v14 row_bcast:31 row_mask:0xc bank_mask:0xf
	v_cmp_lt_i64_e32 vcc, v[16:17], v[14:15]
	s_nop 1
	v_cndmask_b32_e32 v11, v15, v17, vcc
	v_cndmask_b32_e32 v14, v14, v16, vcc
	ds_bpermute_b32 v14, v36, v14
	ds_bpermute_b32 v15, v36, v11
	s_waitcnt lgkmcnt(0)
	v_cmp_le_i64_e32 vcc, s[10:11], v[14:15]
	s_or_b64 s[16:17], vcc, s[16:17]
	s_andn2_b64 exec, exec, s[16:17]
	s_cbranch_execz .LBB170_25
.LBB170_10:                             ; =>This Loop Header: Depth=1
                                        ;     Child Loop BB170_13 Depth 2
	v_lshl_add_u64 v[18:19], v[18:19], 0, v[8:9]
	v_cmp_lt_i64_e32 vcc, v[18:19], v[4:5]
	v_mov_b64_e32 v[16:17], s[10:11]
	v_mov_b64_e32 v[30:31], v[4:5]
	ds_write_b8 v32, v10 offset:4096
	ds_write_b128 v34, v[0:3]
	s_waitcnt lgkmcnt(0)
	s_and_saveexec_b64 s[22:23], vcc
	s_cbranch_execz .LBB170_22
; %bb.11:                               ;   in Loop: Header=BB170_10 Depth=1
	v_mad_u64_u32 v[20:21], s[0:1], v14, s6, 0
	v_lshl_add_u64 v[22:23], v[18:19], 4, s[14:15]
	v_lshl_add_u64 v[24:25], v[18:19], 3, s[8:9]
	s_mov_b64 s[24:25], 0
	v_mov_b64_e32 v[16:17], s[10:11]
	v_mov_b64_e32 v[26:27], v[4:5]
	s_branch .LBB170_13
.LBB170_12:                             ;   in Loop: Header=BB170_13 Depth=2
	s_or_b64 exec, exec, s[0:1]
	v_lshl_add_u64 v[18:19], v[18:19], 0, 8
	v_cmp_ge_i64_e64 s[0:1], v[18:19], v[4:5]
	s_xor_b64 s[26:27], vcc, -1
	s_or_b64 s[0:1], s[26:27], s[0:1]
	s_and_b64 s[0:1], exec, s[0:1]
	v_lshl_add_u64 v[22:23], v[22:23], 0, s[20:21]
	v_lshl_add_u64 v[24:25], v[24:25], 0, 64
	s_or_b64 s[24:25], s[0:1], s[24:25]
	v_mov_b64_e32 v[26:27], v[30:31]
	s_andn2_b64 exec, exec, s[24:25]
	s_cbranch_execz .LBB170_21
.LBB170_13:                             ;   Parent Loop BB170_10 Depth=1
                                        ; =>  This Inner Loop Header: Depth=2
	global_load_dwordx2 v[28:29], v[24:25], off
	v_mov_b32_e32 v11, s31
                                        ; implicit-def: $vgpr30_vgpr31
	s_waitcnt vmcnt(0)
	v_subrev_co_u32_e32 v28, vcc, s30, v28
	s_nop 1
	v_subb_co_u32_e32 v29, vcc, v29, v11, vcc
	v_or_b32_e32 v11, s7, v29
	v_cmp_ne_u64_e32 vcc, 0, v[10:11]
	s_and_saveexec_b64 s[0:1], vcc
	s_xor_b64 s[26:27], exec, s[0:1]
	s_cbranch_execz .LBB170_15
; %bb.14:                               ;   in Loop: Header=BB170_13 Depth=2
	s_add_u32 s0, s6, s18
	s_mov_b32 s19, s18
	s_addc_u32 s1, s7, s18
	s_xor_b64 s[28:29], s[0:1], s[18:19]
	v_cvt_f32_u32_e32 v11, s28
	v_cvt_f32_u32_e32 v21, s29
	s_sub_u32 s0, 0, s28
	s_subb_u32 s1, 0, s29
	v_mov_b32_e32 v39, v10
	v_fmac_f32_e32 v11, 0x4f800000, v21
	v_rcp_f32_e32 v11, v11
	s_nop 0
	v_mul_f32_e32 v11, 0x5f7ffffc, v11
	v_mul_f32_e32 v21, 0x2f800000, v11
	v_trunc_f32_e32 v21, v21
	v_fmac_f32_e32 v11, 0xcf800000, v21
	v_cvt_u32_f32_e32 v21, v21
	v_cvt_u32_f32_e32 v11, v11
	v_mul_lo_u32 v30, s0, v21
	v_mul_hi_u32 v38, s0, v11
	v_mul_lo_u32 v31, s1, v11
	v_add_u32_e32 v30, v38, v30
	v_mul_lo_u32 v40, s0, v11
	v_add_u32_e32 v41, v30, v31
	v_mul_hi_u32 v31, v11, v41
	v_mul_lo_u32 v30, v11, v41
	v_mul_hi_u32 v38, v11, v40
	v_lshl_add_u64 v[30:31], v[38:39], 0, v[30:31]
	v_mul_hi_u32 v39, v21, v40
	v_mul_lo_u32 v40, v21, v40
	v_add_co_u32_e32 v30, vcc, v30, v40
	v_mul_hi_u32 v38, v21, v41
	s_nop 0
	v_addc_co_u32_e32 v30, vcc, v31, v39, vcc
	v_mov_b32_e32 v31, v10
	s_nop 0
	v_addc_co_u32_e32 v39, vcc, 0, v38, vcc
	v_mul_lo_u32 v38, v21, v41
	v_lshl_add_u64 v[30:31], v[30:31], 0, v[38:39]
	v_add_co_u32_e32 v11, vcc, v11, v30
	v_mul_lo_u32 v38, s0, v11
	s_nop 0
	v_addc_co_u32_e32 v21, vcc, v21, v31, vcc
	v_mul_lo_u32 v30, s0, v21
	v_mul_hi_u32 v31, s0, v11
	v_add_u32_e32 v30, v31, v30
	v_mul_lo_u32 v31, s1, v11
	v_add_u32_e32 v40, v30, v31
	v_mul_hi_u32 v42, v21, v38
	v_mul_lo_u32 v43, v21, v38
	v_mul_hi_u32 v31, v11, v40
	v_mul_lo_u32 v30, v11, v40
	v_mul_hi_u32 v38, v11, v38
	v_mov_b32_e32 v39, v10
	v_lshl_add_u64 v[30:31], v[38:39], 0, v[30:31]
	v_add_co_u32_e32 v30, vcc, v30, v43
	v_mul_hi_u32 v41, v21, v40
	s_nop 0
	v_addc_co_u32_e32 v30, vcc, v31, v42, vcc
	v_mul_lo_u32 v38, v21, v40
	s_nop 0
	v_addc_co_u32_e32 v39, vcc, 0, v41, vcc
	v_mov_b32_e32 v31, v10
	v_lshl_add_u64 v[30:31], v[30:31], 0, v[38:39]
	v_add_co_u32_e32 v11, vcc, v11, v30
	v_ashrrev_i32_e32 v30, 31, v29
	s_nop 0
	v_addc_co_u32_e32 v21, vcc, v21, v31, vcc
	v_mov_b32_e32 v31, v30
	v_lshl_add_u64 v[38:39], v[28:29], 0, v[30:31]
	v_xor_b32_e32 v31, v38, v30
	v_xor_b32_e32 v29, v39, v30
	v_mad_u64_u32 v[38:39], s[0:1], v31, v21, 0
	v_mul_hi_u32 v40, v31, v11
	v_mov_b32_e32 v41, v10
	v_lshl_add_u64 v[38:39], v[40:41], 0, v[38:39]
	v_mad_u64_u32 v[42:43], s[0:1], v29, v11, 0
	v_add_co_u32_e32 v11, vcc, v38, v42
	v_mad_u64_u32 v[40:41], s[0:1], v29, v21, 0
	s_nop 0
	v_addc_co_u32_e32 v38, vcc, v39, v43, vcc
	v_mov_b32_e32 v39, v10
	s_nop 0
	v_addc_co_u32_e32 v41, vcc, 0, v41, vcc
	v_lshl_add_u64 v[38:39], v[38:39], 0, v[40:41]
	v_mul_lo_u32 v11, s29, v38
	v_mul_lo_u32 v21, s28, v39
	v_mad_u64_u32 v[40:41], s[0:1], s28, v38, 0
	v_add3_u32 v11, v41, v21, v11
	v_sub_u32_e32 v21, v29, v11
	v_mov_b32_e32 v41, s29
	v_sub_co_u32_e32 v31, vcc, v31, v40
	v_lshl_add_u64 v[42:43], v[38:39], 0, 1
	s_nop 0
	v_subb_co_u32_e64 v21, s[0:1], v21, v41, vcc
	v_subrev_co_u32_e64 v40, s[0:1], s28, v31
	v_subb_co_u32_e32 v11, vcc, v29, v11, vcc
	s_nop 0
	v_subbrev_co_u32_e64 v21, s[0:1], 0, v21, s[0:1]
	v_cmp_le_u32_e64 s[0:1], s29, v21
	v_cmp_le_u32_e32 vcc, s29, v11
	s_nop 0
	v_cndmask_b32_e64 v41, 0, -1, s[0:1]
	v_cmp_le_u32_e64 s[0:1], s28, v40
	v_cndmask_b32_e64 v29, 0, -1, vcc
	v_cmp_le_u32_e32 vcc, s28, v31
	v_cndmask_b32_e64 v40, 0, -1, s[0:1]
	v_cmp_eq_u32_e64 s[0:1], s29, v21
	v_cndmask_b32_e64 v31, 0, -1, vcc
	v_cmp_eq_u32_e32 vcc, s29, v11
	v_cndmask_b32_e64 v21, v41, v40, s[0:1]
	v_lshl_add_u64 v[40:41], v[38:39], 0, 2
	v_cmp_ne_u32_e64 s[0:1], 0, v21
	v_cndmask_b32_e32 v11, v29, v31, vcc
	v_cmp_ne_u32_e32 vcc, 0, v11
	v_cndmask_b32_e64 v21, v43, v41, s[0:1]
	v_xor_b32_e32 v29, s18, v30
	v_cndmask_b32_e32 v11, v39, v21, vcc
	v_cndmask_b32_e64 v21, v42, v40, s[0:1]
	v_cndmask_b32_e32 v21, v38, v21, vcc
	v_xor_b32_e32 v21, v21, v29
	v_xor_b32_e32 v11, v11, v29
	v_sub_co_u32_e32 v30, vcc, v21, v29
	s_nop 1
	v_subb_co_u32_e32 v31, vcc, v11, v29, vcc
.LBB170_15:                             ;   in Loop: Header=BB170_13 Depth=2
	s_andn2_saveexec_b64 s[0:1], s[26:27]
	s_cbranch_execz .LBB170_17
; %bb.16:                               ;   in Loop: Header=BB170_13 Depth=2
	v_cvt_f32_u32_e32 v11, s6
	s_sub_i32 s19, 0, s6
	v_mov_b32_e32 v31, v10
	v_rcp_iflag_f32_e32 v11, v11
	s_nop 0
	v_mul_f32_e32 v11, 0x4f7ffffe, v11
	v_cvt_u32_f32_e32 v11, v11
	v_mul_lo_u32 v21, s19, v11
	v_mul_hi_u32 v21, v11, v21
	v_add_u32_e32 v11, v11, v21
	v_mul_hi_u32 v11, v28, v11
	v_mul_lo_u32 v21, v11, s6
	v_sub_u32_e32 v21, v28, v21
	v_add_u32_e32 v29, 1, v11
	v_subrev_u32_e32 v30, s6, v21
	v_cmp_le_u32_e32 vcc, s6, v21
	s_nop 1
	v_cndmask_b32_e32 v21, v21, v30, vcc
	v_cndmask_b32_e32 v11, v11, v29, vcc
	v_add_u32_e32 v29, 1, v11
	v_cmp_le_u32_e32 vcc, s6, v21
	s_nop 1
	v_cndmask_b32_e32 v30, v11, v29, vcc
.LBB170_17:                             ;   in Loop: Header=BB170_13 Depth=2
	s_or_b64 exec, exec, s[0:1]
	v_cmp_eq_u64_e32 vcc, v[30:31], v[14:15]
	v_cmp_ne_u64_e64 s[0:1], v[30:31], v[14:15]
	s_and_saveexec_b64 s[26:27], s[0:1]
	s_xor_b64 s[26:27], exec, s[26:27]
; %bb.18:                               ;   in Loop: Header=BB170_13 Depth=2
	v_cmp_lt_i64_e64 s[0:1], v[30:31], v[16:17]
                                        ; implicit-def: $vgpr28_vgpr29
                                        ; implicit-def: $vgpr26_vgpr27
	s_nop 1
	v_cndmask_b32_e64 v17, v17, v31, s[0:1]
	v_cndmask_b32_e64 v16, v16, v30, s[0:1]
; %bb.19:                               ;   in Loop: Header=BB170_13 Depth=2
	s_or_saveexec_b64 s[0:1], s[26:27]
	v_mov_b64_e32 v[30:31], v[18:19]
	s_xor_b64 exec, exec, s[0:1]
	s_cbranch_execz .LBB170_12
; %bb.20:                               ;   in Loop: Header=BB170_13 Depth=2
	global_load_dwordx4 v[38:41], v[22:23], off
	v_sub_u32_e32 v11, v28, v20
	v_add_lshl_u32 v11, v33, v11, 4
	v_mov_b64_e32 v[30:31], v[26:27]
	ds_write_b8 v32, v37 offset:4096
	s_waitcnt vmcnt(0)
	ds_write2_b64 v11, v[38:39], v[40:41] offset1:1
	s_branch .LBB170_12
.LBB170_21:                             ;   in Loop: Header=BB170_10 Depth=1
	s_or_b64 exec, exec, s[24:25]
.LBB170_22:                             ;   in Loop: Header=BB170_10 Depth=1
	s_or_b64 exec, exec, s[22:23]
	v_mov_b32_dpp v18, v30 row_shr:1 row_mask:0xf bank_mask:0xf
	v_mov_b32_dpp v19, v31 row_shr:1 row_mask:0xf bank_mask:0xf
	v_cmp_lt_i64_e32 vcc, v[18:19], v[30:31]
	s_waitcnt lgkmcnt(0)
	s_nop 0
	v_cndmask_b32_e32 v19, v31, v19, vcc
	v_cndmask_b32_e32 v18, v30, v18, vcc
	s_nop 0
	v_mov_b32_dpp v21, v19 row_shr:2 row_mask:0xf bank_mask:0xf
	v_mov_b32_dpp v20, v18 row_shr:2 row_mask:0xf bank_mask:0xf
	v_cmp_lt_i64_e32 vcc, v[20:21], v[18:19]
	s_nop 1
	v_cndmask_b32_e32 v19, v19, v21, vcc
	v_cndmask_b32_e32 v18, v18, v20, vcc
	s_nop 0
	v_mov_b32_dpp v21, v19 row_shr:4 row_mask:0xf bank_mask:0xe
	v_mov_b32_dpp v20, v18 row_shr:4 row_mask:0xf bank_mask:0xe
	v_cmp_lt_i64_e32 vcc, v[20:21], v[18:19]
	s_nop 1
	v_cndmask_b32_e32 v11, v19, v21, vcc
	ds_read_u8 v21, v32 offset:4096
	v_cndmask_b32_e32 v18, v18, v20, vcc
	ds_bpermute_b32 v18, v35, v18
	ds_bpermute_b32 v19, v35, v11
	s_waitcnt lgkmcnt(2)
	v_and_b32_e32 v11, 1, v21
	v_cmp_eq_u32_e32 vcc, 1, v11
	v_mov_b64_e32 v[20:21], 0
	s_and_saveexec_b64 s[0:1], vcc
	s_cbranch_execz .LBB170_9
; %bb.23:                               ;   in Loop: Header=BB170_10 Depth=1
	v_lshl_add_u64 v[14:15], v[14:15], 0, s[12:13]
	v_lshl_add_u64 v[20:21], v[6:7], 3, s[2:3]
	global_store_dwordx2 v[20:21], v[14:15], off
	s_and_saveexec_b64 s[22:23], s[4:5]
	s_cbranch_execz .LBB170_8
; %bb.24:                               ;   in Loop: Header=BB170_10 Depth=1
	ds_read2_b64 v[20:23], v34 offset1:1
	v_mul_lo_u32 v11, s33, v6
	v_mul_lo_u32 v24, s34, v7
	v_mad_u64_u32 v[14:15], s[24:25], s34, v6, 0
	v_add3_u32 v15, v15, v24, v11
	v_lshl_add_u64 v[14:15], v[14:15], 4, v[12:13]
	s_waitcnt lgkmcnt(0)
	global_store_dwordx4 v[14:15], v[20:23], off
	s_branch .LBB170_8
.LBB170_25:
	s_endpgm
	.section	.rodata,"a",@progbits
	.p2align	6, 0x0
	.amdhsa_kernel _ZN9rocsparseL42csr2bsr_wavefront_per_row_multipass_kernelILj256ELj64ELj8E21rocsparse_complex_numIdEllEEv20rocsparse_direction_T4_S4_S4_S4_S4_21rocsparse_index_base_PKT2_PKT3_PKS4_S5_PS6_PS9_PS4_
		.amdhsa_group_segment_fixed_size 4104
		.amdhsa_private_segment_fixed_size 0
		.amdhsa_kernarg_size 112
		.amdhsa_user_sgpr_count 2
		.amdhsa_user_sgpr_dispatch_ptr 0
		.amdhsa_user_sgpr_queue_ptr 0
		.amdhsa_user_sgpr_kernarg_segment_ptr 1
		.amdhsa_user_sgpr_dispatch_id 0
		.amdhsa_user_sgpr_kernarg_preload_length 0
		.amdhsa_user_sgpr_kernarg_preload_offset 0
		.amdhsa_user_sgpr_private_segment_size 0
		.amdhsa_uses_dynamic_stack 0
		.amdhsa_enable_private_segment 0
		.amdhsa_system_sgpr_workgroup_id_x 1
		.amdhsa_system_sgpr_workgroup_id_y 0
		.amdhsa_system_sgpr_workgroup_id_z 0
		.amdhsa_system_sgpr_workgroup_info 0
		.amdhsa_system_vgpr_workitem_id 0
		.amdhsa_next_free_vgpr 44
		.amdhsa_next_free_sgpr 35
		.amdhsa_accum_offset 44
		.amdhsa_reserve_vcc 1
		.amdhsa_float_round_mode_32 0
		.amdhsa_float_round_mode_16_64 0
		.amdhsa_float_denorm_mode_32 3
		.amdhsa_float_denorm_mode_16_64 3
		.amdhsa_dx10_clamp 1
		.amdhsa_ieee_mode 1
		.amdhsa_fp16_overflow 0
		.amdhsa_tg_split 0
		.amdhsa_exception_fp_ieee_invalid_op 0
		.amdhsa_exception_fp_denorm_src 0
		.amdhsa_exception_fp_ieee_div_zero 0
		.amdhsa_exception_fp_ieee_overflow 0
		.amdhsa_exception_fp_ieee_underflow 0
		.amdhsa_exception_fp_ieee_inexact 0
		.amdhsa_exception_int_div_zero 0
	.end_amdhsa_kernel
	.section	.text._ZN9rocsparseL42csr2bsr_wavefront_per_row_multipass_kernelILj256ELj64ELj8E21rocsparse_complex_numIdEllEEv20rocsparse_direction_T4_S4_S4_S4_S4_21rocsparse_index_base_PKT2_PKT3_PKS4_S5_PS6_PS9_PS4_,"axG",@progbits,_ZN9rocsparseL42csr2bsr_wavefront_per_row_multipass_kernelILj256ELj64ELj8E21rocsparse_complex_numIdEllEEv20rocsparse_direction_T4_S4_S4_S4_S4_21rocsparse_index_base_PKT2_PKT3_PKS4_S5_PS6_PS9_PS4_,comdat
.Lfunc_end170:
	.size	_ZN9rocsparseL42csr2bsr_wavefront_per_row_multipass_kernelILj256ELj64ELj8E21rocsparse_complex_numIdEllEEv20rocsparse_direction_T4_S4_S4_S4_S4_21rocsparse_index_base_PKT2_PKT3_PKS4_S5_PS6_PS9_PS4_, .Lfunc_end170-_ZN9rocsparseL42csr2bsr_wavefront_per_row_multipass_kernelILj256ELj64ELj8E21rocsparse_complex_numIdEllEEv20rocsparse_direction_T4_S4_S4_S4_S4_21rocsparse_index_base_PKT2_PKT3_PKS4_S5_PS6_PS9_PS4_
                                        ; -- End function
	.section	.AMDGPU.csdata,"",@progbits
; Kernel info:
; codeLenInByte = 2312
; NumSgprs: 41
; NumVgprs: 44
; NumAgprs: 0
; TotalNumVgprs: 44
; ScratchSize: 0
; MemoryBound: 0
; FloatMode: 240
; IeeeMode: 1
; LDSByteSize: 4104 bytes/workgroup (compile time only)
; SGPRBlocks: 5
; VGPRBlocks: 5
; NumSGPRsForWavesPerEU: 41
; NumVGPRsForWavesPerEU: 44
; AccumOffset: 44
; Occupancy: 8
; WaveLimiterHint : 0
; COMPUTE_PGM_RSRC2:SCRATCH_EN: 0
; COMPUTE_PGM_RSRC2:USER_SGPR: 2
; COMPUTE_PGM_RSRC2:TRAP_HANDLER: 0
; COMPUTE_PGM_RSRC2:TGID_X_EN: 1
; COMPUTE_PGM_RSRC2:TGID_Y_EN: 0
; COMPUTE_PGM_RSRC2:TGID_Z_EN: 0
; COMPUTE_PGM_RSRC2:TIDIG_COMP_CNT: 0
; COMPUTE_PGM_RSRC3_GFX90A:ACCUM_OFFSET: 10
; COMPUTE_PGM_RSRC3_GFX90A:TG_SPLIT: 0
	.section	.text._ZN9rocsparseL42csr2bsr_wavefront_per_row_multipass_kernelILj256ELj32ELj8E21rocsparse_complex_numIdEllEEv20rocsparse_direction_T4_S4_S4_S4_S4_21rocsparse_index_base_PKT2_PKT3_PKS4_S5_PS6_PS9_PS4_,"axG",@progbits,_ZN9rocsparseL42csr2bsr_wavefront_per_row_multipass_kernelILj256ELj32ELj8E21rocsparse_complex_numIdEllEEv20rocsparse_direction_T4_S4_S4_S4_S4_21rocsparse_index_base_PKT2_PKT3_PKS4_S5_PS6_PS9_PS4_,comdat
	.globl	_ZN9rocsparseL42csr2bsr_wavefront_per_row_multipass_kernelILj256ELj32ELj8E21rocsparse_complex_numIdEllEEv20rocsparse_direction_T4_S4_S4_S4_S4_21rocsparse_index_base_PKT2_PKT3_PKS4_S5_PS6_PS9_PS4_ ; -- Begin function _ZN9rocsparseL42csr2bsr_wavefront_per_row_multipass_kernelILj256ELj32ELj8E21rocsparse_complex_numIdEllEEv20rocsparse_direction_T4_S4_S4_S4_S4_21rocsparse_index_base_PKT2_PKT3_PKS4_S5_PS6_PS9_PS4_
	.p2align	8
	.type	_ZN9rocsparseL42csr2bsr_wavefront_per_row_multipass_kernelILj256ELj32ELj8E21rocsparse_complex_numIdEllEEv20rocsparse_direction_T4_S4_S4_S4_S4_21rocsparse_index_base_PKT2_PKT3_PKS4_S5_PS6_PS9_PS4_,@function
_ZN9rocsparseL42csr2bsr_wavefront_per_row_multipass_kernelILj256ELj32ELj8E21rocsparse_complex_numIdEllEEv20rocsparse_direction_T4_S4_S4_S4_S4_21rocsparse_index_base_PKT2_PKT3_PKS4_S5_PS6_PS9_PS4_: ; @_ZN9rocsparseL42csr2bsr_wavefront_per_row_multipass_kernelILj256ELj32ELj8E21rocsparse_complex_numIdEllEEv20rocsparse_direction_T4_S4_S4_S4_S4_21rocsparse_index_base_PKT2_PKT3_PKS4_S5_PS6_PS9_PS4_
; %bb.0:
	s_load_dwordx2 s[4:5], s[0:1], 0x8
	s_load_dwordx4 s[8:11], s[0:1], 0x18
	s_load_dwordx2 s[6:7], s[0:1], 0x28
	s_load_dword s33, s[0:1], 0x30
	s_load_dwordx2 s[12:13], s[0:1], 0x40
	s_ashr_i32 s3, s2, 31
	v_lshrrev_b32_e32 v38, 5, v0
	s_lshl_b64 s[14:15], s[2:3], 3
	v_bfe_u32 v2, v0, 2, 3
	v_mov_b32_e32 v3, 0
	v_or_b32_e32 v1, s14, v38
	s_waitcnt lgkmcnt(0)
	v_mul_lo_u32 v4, v1, s7
	v_mad_u64_u32 v[6:7], s[16:17], v1, s6, v[2:3]
	s_mul_i32 s3, s15, s6
	v_add3_u32 v7, s3, v7, v4
	v_cmp_gt_i64_e32 vcc, s[4:5], v[6:7]
	v_cmp_gt_i64_e64 s[4:5], s[6:7], v[2:3]
	v_mov_b64_e32 v[4:5], 0
	s_and_b64 s[14:15], s[4:5], vcc
	v_mov_b64_e32 v[24:25], v[4:5]
	s_and_saveexec_b64 s[16:17], s[14:15]
	s_cbranch_execz .LBB171_2
; %bb.1:
	v_lshl_add_u64 v[8:9], v[6:7], 3, s[12:13]
	global_load_dwordx2 v[8:9], v[8:9], off
	s_waitcnt vmcnt(0)
	v_subrev_co_u32_e32 v24, vcc, s33, v8
	s_nop 1
	v_subbrev_co_u32_e32 v25, vcc, 0, v9, vcc
.LBB171_2:
	s_or_b64 exec, exec, s[16:17]
	s_and_saveexec_b64 s[16:17], s[14:15]
	s_cbranch_execz .LBB171_4
; %bb.3:
	v_lshl_add_u64 v[4:5], v[6:7], 3, s[12:13]
	global_load_dwordx2 v[4:5], v[4:5], off offset:8
	s_waitcnt vmcnt(0)
	v_subrev_co_u32_e32 v4, vcc, s33, v4
	s_nop 1
	v_subbrev_co_u32_e32 v5, vcc, 0, v5, vcc
.LBB171_4:
	s_or_b64 exec, exec, s[16:17]
	s_load_dword s12, s[0:1], 0x50
	v_lshl_or_b32 v8, s2, 3, v38
	v_mov_b32_e32 v9, 0
	v_cmp_gt_i64_e32 vcc, s[8:9], v[8:9]
	v_mov_b64_e32 v[6:7], 0
	s_and_saveexec_b64 s[2:3], vcc
	s_cbranch_execz .LBB171_6
; %bb.5:
	s_load_dwordx2 s[8:9], s[0:1], 0x60
	s_waitcnt lgkmcnt(0)
	v_lshl_add_u64 v[6:7], v[8:9], 3, s[8:9]
	global_load_dwordx2 v[6:7], v[6:7], off
	s_waitcnt vmcnt(0)
	v_subrev_co_u32_e32 v6, vcc, s12, v6
	s_nop 1
	v_subbrev_co_u32_e32 v7, vcc, 0, v7, vcc
.LBB171_6:
	s_or_b64 exec, exec, s[2:3]
	v_cmp_lt_i64_e64 s[2:3], s[10:11], 1
	s_and_b64 vcc, exec, s[2:3]
	s_cbranch_vccnz .LBB171_34
; %bb.7:
	v_and_b32_e32 v12, 3, v0
	v_lshlrev_b32_e32 v0, 6, v38
	s_mul_i32 s8, s6, s7
	s_mul_hi_u32 s9, s6, s6
	v_lshl_or_b32 v39, v2, 3, v0
	v_mbcnt_lo_u32_b32 v0, -1, 0
	s_load_dwordx2 s[2:3], s[0:1], 0x68
	s_load_dwordx2 s[18:19], s[0:1], 0x58
	s_add_i32 s9, s9, s8
	v_mbcnt_hi_u32_b32 v0, -1, v0
	s_add_i32 s34, s9, s8
	s_load_dwordx2 s[8:9], s[0:1], 0x48
	s_load_dwordx2 s[14:15], s[0:1], 0x38
	s_load_dword s16, s[0:1], 0x0
	v_lshlrev_b32_e32 v9, 2, v0
	v_mad_u64_u32 v[0:1], s[0:1], v2, s6, 0
	v_mov_b32_e32 v14, v1
	v_lshlrev_b32_e32 v10, 4, v2
	v_mad_u64_u32 v[2:3], s[0:1], v2, s7, v[14:15]
	v_mov_b32_e32 v1, v2
	s_waitcnt lgkmcnt(0)
	v_lshl_add_u64 v[14:15], v[0:1], 4, s[18:19]
	v_or_b32_e32 v0, v39, v12
	v_mad_u64_u32 v[16:17], s[0:1], v12, s6, 0
	v_lshlrev_b32_e32 v42, 4, v0
	v_mov_b32_e32 v0, v17
	v_mov_b32_e32 v8, 0
	v_mad_u64_u32 v[0:1], s[0:1], v12, s7, v[0:1]
	v_mov_b32_e32 v11, v8
	v_mov_b32_e32 v17, v0
	v_or_b32_e32 v0, 4, v12
	v_lshl_add_u64 v[10:11], s[18:19], 0, v[10:11]
	v_mad_u64_u32 v[18:19], s[18:19], v0, s6, 0
	s_mov_b32 s36, 0
	v_mov_b32_e32 v1, v8
	v_mov_b32_e32 v2, v19
	;; [unrolled: 1-line block ×3, first 2 shown]
	v_cmp_gt_u64_e64 s[0:1], s[6:7], v[0:1]
	v_mad_u64_u32 v[0:1], s[18:19], v0, s7, v[2:3]
	s_mov_b32 s24, s36
	s_mov_b32 s25, s36
	s_cmp_lg_u32 s16, 0
	v_cmp_gt_u64_e32 vcc, s[6:7], v[12:13]
	v_mov_b32_e32 v19, v0
	s_mov_b32 s26, s36
	s_mov_b32 s27, s36
	v_mov_b64_e32 v[0:1], s[24:25]
	s_mul_i32 s35, s6, s6
	v_or_b32_e32 v40, 12, v9
	s_mov_b32 s13, s36
	s_cselect_b64 s[16:17], -1, 0
	v_or_b32_e32 v41, 0x7c, v9
	v_or_b32_e32 v43, 64, v42
	s_and_b64 s[18:19], s[4:5], vcc
	s_and_b64 s[4:5], s[4:5], s[0:1]
	s_mov_b64 s[20:21], 0
	v_mov_b64_e32 v[22:23], 0
	v_mov_b64_e32 v[2:3], s[26:27]
	s_ashr_i32 s22, s7, 31
	v_mov_b32_e32 v44, 1
	s_branch .LBB171_11
.LBB171_8:                              ;   in Loop: Header=BB171_11 Depth=1
	s_nop 0
	v_mov_b64_e32 v[26:27], s[26:27]
.LBB171_9:                              ;   in Loop: Header=BB171_11 Depth=1
	s_or_b64 exec, exec, s[24:25]
.LBB171_10:                             ;   in Loop: Header=BB171_11 Depth=1
	s_or_b64 exec, exec, s[0:1]
	v_mov_b32_dpp v22, v20 row_shr:1 row_mask:0xf bank_mask:0xf
	v_mov_b32_dpp v23, v21 row_shr:1 row_mask:0xf bank_mask:0xf
	v_cmp_lt_i64_e32 vcc, v[22:23], v[20:21]
	v_lshl_add_u64 v[6:7], v[26:27], 0, v[6:7]
	s_waitcnt lgkmcnt(0)
	v_cndmask_b32_e32 v21, v21, v23, vcc
	v_cndmask_b32_e32 v20, v20, v22, vcc
	s_nop 0
	v_mov_b32_dpp v23, v21 row_shr:2 row_mask:0xf bank_mask:0xf
	v_mov_b32_dpp v22, v20 row_shr:2 row_mask:0xf bank_mask:0xf
	v_cmp_lt_i64_e32 vcc, v[22:23], v[20:21]
	s_nop 1
	v_cndmask_b32_e32 v21, v21, v23, vcc
	v_cndmask_b32_e32 v20, v20, v22, vcc
	s_nop 0
	v_mov_b32_dpp v23, v21 row_shr:4 row_mask:0xf bank_mask:0xe
	v_mov_b32_dpp v22, v20 row_shr:4 row_mask:0xf bank_mask:0xe
	v_cmp_lt_i64_e32 vcc, v[22:23], v[20:21]
	s_nop 1
	;; [unrolled: 7-line block ×3, first 2 shown]
	v_cndmask_b32_e32 v21, v21, v23, vcc
	v_cndmask_b32_e32 v20, v20, v22, vcc
	s_nop 0
	v_mov_b32_dpp v23, v21 row_bcast:15 row_mask:0xa bank_mask:0xf
	v_mov_b32_dpp v22, v20 row_bcast:15 row_mask:0xa bank_mask:0xf
	v_cmp_lt_i64_e32 vcc, v[22:23], v[20:21]
	s_nop 1
	v_cndmask_b32_e32 v9, v21, v23, vcc
	v_cndmask_b32_e32 v20, v20, v22, vcc
	ds_bpermute_b32 v22, v41, v20
	ds_bpermute_b32 v23, v41, v9
	s_waitcnt lgkmcnt(0)
	v_cmp_le_i64_e32 vcc, s[10:11], v[22:23]
	s_or_b64 s[20:21], vcc, s[20:21]
	s_andn2_b64 exec, exec, s[20:21]
	s_cbranch_execz .LBB171_34
.LBB171_11:                             ; =>This Loop Header: Depth=1
                                        ;     Child Loop BB171_14 Depth 2
	v_lshl_add_u64 v[24:25], v[24:25], 0, v[12:13]
	v_cmp_lt_i64_e32 vcc, v[24:25], v[4:5]
	v_mov_b64_e32 v[20:21], s[10:11]
	v_mov_b64_e32 v[36:37], v[4:5]
	ds_write_b8 v38, v8 offset:8192
	ds_write_b128 v42, v[0:3]
	ds_write_b128 v42, v[0:3] offset:64
	s_waitcnt lgkmcnt(0)
	s_and_saveexec_b64 s[24:25], vcc
	s_cbranch_execz .LBB171_23
; %bb.12:                               ;   in Loop: Header=BB171_11 Depth=1
	v_mad_u64_u32 v[26:27], s[0:1], v22, s6, 0
	v_lshl_add_u64 v[28:29], v[24:25], 4, s[14:15]
	v_lshl_add_u64 v[30:31], v[24:25], 3, s[8:9]
	s_mov_b64 s[26:27], 0
	v_mov_b64_e32 v[20:21], s[10:11]
	v_mov_b64_e32 v[32:33], v[4:5]
	s_branch .LBB171_14
.LBB171_13:                             ;   in Loop: Header=BB171_14 Depth=2
	s_or_b64 exec, exec, s[0:1]
	v_lshl_add_u64 v[24:25], v[24:25], 0, 4
	v_cmp_ge_i64_e64 s[0:1], v[24:25], v[4:5]
	s_xor_b64 s[28:29], vcc, -1
	s_or_b64 s[0:1], s[28:29], s[0:1]
	s_and_b64 s[0:1], exec, s[0:1]
	v_lshl_add_u64 v[28:29], v[28:29], 0, 64
	v_lshl_add_u64 v[30:31], v[30:31], 0, 32
	s_or_b64 s[26:27], s[0:1], s[26:27]
	v_mov_b64_e32 v[32:33], v[36:37]
	s_andn2_b64 exec, exec, s[26:27]
	s_cbranch_execz .LBB171_22
.LBB171_14:                             ;   Parent Loop BB171_11 Depth=1
                                        ; =>  This Inner Loop Header: Depth=2
	global_load_dwordx2 v[34:35], v[30:31], off
	v_mov_b32_e32 v9, s36
                                        ; implicit-def: $vgpr36_vgpr37
	s_waitcnt vmcnt(0)
	v_subrev_co_u32_e32 v34, vcc, s33, v34
	s_nop 1
	v_subb_co_u32_e32 v35, vcc, v35, v9, vcc
	v_or_b32_e32 v9, s7, v35
	v_cmp_ne_u64_e32 vcc, 0, v[8:9]
	s_and_saveexec_b64 s[0:1], vcc
	s_xor_b64 s[28:29], exec, s[0:1]
	s_cbranch_execz .LBB171_16
; %bb.15:                               ;   in Loop: Header=BB171_14 Depth=2
	s_add_u32 s0, s6, s22
	s_mov_b32 s23, s22
	s_addc_u32 s1, s7, s22
	s_xor_b64 s[30:31], s[0:1], s[22:23]
	v_cvt_f32_u32_e32 v9, s30
	v_cvt_f32_u32_e32 v27, s31
	s_sub_u32 s0, 0, s30
	s_subb_u32 s1, 0, s31
	v_mov_b32_e32 v47, v8
	v_fmac_f32_e32 v9, 0x4f800000, v27
	v_rcp_f32_e32 v9, v9
	s_nop 0
	v_mul_f32_e32 v9, 0x5f7ffffc, v9
	v_mul_f32_e32 v27, 0x2f800000, v9
	v_trunc_f32_e32 v27, v27
	v_fmac_f32_e32 v9, 0xcf800000, v27
	v_cvt_u32_f32_e32 v27, v27
	v_cvt_u32_f32_e32 v9, v9
	v_mul_lo_u32 v36, s0, v27
	v_mul_hi_u32 v45, s0, v9
	v_mul_lo_u32 v37, s1, v9
	v_add_u32_e32 v36, v45, v36
	v_mul_lo_u32 v48, s0, v9
	v_add_u32_e32 v45, v36, v37
	v_mul_hi_u32 v37, v9, v45
	v_mul_lo_u32 v36, v9, v45
	v_mul_hi_u32 v46, v9, v48
	v_lshl_add_u64 v[36:37], v[46:47], 0, v[36:37]
	v_mul_hi_u32 v47, v27, v48
	v_mul_lo_u32 v48, v27, v48
	v_add_co_u32_e32 v36, vcc, v36, v48
	v_mul_hi_u32 v46, v27, v45
	s_nop 0
	v_addc_co_u32_e32 v36, vcc, v37, v47, vcc
	v_mov_b32_e32 v37, v8
	s_nop 0
	v_addc_co_u32_e32 v47, vcc, 0, v46, vcc
	v_mul_lo_u32 v46, v27, v45
	v_lshl_add_u64 v[36:37], v[36:37], 0, v[46:47]
	v_add_co_u32_e32 v9, vcc, v9, v36
	v_mul_lo_u32 v46, s0, v9
	s_nop 0
	v_addc_co_u32_e32 v27, vcc, v27, v37, vcc
	v_mul_lo_u32 v36, s0, v27
	v_mul_hi_u32 v37, s0, v9
	v_add_u32_e32 v36, v37, v36
	v_mul_lo_u32 v37, s1, v9
	v_add_u32_e32 v45, v36, v37
	v_mul_hi_u32 v49, v27, v46
	v_mul_lo_u32 v50, v27, v46
	v_mul_hi_u32 v37, v9, v45
	v_mul_lo_u32 v36, v9, v45
	v_mul_hi_u32 v46, v9, v46
	v_mov_b32_e32 v47, v8
	v_lshl_add_u64 v[36:37], v[46:47], 0, v[36:37]
	v_add_co_u32_e32 v36, vcc, v36, v50
	v_mul_hi_u32 v48, v27, v45
	s_nop 0
	v_addc_co_u32_e32 v36, vcc, v37, v49, vcc
	v_mul_lo_u32 v46, v27, v45
	s_nop 0
	v_addc_co_u32_e32 v47, vcc, 0, v48, vcc
	v_mov_b32_e32 v37, v8
	v_lshl_add_u64 v[36:37], v[36:37], 0, v[46:47]
	v_add_co_u32_e32 v9, vcc, v9, v36
	v_ashrrev_i32_e32 v36, 31, v35
	s_nop 0
	v_addc_co_u32_e32 v27, vcc, v27, v37, vcc
	v_mov_b32_e32 v37, v36
	v_lshl_add_u64 v[46:47], v[34:35], 0, v[36:37]
	v_xor_b32_e32 v37, v46, v36
	v_xor_b32_e32 v35, v47, v36
	v_mad_u64_u32 v[46:47], s[0:1], v37, v27, 0
	v_mul_hi_u32 v48, v37, v9
	v_mov_b32_e32 v49, v8
	v_lshl_add_u64 v[46:47], v[48:49], 0, v[46:47]
	v_mad_u64_u32 v[50:51], s[0:1], v35, v9, 0
	v_add_co_u32_e32 v9, vcc, v46, v50
	v_mad_u64_u32 v[48:49], s[0:1], v35, v27, 0
	s_nop 0
	v_addc_co_u32_e32 v46, vcc, v47, v51, vcc
	v_mov_b32_e32 v47, v8
	s_nop 0
	v_addc_co_u32_e32 v49, vcc, 0, v49, vcc
	v_lshl_add_u64 v[46:47], v[46:47], 0, v[48:49]
	v_mul_lo_u32 v9, s31, v46
	v_mul_lo_u32 v27, s30, v47
	v_mad_u64_u32 v[48:49], s[0:1], s30, v46, 0
	v_add3_u32 v9, v49, v27, v9
	v_sub_u32_e32 v27, v35, v9
	v_mov_b32_e32 v45, s31
	v_sub_co_u32_e32 v37, vcc, v37, v48
	v_lshl_add_u64 v[50:51], v[46:47], 0, 1
	s_nop 0
	v_subb_co_u32_e64 v27, s[0:1], v27, v45, vcc
	v_subrev_co_u32_e64 v45, s[0:1], s30, v37
	v_subb_co_u32_e32 v9, vcc, v35, v9, vcc
	s_nop 0
	v_subbrev_co_u32_e64 v27, s[0:1], 0, v27, s[0:1]
	v_cmp_le_u32_e64 s[0:1], s31, v27
	v_cmp_le_u32_e32 vcc, s31, v9
	s_nop 0
	v_cndmask_b32_e64 v48, 0, -1, s[0:1]
	v_cmp_le_u32_e64 s[0:1], s30, v45
	v_cndmask_b32_e64 v35, 0, -1, vcc
	v_cmp_le_u32_e32 vcc, s30, v37
	v_cndmask_b32_e64 v45, 0, -1, s[0:1]
	v_cmp_eq_u32_e64 s[0:1], s31, v27
	v_cndmask_b32_e64 v37, 0, -1, vcc
	v_cmp_eq_u32_e32 vcc, s31, v9
	v_cndmask_b32_e64 v27, v48, v45, s[0:1]
	v_lshl_add_u64 v[48:49], v[46:47], 0, 2
	v_cmp_ne_u32_e64 s[0:1], 0, v27
	v_cndmask_b32_e32 v9, v35, v37, vcc
	v_cmp_ne_u32_e32 vcc, 0, v9
	v_cndmask_b32_e64 v27, v51, v49, s[0:1]
	v_xor_b32_e32 v35, s22, v36
	v_cndmask_b32_e32 v9, v47, v27, vcc
	v_cndmask_b32_e64 v27, v50, v48, s[0:1]
	v_cndmask_b32_e32 v27, v46, v27, vcc
	v_xor_b32_e32 v27, v27, v35
	v_xor_b32_e32 v9, v9, v35
	v_sub_co_u32_e32 v36, vcc, v27, v35
	s_nop 1
	v_subb_co_u32_e32 v37, vcc, v9, v35, vcc
.LBB171_16:                             ;   in Loop: Header=BB171_14 Depth=2
	s_andn2_saveexec_b64 s[0:1], s[28:29]
	s_cbranch_execz .LBB171_18
; %bb.17:                               ;   in Loop: Header=BB171_14 Depth=2
	v_cvt_f32_u32_e32 v9, s6
	s_sub_i32 s23, 0, s6
	v_mov_b32_e32 v37, v8
	v_rcp_iflag_f32_e32 v9, v9
	s_nop 0
	v_mul_f32_e32 v9, 0x4f7ffffe, v9
	v_cvt_u32_f32_e32 v9, v9
	v_mul_lo_u32 v27, s23, v9
	v_mul_hi_u32 v27, v9, v27
	v_add_u32_e32 v9, v9, v27
	v_mul_hi_u32 v9, v34, v9
	v_mul_lo_u32 v27, v9, s6
	v_sub_u32_e32 v27, v34, v27
	v_add_u32_e32 v35, 1, v9
	v_subrev_u32_e32 v36, s6, v27
	v_cmp_le_u32_e32 vcc, s6, v27
	s_nop 1
	v_cndmask_b32_e32 v27, v27, v36, vcc
	v_cndmask_b32_e32 v9, v9, v35, vcc
	v_add_u32_e32 v35, 1, v9
	v_cmp_le_u32_e32 vcc, s6, v27
	s_nop 1
	v_cndmask_b32_e32 v36, v9, v35, vcc
.LBB171_18:                             ;   in Loop: Header=BB171_14 Depth=2
	s_or_b64 exec, exec, s[0:1]
	v_cmp_eq_u64_e32 vcc, v[36:37], v[22:23]
	v_cmp_ne_u64_e64 s[0:1], v[36:37], v[22:23]
	s_and_saveexec_b64 s[28:29], s[0:1]
	s_xor_b64 s[28:29], exec, s[28:29]
; %bb.19:                               ;   in Loop: Header=BB171_14 Depth=2
	v_cmp_lt_i64_e64 s[0:1], v[36:37], v[20:21]
                                        ; implicit-def: $vgpr34_vgpr35
                                        ; implicit-def: $vgpr32_vgpr33
	s_nop 1
	v_cndmask_b32_e64 v21, v21, v37, s[0:1]
	v_cndmask_b32_e64 v20, v20, v36, s[0:1]
; %bb.20:                               ;   in Loop: Header=BB171_14 Depth=2
	s_or_saveexec_b64 s[0:1], s[28:29]
	v_mov_b64_e32 v[36:37], v[24:25]
	s_xor_b64 exec, exec, s[0:1]
	s_cbranch_execz .LBB171_13
; %bb.21:                               ;   in Loop: Header=BB171_14 Depth=2
	global_load_dwordx4 v[46:49], v[28:29], off
	v_sub_u32_e32 v9, v34, v26
	v_add_lshl_u32 v9, v39, v9, 4
	v_mov_b64_e32 v[36:37], v[32:33]
	ds_write_b8 v38, v44 offset:8192
	s_waitcnt vmcnt(0)
	ds_write2_b64 v9, v[46:47], v[48:49] offset1:1
	s_branch .LBB171_13
.LBB171_22:                             ;   in Loop: Header=BB171_11 Depth=1
	s_or_b64 exec, exec, s[26:27]
.LBB171_23:                             ;   in Loop: Header=BB171_11 Depth=1
	s_or_b64 exec, exec, s[24:25]
	v_mov_b32_dpp v24, v36 row_shr:1 row_mask:0xf bank_mask:0xf
	v_mov_b32_dpp v25, v37 row_shr:1 row_mask:0xf bank_mask:0xf
	v_cmp_lt_i64_e32 vcc, v[24:25], v[36:37]
	s_waitcnt lgkmcnt(0)
	s_nop 0
	v_cndmask_b32_e32 v25, v37, v25, vcc
	v_cndmask_b32_e32 v24, v36, v24, vcc
	s_nop 0
	v_mov_b32_dpp v27, v25 row_shr:2 row_mask:0xf bank_mask:0xf
	v_mov_b32_dpp v26, v24 row_shr:2 row_mask:0xf bank_mask:0xf
	v_cmp_lt_i64_e32 vcc, v[26:27], v[24:25]
	s_nop 1
	v_cndmask_b32_e32 v9, v25, v27, vcc
	ds_read_u8 v27, v38 offset:8192
	v_cndmask_b32_e32 v24, v24, v26, vcc
	ds_bpermute_b32 v24, v40, v24
	ds_bpermute_b32 v25, v40, v9
	s_waitcnt lgkmcnt(2)
	v_and_b32_e32 v9, 1, v27
	v_cmp_eq_u32_e32 vcc, 1, v9
	v_mov_b64_e32 v[26:27], 0
	s_and_saveexec_b64 s[0:1], vcc
	s_cbranch_execz .LBB171_10
; %bb.24:                               ;   in Loop: Header=BB171_11 Depth=1
	v_lshl_add_u64 v[22:23], v[22:23], 0, s[12:13]
	v_lshl_add_u64 v[26:27], v[6:7], 3, s[2:3]
	global_store_dwordx2 v[26:27], v[22:23], off
	v_mul_lo_u32 v9, s34, v6
	v_mul_lo_u32 v26, s35, v7
	v_mad_u64_u32 v[22:23], s[24:25], s35, v6, 0
	v_add3_u32 v23, v23, v26, v9
	v_lshlrev_b64 v[22:23], 4, v[22:23]
	v_lshl_add_u64 v[28:29], v[10:11], 0, v[22:23]
	v_lshl_add_u64 v[22:23], v[14:15], 0, v[22:23]
	s_and_saveexec_b64 s[24:25], s[18:19]
	s_cbranch_execz .LBB171_28
; %bb.25:                               ;   in Loop: Header=BB171_11 Depth=1
	s_and_b64 vcc, exec, s[16:17]
	s_cbranch_vccz .LBB171_31
; %bb.26:                               ;   in Loop: Header=BB171_11 Depth=1
	ds_read2_b64 v[30:33], v42 offset1:1
	v_lshl_add_u64 v[26:27], v[16:17], 4, v[28:29]
	s_waitcnt lgkmcnt(0)
	global_store_dwordx4 v[26:27], v[30:33], off
	s_cbranch_execnz .LBB171_28
.LBB171_27:                             ;   in Loop: Header=BB171_11 Depth=1
	ds_read2_b64 v[30:33], v42 offset1:1
	v_lshlrev_b32_e32 v26, 4, v12
	v_mov_b32_e32 v27, v8
	v_lshl_add_u64 v[26:27], v[22:23], 0, v[26:27]
	s_waitcnt lgkmcnt(0)
	global_store_dwordx4 v[26:27], v[30:33], off
.LBB171_28:                             ;   in Loop: Header=BB171_11 Depth=1
	s_or_b64 exec, exec, s[24:25]
	v_mov_b64_e32 v[26:27], 1
	s_and_saveexec_b64 s[24:25], s[4:5]
	s_cbranch_execz .LBB171_9
; %bb.29:                               ;   in Loop: Header=BB171_11 Depth=1
	s_andn2_b64 vcc, exec, s[16:17]
	s_cbranch_vccnz .LBB171_32
; %bb.30:                               ;   in Loop: Header=BB171_11 Depth=1
	ds_read2_b64 v[30:33], v43 offset1:1
	v_lshl_add_u64 v[26:27], v[18:19], 4, v[28:29]
	s_mov_b64 s[26:27], 1
	s_waitcnt lgkmcnt(0)
	global_store_dwordx4 v[26:27], v[30:33], off
	s_cbranch_execnz .LBB171_8
	s_branch .LBB171_33
.LBB171_31:                             ;   in Loop: Header=BB171_11 Depth=1
	s_branch .LBB171_27
.LBB171_32:                             ;   in Loop: Header=BB171_11 Depth=1
                                        ; implicit-def: $sgpr26_sgpr27
.LBB171_33:                             ;   in Loop: Header=BB171_11 Depth=1
	ds_read2_b64 v[26:29], v43 offset1:1
	v_lshlrev_b32_e32 v30, 4, v12
	v_mov_b32_e32 v31, v8
	v_lshl_add_u64 v[22:23], v[22:23], 0, v[30:31]
	s_mov_b64 s[26:27], 1
	s_waitcnt lgkmcnt(0)
	global_store_dwordx4 v[22:23], v[26:29], off offset:64
	s_branch .LBB171_8
.LBB171_34:
	s_endpgm
	.section	.rodata,"a",@progbits
	.p2align	6, 0x0
	.amdhsa_kernel _ZN9rocsparseL42csr2bsr_wavefront_per_row_multipass_kernelILj256ELj32ELj8E21rocsparse_complex_numIdEllEEv20rocsparse_direction_T4_S4_S4_S4_S4_21rocsparse_index_base_PKT2_PKT3_PKS4_S5_PS6_PS9_PS4_
		.amdhsa_group_segment_fixed_size 8200
		.amdhsa_private_segment_fixed_size 0
		.amdhsa_kernarg_size 112
		.amdhsa_user_sgpr_count 2
		.amdhsa_user_sgpr_dispatch_ptr 0
		.amdhsa_user_sgpr_queue_ptr 0
		.amdhsa_user_sgpr_kernarg_segment_ptr 1
		.amdhsa_user_sgpr_dispatch_id 0
		.amdhsa_user_sgpr_kernarg_preload_length 0
		.amdhsa_user_sgpr_kernarg_preload_offset 0
		.amdhsa_user_sgpr_private_segment_size 0
		.amdhsa_uses_dynamic_stack 0
		.amdhsa_enable_private_segment 0
		.amdhsa_system_sgpr_workgroup_id_x 1
		.amdhsa_system_sgpr_workgroup_id_y 0
		.amdhsa_system_sgpr_workgroup_id_z 0
		.amdhsa_system_sgpr_workgroup_info 0
		.amdhsa_system_vgpr_workitem_id 0
		.amdhsa_next_free_vgpr 52
		.amdhsa_next_free_sgpr 37
		.amdhsa_accum_offset 52
		.amdhsa_reserve_vcc 1
		.amdhsa_float_round_mode_32 0
		.amdhsa_float_round_mode_16_64 0
		.amdhsa_float_denorm_mode_32 3
		.amdhsa_float_denorm_mode_16_64 3
		.amdhsa_dx10_clamp 1
		.amdhsa_ieee_mode 1
		.amdhsa_fp16_overflow 0
		.amdhsa_tg_split 0
		.amdhsa_exception_fp_ieee_invalid_op 0
		.amdhsa_exception_fp_denorm_src 0
		.amdhsa_exception_fp_ieee_div_zero 0
		.amdhsa_exception_fp_ieee_overflow 0
		.amdhsa_exception_fp_ieee_underflow 0
		.amdhsa_exception_fp_ieee_inexact 0
		.amdhsa_exception_int_div_zero 0
	.end_amdhsa_kernel
	.section	.text._ZN9rocsparseL42csr2bsr_wavefront_per_row_multipass_kernelILj256ELj32ELj8E21rocsparse_complex_numIdEllEEv20rocsparse_direction_T4_S4_S4_S4_S4_21rocsparse_index_base_PKT2_PKT3_PKS4_S5_PS6_PS9_PS4_,"axG",@progbits,_ZN9rocsparseL42csr2bsr_wavefront_per_row_multipass_kernelILj256ELj32ELj8E21rocsparse_complex_numIdEllEEv20rocsparse_direction_T4_S4_S4_S4_S4_21rocsparse_index_base_PKT2_PKT3_PKS4_S5_PS6_PS9_PS4_,comdat
.Lfunc_end171:
	.size	_ZN9rocsparseL42csr2bsr_wavefront_per_row_multipass_kernelILj256ELj32ELj8E21rocsparse_complex_numIdEllEEv20rocsparse_direction_T4_S4_S4_S4_S4_21rocsparse_index_base_PKT2_PKT3_PKS4_S5_PS6_PS9_PS4_, .Lfunc_end171-_ZN9rocsparseL42csr2bsr_wavefront_per_row_multipass_kernelILj256ELj32ELj8E21rocsparse_complex_numIdEllEEv20rocsparse_direction_T4_S4_S4_S4_S4_21rocsparse_index_base_PKT2_PKT3_PKS4_S5_PS6_PS9_PS4_
                                        ; -- End function
	.section	.AMDGPU.csdata,"",@progbits
; Kernel info:
; codeLenInByte = 2444
; NumSgprs: 43
; NumVgprs: 52
; NumAgprs: 0
; TotalNumVgprs: 52
; ScratchSize: 0
; MemoryBound: 0
; FloatMode: 240
; IeeeMode: 1
; LDSByteSize: 8200 bytes/workgroup (compile time only)
; SGPRBlocks: 5
; VGPRBlocks: 6
; NumSGPRsForWavesPerEU: 43
; NumVGPRsForWavesPerEU: 52
; AccumOffset: 52
; Occupancy: 7
; WaveLimiterHint : 0
; COMPUTE_PGM_RSRC2:SCRATCH_EN: 0
; COMPUTE_PGM_RSRC2:USER_SGPR: 2
; COMPUTE_PGM_RSRC2:TRAP_HANDLER: 0
; COMPUTE_PGM_RSRC2:TGID_X_EN: 1
; COMPUTE_PGM_RSRC2:TGID_Y_EN: 0
; COMPUTE_PGM_RSRC2:TGID_Z_EN: 0
; COMPUTE_PGM_RSRC2:TIDIG_COMP_CNT: 0
; COMPUTE_PGM_RSRC3_GFX90A:ACCUM_OFFSET: 12
; COMPUTE_PGM_RSRC3_GFX90A:TG_SPLIT: 0
	.section	.text._ZN9rocsparseL42csr2bsr_wavefront_per_row_multipass_kernelILj256ELj64ELj16E21rocsparse_complex_numIdEllEEv20rocsparse_direction_T4_S4_S4_S4_S4_21rocsparse_index_base_PKT2_PKT3_PKS4_S5_PS6_PS9_PS4_,"axG",@progbits,_ZN9rocsparseL42csr2bsr_wavefront_per_row_multipass_kernelILj256ELj64ELj16E21rocsparse_complex_numIdEllEEv20rocsparse_direction_T4_S4_S4_S4_S4_21rocsparse_index_base_PKT2_PKT3_PKS4_S5_PS6_PS9_PS4_,comdat
	.globl	_ZN9rocsparseL42csr2bsr_wavefront_per_row_multipass_kernelILj256ELj64ELj16E21rocsparse_complex_numIdEllEEv20rocsparse_direction_T4_S4_S4_S4_S4_21rocsparse_index_base_PKT2_PKT3_PKS4_S5_PS6_PS9_PS4_ ; -- Begin function _ZN9rocsparseL42csr2bsr_wavefront_per_row_multipass_kernelILj256ELj64ELj16E21rocsparse_complex_numIdEllEEv20rocsparse_direction_T4_S4_S4_S4_S4_21rocsparse_index_base_PKT2_PKT3_PKS4_S5_PS6_PS9_PS4_
	.p2align	8
	.type	_ZN9rocsparseL42csr2bsr_wavefront_per_row_multipass_kernelILj256ELj64ELj16E21rocsparse_complex_numIdEllEEv20rocsparse_direction_T4_S4_S4_S4_S4_21rocsparse_index_base_PKT2_PKT3_PKS4_S5_PS6_PS9_PS4_,@function
_ZN9rocsparseL42csr2bsr_wavefront_per_row_multipass_kernelILj256ELj64ELj16E21rocsparse_complex_numIdEllEEv20rocsparse_direction_T4_S4_S4_S4_S4_21rocsparse_index_base_PKT2_PKT3_PKS4_S5_PS6_PS9_PS4_: ; @_ZN9rocsparseL42csr2bsr_wavefront_per_row_multipass_kernelILj256ELj64ELj16E21rocsparse_complex_numIdEllEEv20rocsparse_direction_T4_S4_S4_S4_S4_21rocsparse_index_base_PKT2_PKT3_PKS4_S5_PS6_PS9_PS4_
; %bb.0:
	s_load_dwordx2 s[4:5], s[0:1], 0x8
	s_load_dwordx4 s[8:11], s[0:1], 0x18
	s_load_dwordx2 s[12:13], s[0:1], 0x28
	s_load_dword s33, s[0:1], 0x30
	s_load_dwordx2 s[6:7], s[0:1], 0x40
	s_ashr_i32 s3, s2, 31
	v_lshrrev_b32_e32 v42, 6, v0
	s_lshl_b64 s[14:15], s[2:3], 2
	v_bfe_u32 v2, v0, 2, 4
	v_mov_b32_e32 v3, 0
	v_or_b32_e32 v1, s14, v42
	s_waitcnt lgkmcnt(0)
	v_mul_lo_u32 v4, v1, s13
	v_mad_u64_u32 v[6:7], s[16:17], v1, s12, v[2:3]
	s_mul_i32 s3, s15, s12
	v_add3_u32 v7, s3, v7, v4
	v_cmp_gt_i64_e32 vcc, s[4:5], v[6:7]
	v_cmp_gt_i64_e64 s[4:5], s[12:13], v[2:3]
	v_mov_b64_e32 v[4:5], 0
	s_and_b64 s[14:15], s[4:5], vcc
	v_mov_b64_e32 v[26:27], v[4:5]
	s_and_saveexec_b64 s[16:17], s[14:15]
	s_cbranch_execz .LBB172_2
; %bb.1:
	v_lshl_add_u64 v[8:9], v[6:7], 3, s[6:7]
	global_load_dwordx2 v[8:9], v[8:9], off
	s_waitcnt vmcnt(0)
	v_subrev_co_u32_e32 v26, vcc, s33, v8
	s_nop 1
	v_subbrev_co_u32_e32 v27, vcc, 0, v9, vcc
.LBB172_2:
	s_or_b64 exec, exec, s[16:17]
	s_and_saveexec_b64 s[16:17], s[14:15]
	s_cbranch_execz .LBB172_4
; %bb.3:
	v_lshl_add_u64 v[4:5], v[6:7], 3, s[6:7]
	global_load_dwordx2 v[4:5], v[4:5], off offset:8
	s_waitcnt vmcnt(0)
	v_subrev_co_u32_e32 v4, vcc, s33, v4
	s_nop 1
	v_subbrev_co_u32_e32 v5, vcc, 0, v5, vcc
.LBB172_4:
	s_or_b64 exec, exec, s[16:17]
	s_load_dword s14, s[0:1], 0x50
	v_lshl_or_b32 v8, s2, 2, v42
	v_mov_b32_e32 v9, 0
	v_cmp_gt_i64_e32 vcc, s[8:9], v[8:9]
	v_mov_b64_e32 v[6:7], 0
	s_and_saveexec_b64 s[2:3], vcc
	s_cbranch_execz .LBB172_6
; %bb.5:
	s_load_dwordx2 s[6:7], s[0:1], 0x60
	s_waitcnt lgkmcnt(0)
	v_lshl_add_u64 v[6:7], v[8:9], 3, s[6:7]
	global_load_dwordx2 v[6:7], v[6:7], off
	s_waitcnt vmcnt(0)
	v_subrev_co_u32_e32 v6, vcc, s14, v6
	s_nop 1
	v_subbrev_co_u32_e32 v7, vcc, 0, v7, vcc
.LBB172_6:
	s_or_b64 exec, exec, s[2:3]
	v_cmp_lt_i64_e64 s[2:3], s[10:11], 1
	s_and_b64 vcc, exec, s[2:3]
	s_cbranch_vccnz .LBB172_44
; %bb.7:
	s_mul_i32 s2, s12, s13
	s_mul_hi_u32 s3, s12, s12
	s_add_i32 s3, s3, s2
	s_load_dwordx2 s[8:9], s[0:1], 0x68
	s_add_i32 s38, s3, s2
	s_load_dwordx2 s[2:3], s[0:1], 0x58
	s_load_dwordx2 s[16:17], s[0:1], 0x48
	v_and_b32_e32 v12, 3, v0
	v_mbcnt_lo_u32_b32 v0, -1, 0
	v_mov_b32_e32 v8, 0
	v_mbcnt_hi_u32_b32 v0, -1, v0
	v_lshlrev_b32_e32 v14, 4, v2
	v_mov_b32_e32 v15, v8
	s_load_dwordx2 s[18:19], s[0:1], 0x38
	s_load_dword s6, s[0:1], 0x0
	v_lshlrev_b32_e32 v9, 2, v0
	v_mad_u64_u32 v[0:1], s[0:1], v2, s12, 0
	s_waitcnt lgkmcnt(0)
	v_lshl_add_u64 v[10:11], s[2:3], 0, v[14:15]
	v_lshl_or_b32 v43, v42, 8, v14
	v_mov_b32_e32 v14, v1
	v_mad_u64_u32 v[2:3], s[0:1], v2, s13, v[14:15]
	v_mov_b32_e32 v1, v2
	v_lshl_add_u64 v[14:15], v[0:1], 4, s[2:3]
	v_or_b32_e32 v0, v43, v12
	v_mad_u64_u32 v[16:17], s[0:1], v12, s12, 0
	v_lshlrev_b32_e32 v46, 4, v0
	v_mov_b32_e32 v0, v17
	v_mad_u64_u32 v[0:1], s[0:1], v12, s13, v[0:1]
	v_mov_b32_e32 v17, v0
	v_or_b32_e32 v0, 4, v12
	v_mad_u64_u32 v[18:19], s[2:3], v0, s12, 0
	v_mov_b32_e32 v1, v8
	v_mov_b32_e32 v2, v19
	v_cmp_gt_u64_e64 s[0:1], s[12:13], v[0:1]
	v_mad_u64_u32 v[0:1], s[2:3], v0, s13, v[2:3]
	v_mov_b32_e32 v19, v0
	v_or_b32_e32 v0, 8, v12
	s_cmp_lg_u32 s6, 0
	v_mad_u64_u32 v[20:21], s[6:7], v0, s12, 0
	v_mov_b32_e32 v1, v8
	v_mov_b32_e32 v2, v21
	v_cmp_gt_u64_e64 s[2:3], s[12:13], v[0:1]
	v_mad_u64_u32 v[0:1], s[6:7], v0, s13, v[2:3]
	v_mov_b32_e32 v21, v0
	v_or_b32_e32 v0, 12, v12
	v_mad_u64_u32 v[22:23], s[22:23], v0, s12, 0
	s_mov_b32 s40, 0
	v_mov_b32_e32 v1, v8
	v_mov_b32_e32 v2, v23
	;; [unrolled: 1-line block ×3, first 2 shown]
	v_cmp_gt_u64_e64 s[6:7], s[12:13], v[0:1]
	v_mad_u64_u32 v[0:1], s[22:23], v0, s13, v[2:3]
	s_mov_b32 s28, s40
	s_mov_b32 s29, s40
	v_cmp_gt_u64_e32 vcc, s[12:13], v[12:13]
	v_mov_b32_e32 v23, v0
	s_mov_b32 s30, s40
	s_mov_b32 s31, s40
	v_mov_b64_e32 v[0:1], s[28:29]
	s_mul_i32 s39, s12, s12
	v_or_b32_e32 v44, 12, v9
	s_mov_b32 s15, s40
	s_cselect_b64 s[20:21], -1, 0
	v_or_b32_e32 v45, 0xfc, v9
	v_or_b32_e32 v47, 64, v46
	v_or_b32_e32 v48, 0x80, v46
	v_or_b32_e32 v49, 0xc0, v46
	s_and_b64 s[22:23], s[4:5], vcc
	s_and_b64 s[24:25], s[4:5], s[0:1]
	s_and_b64 s[2:3], s[4:5], s[2:3]
	;; [unrolled: 1-line block ×3, first 2 shown]
	s_mov_b64 s[6:7], 0
	v_mov_b64_e32 v[28:29], 0
	v_mov_b64_e32 v[2:3], s[30:31]
	s_ashr_i32 s26, s13, 31
	v_mov_b32_e32 v50, 1
	s_branch .LBB172_11
.LBB172_8:                              ;   in Loop: Header=BB172_11 Depth=1
	s_nop 0
	v_mov_b64_e32 v[32:33], s[0:1]
.LBB172_9:                              ;   in Loop: Header=BB172_11 Depth=1
	s_or_b64 exec, exec, s[30:31]
.LBB172_10:                             ;   in Loop: Header=BB172_11 Depth=1
	s_or_b64 exec, exec, s[28:29]
	v_mov_b32_dpp v28, v24 row_shr:1 row_mask:0xf bank_mask:0xf
	v_mov_b32_dpp v29, v25 row_shr:1 row_mask:0xf bank_mask:0xf
	v_cmp_lt_i64_e32 vcc, v[28:29], v[24:25]
	v_lshl_add_u64 v[6:7], v[32:33], 0, v[6:7]
	s_waitcnt lgkmcnt(0)
	v_cndmask_b32_e32 v25, v25, v29, vcc
	v_cndmask_b32_e32 v24, v24, v28, vcc
	s_nop 0
	v_mov_b32_dpp v29, v25 row_shr:2 row_mask:0xf bank_mask:0xf
	v_mov_b32_dpp v28, v24 row_shr:2 row_mask:0xf bank_mask:0xf
	v_cmp_lt_i64_e32 vcc, v[28:29], v[24:25]
	s_nop 1
	v_cndmask_b32_e32 v25, v25, v29, vcc
	v_cndmask_b32_e32 v24, v24, v28, vcc
	s_nop 0
	v_mov_b32_dpp v29, v25 row_shr:4 row_mask:0xf bank_mask:0xe
	v_mov_b32_dpp v28, v24 row_shr:4 row_mask:0xf bank_mask:0xe
	v_cmp_lt_i64_e32 vcc, v[28:29], v[24:25]
	s_nop 1
	;; [unrolled: 7-line block ×3, first 2 shown]
	v_cndmask_b32_e32 v25, v25, v29, vcc
	v_cndmask_b32_e32 v24, v24, v28, vcc
	s_nop 0
	v_mov_b32_dpp v29, v25 row_bcast:15 row_mask:0xa bank_mask:0xf
	v_mov_b32_dpp v28, v24 row_bcast:15 row_mask:0xa bank_mask:0xf
	v_cmp_lt_i64_e32 vcc, v[28:29], v[24:25]
	s_nop 1
	v_cndmask_b32_e32 v25, v25, v29, vcc
	v_cndmask_b32_e32 v24, v24, v28, vcc
	s_nop 0
	v_mov_b32_dpp v29, v25 row_bcast:31 row_mask:0xc bank_mask:0xf
	v_mov_b32_dpp v28, v24 row_bcast:31 row_mask:0xc bank_mask:0xf
	v_cmp_lt_i64_e32 vcc, v[28:29], v[24:25]
	s_nop 1
	v_cndmask_b32_e32 v9, v25, v29, vcc
	v_cndmask_b32_e32 v24, v24, v28, vcc
	ds_bpermute_b32 v28, v45, v24
	ds_bpermute_b32 v29, v45, v9
	s_waitcnt lgkmcnt(0)
	v_cmp_le_i64_e32 vcc, s[10:11], v[28:29]
	s_or_b64 s[6:7], vcc, s[6:7]
	s_andn2_b64 exec, exec, s[6:7]
	s_cbranch_execz .LBB172_44
.LBB172_11:                             ; =>This Loop Header: Depth=1
                                        ;     Child Loop BB172_14 Depth 2
	v_lshl_add_u64 v[26:27], v[26:27], 0, v[12:13]
	v_cmp_lt_i64_e32 vcc, v[26:27], v[4:5]
	v_mov_b64_e32 v[24:25], s[10:11]
	v_mov_b64_e32 v[40:41], v[4:5]
	ds_write_b8 v42, v8 offset:16384
	ds_write_b128 v46, v[0:3]
	ds_write_b128 v46, v[0:3] offset:64
	ds_write_b128 v46, v[0:3] offset:128
	;; [unrolled: 1-line block ×3, first 2 shown]
	s_waitcnt lgkmcnt(0)
	s_and_saveexec_b64 s[28:29], vcc
	s_cbranch_execz .LBB172_23
; %bb.12:                               ;   in Loop: Header=BB172_11 Depth=1
	v_mad_u64_u32 v[30:31], s[0:1], v28, s12, 0
	v_lshl_add_u64 v[32:33], v[26:27], 4, s[18:19]
	v_lshl_add_u64 v[34:35], v[26:27], 3, s[16:17]
	s_mov_b64 s[30:31], 0
	v_mov_b64_e32 v[24:25], s[10:11]
	v_mov_b64_e32 v[36:37], v[4:5]
	s_branch .LBB172_14
.LBB172_13:                             ;   in Loop: Header=BB172_14 Depth=2
	s_or_b64 exec, exec, s[0:1]
	v_lshl_add_u64 v[26:27], v[26:27], 0, 4
	v_cmp_ge_i64_e64 s[0:1], v[26:27], v[4:5]
	s_xor_b64 s[34:35], vcc, -1
	s_or_b64 s[0:1], s[34:35], s[0:1]
	s_and_b64 s[0:1], exec, s[0:1]
	v_lshl_add_u64 v[32:33], v[32:33], 0, 64
	v_lshl_add_u64 v[34:35], v[34:35], 0, 32
	s_or_b64 s[30:31], s[0:1], s[30:31]
	v_mov_b64_e32 v[36:37], v[40:41]
	s_andn2_b64 exec, exec, s[30:31]
	s_cbranch_execz .LBB172_22
.LBB172_14:                             ;   Parent Loop BB172_11 Depth=1
                                        ; =>  This Inner Loop Header: Depth=2
	global_load_dwordx2 v[38:39], v[34:35], off
	v_mov_b32_e32 v9, s40
                                        ; implicit-def: $vgpr40_vgpr41
	s_waitcnt vmcnt(0)
	v_subrev_co_u32_e32 v38, vcc, s33, v38
	s_nop 1
	v_subb_co_u32_e32 v39, vcc, v39, v9, vcc
	v_or_b32_e32 v9, s13, v39
	v_cmp_ne_u64_e32 vcc, 0, v[8:9]
	s_and_saveexec_b64 s[0:1], vcc
	s_xor_b64 s[34:35], exec, s[0:1]
	s_cbranch_execz .LBB172_16
; %bb.15:                               ;   in Loop: Header=BB172_14 Depth=2
	s_add_u32 s0, s12, s26
	s_mov_b32 s27, s26
	s_addc_u32 s1, s13, s26
	s_xor_b64 s[36:37], s[0:1], s[26:27]
	v_cvt_f32_u32_e32 v9, s36
	v_cvt_f32_u32_e32 v31, s37
	s_sub_u32 s0, 0, s36
	s_subb_u32 s1, 0, s37
	v_mov_b32_e32 v53, v8
	v_fmac_f32_e32 v9, 0x4f800000, v31
	v_rcp_f32_e32 v9, v9
	s_nop 0
	v_mul_f32_e32 v9, 0x5f7ffffc, v9
	v_mul_f32_e32 v31, 0x2f800000, v9
	v_trunc_f32_e32 v31, v31
	v_fmac_f32_e32 v9, 0xcf800000, v31
	v_cvt_u32_f32_e32 v31, v31
	v_cvt_u32_f32_e32 v9, v9
	v_mul_lo_u32 v40, s0, v31
	v_mul_hi_u32 v51, s0, v9
	v_mul_lo_u32 v41, s1, v9
	v_add_u32_e32 v40, v51, v40
	v_mul_lo_u32 v54, s0, v9
	v_add_u32_e32 v51, v40, v41
	v_mul_hi_u32 v41, v9, v51
	v_mul_lo_u32 v40, v9, v51
	v_mul_hi_u32 v52, v9, v54
	v_lshl_add_u64 v[40:41], v[52:53], 0, v[40:41]
	v_mul_hi_u32 v53, v31, v54
	v_mul_lo_u32 v54, v31, v54
	v_add_co_u32_e32 v40, vcc, v40, v54
	v_mul_hi_u32 v52, v31, v51
	s_nop 0
	v_addc_co_u32_e32 v40, vcc, v41, v53, vcc
	v_mov_b32_e32 v41, v8
	s_nop 0
	v_addc_co_u32_e32 v53, vcc, 0, v52, vcc
	v_mul_lo_u32 v52, v31, v51
	v_lshl_add_u64 v[40:41], v[40:41], 0, v[52:53]
	v_add_co_u32_e32 v9, vcc, v9, v40
	v_mul_lo_u32 v52, s0, v9
	s_nop 0
	v_addc_co_u32_e32 v31, vcc, v31, v41, vcc
	v_mul_lo_u32 v40, s0, v31
	v_mul_hi_u32 v41, s0, v9
	v_add_u32_e32 v40, v41, v40
	v_mul_lo_u32 v41, s1, v9
	v_add_u32_e32 v51, v40, v41
	v_mul_hi_u32 v55, v31, v52
	v_mul_lo_u32 v56, v31, v52
	v_mul_hi_u32 v41, v9, v51
	v_mul_lo_u32 v40, v9, v51
	v_mul_hi_u32 v52, v9, v52
	v_mov_b32_e32 v53, v8
	v_lshl_add_u64 v[40:41], v[52:53], 0, v[40:41]
	v_add_co_u32_e32 v40, vcc, v40, v56
	v_mul_hi_u32 v54, v31, v51
	s_nop 0
	v_addc_co_u32_e32 v40, vcc, v41, v55, vcc
	v_mul_lo_u32 v52, v31, v51
	s_nop 0
	v_addc_co_u32_e32 v53, vcc, 0, v54, vcc
	v_mov_b32_e32 v41, v8
	v_lshl_add_u64 v[40:41], v[40:41], 0, v[52:53]
	v_add_co_u32_e32 v9, vcc, v9, v40
	v_ashrrev_i32_e32 v40, 31, v39
	s_nop 0
	v_addc_co_u32_e32 v31, vcc, v31, v41, vcc
	v_mov_b32_e32 v41, v40
	v_lshl_add_u64 v[52:53], v[38:39], 0, v[40:41]
	v_xor_b32_e32 v41, v52, v40
	v_xor_b32_e32 v39, v53, v40
	v_mad_u64_u32 v[52:53], s[0:1], v41, v31, 0
	v_mul_hi_u32 v54, v41, v9
	v_mov_b32_e32 v55, v8
	v_lshl_add_u64 v[52:53], v[54:55], 0, v[52:53]
	v_mad_u64_u32 v[56:57], s[0:1], v39, v9, 0
	v_add_co_u32_e32 v9, vcc, v52, v56
	v_mad_u64_u32 v[54:55], s[0:1], v39, v31, 0
	s_nop 0
	v_addc_co_u32_e32 v52, vcc, v53, v57, vcc
	v_mov_b32_e32 v53, v8
	s_nop 0
	v_addc_co_u32_e32 v55, vcc, 0, v55, vcc
	v_lshl_add_u64 v[52:53], v[52:53], 0, v[54:55]
	v_mul_lo_u32 v9, s37, v52
	v_mul_lo_u32 v31, s36, v53
	v_mad_u64_u32 v[54:55], s[0:1], s36, v52, 0
	v_add3_u32 v9, v55, v31, v9
	v_sub_u32_e32 v31, v39, v9
	v_mov_b32_e32 v51, s37
	v_sub_co_u32_e32 v41, vcc, v41, v54
	v_lshl_add_u64 v[56:57], v[52:53], 0, 1
	s_nop 0
	v_subb_co_u32_e64 v31, s[0:1], v31, v51, vcc
	v_subrev_co_u32_e64 v51, s[0:1], s36, v41
	v_subb_co_u32_e32 v9, vcc, v39, v9, vcc
	s_nop 0
	v_subbrev_co_u32_e64 v31, s[0:1], 0, v31, s[0:1]
	v_cmp_le_u32_e64 s[0:1], s37, v31
	v_cmp_le_u32_e32 vcc, s37, v9
	s_nop 0
	v_cndmask_b32_e64 v54, 0, -1, s[0:1]
	v_cmp_le_u32_e64 s[0:1], s36, v51
	v_cndmask_b32_e64 v39, 0, -1, vcc
	v_cmp_le_u32_e32 vcc, s36, v41
	v_cndmask_b32_e64 v51, 0, -1, s[0:1]
	v_cmp_eq_u32_e64 s[0:1], s37, v31
	v_cndmask_b32_e64 v41, 0, -1, vcc
	v_cmp_eq_u32_e32 vcc, s37, v9
	v_cndmask_b32_e64 v31, v54, v51, s[0:1]
	v_lshl_add_u64 v[54:55], v[52:53], 0, 2
	v_cmp_ne_u32_e64 s[0:1], 0, v31
	v_cndmask_b32_e32 v9, v39, v41, vcc
	v_cmp_ne_u32_e32 vcc, 0, v9
	v_cndmask_b32_e64 v31, v57, v55, s[0:1]
	v_xor_b32_e32 v39, s26, v40
	v_cndmask_b32_e32 v9, v53, v31, vcc
	v_cndmask_b32_e64 v31, v56, v54, s[0:1]
	v_cndmask_b32_e32 v31, v52, v31, vcc
	v_xor_b32_e32 v31, v31, v39
	v_xor_b32_e32 v9, v9, v39
	v_sub_co_u32_e32 v40, vcc, v31, v39
	s_nop 1
	v_subb_co_u32_e32 v41, vcc, v9, v39, vcc
.LBB172_16:                             ;   in Loop: Header=BB172_14 Depth=2
	s_andn2_saveexec_b64 s[0:1], s[34:35]
	s_cbranch_execz .LBB172_18
; %bb.17:                               ;   in Loop: Header=BB172_14 Depth=2
	v_cvt_f32_u32_e32 v9, s12
	s_sub_i32 s27, 0, s12
	v_mov_b32_e32 v41, v8
	v_rcp_iflag_f32_e32 v9, v9
	s_nop 0
	v_mul_f32_e32 v9, 0x4f7ffffe, v9
	v_cvt_u32_f32_e32 v9, v9
	v_mul_lo_u32 v31, s27, v9
	v_mul_hi_u32 v31, v9, v31
	v_add_u32_e32 v9, v9, v31
	v_mul_hi_u32 v9, v38, v9
	v_mul_lo_u32 v31, v9, s12
	v_sub_u32_e32 v31, v38, v31
	v_add_u32_e32 v39, 1, v9
	v_subrev_u32_e32 v40, s12, v31
	v_cmp_le_u32_e32 vcc, s12, v31
	s_nop 1
	v_cndmask_b32_e32 v31, v31, v40, vcc
	v_cndmask_b32_e32 v9, v9, v39, vcc
	v_add_u32_e32 v39, 1, v9
	v_cmp_le_u32_e32 vcc, s12, v31
	s_nop 1
	v_cndmask_b32_e32 v40, v9, v39, vcc
.LBB172_18:                             ;   in Loop: Header=BB172_14 Depth=2
	s_or_b64 exec, exec, s[0:1]
	v_cmp_eq_u64_e32 vcc, v[40:41], v[28:29]
	v_cmp_ne_u64_e64 s[0:1], v[40:41], v[28:29]
	s_and_saveexec_b64 s[34:35], s[0:1]
	s_xor_b64 s[34:35], exec, s[34:35]
; %bb.19:                               ;   in Loop: Header=BB172_14 Depth=2
	v_cmp_lt_i64_e64 s[0:1], v[40:41], v[24:25]
                                        ; implicit-def: $vgpr38_vgpr39
                                        ; implicit-def: $vgpr36_vgpr37
	s_nop 1
	v_cndmask_b32_e64 v25, v25, v41, s[0:1]
	v_cndmask_b32_e64 v24, v24, v40, s[0:1]
; %bb.20:                               ;   in Loop: Header=BB172_14 Depth=2
	s_or_saveexec_b64 s[0:1], s[34:35]
	v_mov_b64_e32 v[40:41], v[26:27]
	s_xor_b64 exec, exec, s[0:1]
	s_cbranch_execz .LBB172_13
; %bb.21:                               ;   in Loop: Header=BB172_14 Depth=2
	global_load_dwordx4 v[52:55], v[32:33], off
	v_sub_u32_e32 v9, v38, v30
	v_add_lshl_u32 v9, v43, v9, 4
	v_mov_b64_e32 v[40:41], v[36:37]
	ds_write_b8 v42, v50 offset:16384
	s_waitcnt vmcnt(0)
	ds_write2_b64 v9, v[52:53], v[54:55] offset1:1
	s_branch .LBB172_13
.LBB172_22:                             ;   in Loop: Header=BB172_11 Depth=1
	s_or_b64 exec, exec, s[30:31]
.LBB172_23:                             ;   in Loop: Header=BB172_11 Depth=1
	s_or_b64 exec, exec, s[28:29]
	v_mov_b32_dpp v26, v40 row_shr:1 row_mask:0xf bank_mask:0xf
	v_mov_b32_dpp v27, v41 row_shr:1 row_mask:0xf bank_mask:0xf
	v_cmp_lt_i64_e32 vcc, v[26:27], v[40:41]
	s_waitcnt lgkmcnt(0)
	v_mov_b64_e32 v[32:33], 0
	v_cndmask_b32_e32 v27, v41, v27, vcc
	v_cndmask_b32_e32 v26, v40, v26, vcc
	s_nop 0
	v_mov_b32_dpp v31, v27 row_shr:2 row_mask:0xf bank_mask:0xf
	v_mov_b32_dpp v30, v26 row_shr:2 row_mask:0xf bank_mask:0xf
	v_cmp_lt_i64_e32 vcc, v[30:31], v[26:27]
	s_nop 1
	v_cndmask_b32_e32 v9, v27, v31, vcc
	ds_read_u8 v31, v42 offset:16384
	v_cndmask_b32_e32 v26, v26, v30, vcc
	ds_bpermute_b32 v26, v44, v26
	ds_bpermute_b32 v27, v44, v9
	s_waitcnt lgkmcnt(2)
	v_and_b32_e32 v9, 1, v31
	v_cmp_eq_u32_e32 vcc, 1, v9
	s_and_saveexec_b64 s[28:29], vcc
	s_cbranch_execz .LBB172_10
; %bb.24:                               ;   in Loop: Header=BB172_11 Depth=1
	v_lshl_add_u64 v[28:29], v[28:29], 0, s[14:15]
	v_lshl_add_u64 v[30:31], v[6:7], 3, s[8:9]
	global_store_dwordx2 v[30:31], v[28:29], off
	v_mul_lo_u32 v9, s38, v6
	v_mul_lo_u32 v30, s39, v7
	v_mad_u64_u32 v[28:29], s[0:1], s39, v6, 0
	v_add3_u32 v29, v29, v30, v9
	v_lshlrev_b64 v[28:29], 4, v[28:29]
	v_lshl_add_u64 v[30:31], v[10:11], 0, v[28:29]
	v_lshl_add_u64 v[28:29], v[14:15], 0, v[28:29]
	s_and_saveexec_b64 s[0:1], s[22:23]
	s_cbranch_execz .LBB172_28
; %bb.25:                               ;   in Loop: Header=BB172_11 Depth=1
	s_and_b64 vcc, exec, s[20:21]
	s_cbranch_vccz .LBB172_39
; %bb.26:                               ;   in Loop: Header=BB172_11 Depth=1
	ds_read2_b64 v[32:35], v46 offset1:1
	v_lshl_add_u64 v[36:37], v[16:17], 4, v[30:31]
	s_waitcnt lgkmcnt(0)
	global_store_dwordx4 v[36:37], v[32:35], off
	s_cbranch_execnz .LBB172_28
.LBB172_27:                             ;   in Loop: Header=BB172_11 Depth=1
	ds_read2_b64 v[32:35], v46 offset1:1
	v_lshlrev_b32_e32 v36, 4, v12
	v_mov_b32_e32 v37, v8
	v_lshl_add_u64 v[36:37], v[28:29], 0, v[36:37]
	s_waitcnt lgkmcnt(0)
	global_store_dwordx4 v[36:37], v[32:35], off
.LBB172_28:                             ;   in Loop: Header=BB172_11 Depth=1
	s_or_b64 exec, exec, s[0:1]
	v_cndmask_b32_e64 v9, 0, 1, s[20:21]
	v_cmp_ne_u32_e64 s[0:1], 1, v9
	s_and_saveexec_b64 s[30:31], s[24:25]
	s_cbranch_execz .LBB172_32
; %bb.29:                               ;   in Loop: Header=BB172_11 Depth=1
	s_and_b64 vcc, exec, s[0:1]
	s_cbranch_vccnz .LBB172_40
; %bb.30:                               ;   in Loop: Header=BB172_11 Depth=1
	ds_read2_b64 v[32:35], v47 offset1:1
	v_lshl_add_u64 v[36:37], v[18:19], 4, v[30:31]
	s_waitcnt lgkmcnt(0)
	global_store_dwordx4 v[36:37], v[32:35], off
	s_cbranch_execnz .LBB172_32
.LBB172_31:                             ;   in Loop: Header=BB172_11 Depth=1
	ds_read2_b64 v[32:35], v47 offset1:1
	v_lshlrev_b32_e32 v36, 4, v12
	v_mov_b32_e32 v37, v8
	v_lshl_add_u64 v[36:37], v[28:29], 0, v[36:37]
	s_waitcnt lgkmcnt(0)
	global_store_dwordx4 v[36:37], v[32:35], off offset:64
.LBB172_32:                             ;   in Loop: Header=BB172_11 Depth=1
	s_or_b64 exec, exec, s[30:31]
	s_and_saveexec_b64 s[30:31], s[2:3]
	s_cbranch_execz .LBB172_36
; %bb.33:                               ;   in Loop: Header=BB172_11 Depth=1
	s_and_b64 vcc, exec, s[0:1]
	s_cbranch_vccnz .LBB172_41
; %bb.34:                               ;   in Loop: Header=BB172_11 Depth=1
	ds_read2_b64 v[32:35], v48 offset1:1
	v_lshl_add_u64 v[36:37], v[20:21], 4, v[30:31]
	s_waitcnt lgkmcnt(0)
	global_store_dwordx4 v[36:37], v[32:35], off
	s_cbranch_execnz .LBB172_36
.LBB172_35:                             ;   in Loop: Header=BB172_11 Depth=1
	ds_read2_b64 v[32:35], v48 offset1:1
	v_lshlrev_b32_e32 v36, 4, v12
	v_mov_b32_e32 v37, v8
	v_lshl_add_u64 v[36:37], v[28:29], 0, v[36:37]
	s_waitcnt lgkmcnt(0)
	global_store_dwordx4 v[36:37], v[32:35], off offset:128
.LBB172_36:                             ;   in Loop: Header=BB172_11 Depth=1
	s_or_b64 exec, exec, s[30:31]
	s_nop 0
	v_mov_b64_e32 v[32:33], 1
	s_and_saveexec_b64 s[30:31], s[4:5]
	s_cbranch_execz .LBB172_9
; %bb.37:                               ;   in Loop: Header=BB172_11 Depth=1
	s_and_b64 vcc, exec, s[0:1]
	s_cbranch_vccnz .LBB172_42
; %bb.38:                               ;   in Loop: Header=BB172_11 Depth=1
	ds_read2_b64 v[32:35], v49 offset1:1
	v_lshl_add_u64 v[30:31], v[22:23], 4, v[30:31]
	s_mov_b64 s[0:1], 1
	s_waitcnt lgkmcnt(0)
	global_store_dwordx4 v[30:31], v[32:35], off
	s_cbranch_execnz .LBB172_8
	s_branch .LBB172_43
.LBB172_39:                             ;   in Loop: Header=BB172_11 Depth=1
	s_branch .LBB172_27
.LBB172_40:                             ;   in Loop: Header=BB172_11 Depth=1
	s_branch .LBB172_31
.LBB172_41:                             ;   in Loop: Header=BB172_11 Depth=1
	s_branch .LBB172_35
.LBB172_42:                             ;   in Loop: Header=BB172_11 Depth=1
                                        ; implicit-def: $sgpr0_sgpr1
.LBB172_43:                             ;   in Loop: Header=BB172_11 Depth=1
	ds_read2_b64 v[30:33], v49 offset1:1
	v_lshlrev_b32_e32 v34, 4, v12
	v_mov_b32_e32 v35, v8
	v_lshl_add_u64 v[28:29], v[28:29], 0, v[34:35]
	s_mov_b64 s[0:1], 1
	s_waitcnt lgkmcnt(0)
	global_store_dwordx4 v[28:29], v[30:33], off offset:192
	s_branch .LBB172_8
.LBB172_44:
	s_endpgm
	.section	.rodata,"a",@progbits
	.p2align	6, 0x0
	.amdhsa_kernel _ZN9rocsparseL42csr2bsr_wavefront_per_row_multipass_kernelILj256ELj64ELj16E21rocsparse_complex_numIdEllEEv20rocsparse_direction_T4_S4_S4_S4_S4_21rocsparse_index_base_PKT2_PKT3_PKS4_S5_PS6_PS9_PS4_
		.amdhsa_group_segment_fixed_size 16392
		.amdhsa_private_segment_fixed_size 0
		.amdhsa_kernarg_size 112
		.amdhsa_user_sgpr_count 2
		.amdhsa_user_sgpr_dispatch_ptr 0
		.amdhsa_user_sgpr_queue_ptr 0
		.amdhsa_user_sgpr_kernarg_segment_ptr 1
		.amdhsa_user_sgpr_dispatch_id 0
		.amdhsa_user_sgpr_kernarg_preload_length 0
		.amdhsa_user_sgpr_kernarg_preload_offset 0
		.amdhsa_user_sgpr_private_segment_size 0
		.amdhsa_uses_dynamic_stack 0
		.amdhsa_enable_private_segment 0
		.amdhsa_system_sgpr_workgroup_id_x 1
		.amdhsa_system_sgpr_workgroup_id_y 0
		.amdhsa_system_sgpr_workgroup_id_z 0
		.amdhsa_system_sgpr_workgroup_info 0
		.amdhsa_system_vgpr_workitem_id 0
		.amdhsa_next_free_vgpr 58
		.amdhsa_next_free_sgpr 41
		.amdhsa_accum_offset 60
		.amdhsa_reserve_vcc 1
		.amdhsa_float_round_mode_32 0
		.amdhsa_float_round_mode_16_64 0
		.amdhsa_float_denorm_mode_32 3
		.amdhsa_float_denorm_mode_16_64 3
		.amdhsa_dx10_clamp 1
		.amdhsa_ieee_mode 1
		.amdhsa_fp16_overflow 0
		.amdhsa_tg_split 0
		.amdhsa_exception_fp_ieee_invalid_op 0
		.amdhsa_exception_fp_denorm_src 0
		.amdhsa_exception_fp_ieee_div_zero 0
		.amdhsa_exception_fp_ieee_overflow 0
		.amdhsa_exception_fp_ieee_underflow 0
		.amdhsa_exception_fp_ieee_inexact 0
		.amdhsa_exception_int_div_zero 0
	.end_amdhsa_kernel
	.section	.text._ZN9rocsparseL42csr2bsr_wavefront_per_row_multipass_kernelILj256ELj64ELj16E21rocsparse_complex_numIdEllEEv20rocsparse_direction_T4_S4_S4_S4_S4_21rocsparse_index_base_PKT2_PKT3_PKS4_S5_PS6_PS9_PS4_,"axG",@progbits,_ZN9rocsparseL42csr2bsr_wavefront_per_row_multipass_kernelILj256ELj64ELj16E21rocsparse_complex_numIdEllEEv20rocsparse_direction_T4_S4_S4_S4_S4_21rocsparse_index_base_PKT2_PKT3_PKS4_S5_PS6_PS9_PS4_,comdat
.Lfunc_end172:
	.size	_ZN9rocsparseL42csr2bsr_wavefront_per_row_multipass_kernelILj256ELj64ELj16E21rocsparse_complex_numIdEllEEv20rocsparse_direction_T4_S4_S4_S4_S4_21rocsparse_index_base_PKT2_PKT3_PKS4_S5_PS6_PS9_PS4_, .Lfunc_end172-_ZN9rocsparseL42csr2bsr_wavefront_per_row_multipass_kernelILj256ELj64ELj16E21rocsparse_complex_numIdEllEEv20rocsparse_direction_T4_S4_S4_S4_S4_21rocsparse_index_base_PKT2_PKT3_PKS4_S5_PS6_PS9_PS4_
                                        ; -- End function
	.section	.AMDGPU.csdata,"",@progbits
; Kernel info:
; codeLenInByte = 2796
; NumSgprs: 47
; NumVgprs: 58
; NumAgprs: 0
; TotalNumVgprs: 58
; ScratchSize: 0
; MemoryBound: 0
; FloatMode: 240
; IeeeMode: 1
; LDSByteSize: 16392 bytes/workgroup (compile time only)
; SGPRBlocks: 5
; VGPRBlocks: 7
; NumSGPRsForWavesPerEU: 47
; NumVGPRsForWavesPerEU: 58
; AccumOffset: 60
; Occupancy: 3
; WaveLimiterHint : 0
; COMPUTE_PGM_RSRC2:SCRATCH_EN: 0
; COMPUTE_PGM_RSRC2:USER_SGPR: 2
; COMPUTE_PGM_RSRC2:TRAP_HANDLER: 0
; COMPUTE_PGM_RSRC2:TGID_X_EN: 1
; COMPUTE_PGM_RSRC2:TGID_Y_EN: 0
; COMPUTE_PGM_RSRC2:TGID_Z_EN: 0
; COMPUTE_PGM_RSRC2:TIDIG_COMP_CNT: 0
; COMPUTE_PGM_RSRC3_GFX90A:ACCUM_OFFSET: 14
; COMPUTE_PGM_RSRC3_GFX90A:TG_SPLIT: 0
	.section	.text._ZN9rocsparseL42csr2bsr_wavefront_per_row_multipass_kernelILj256ELj32ELj16E21rocsparse_complex_numIdEllEEv20rocsparse_direction_T4_S4_S4_S4_S4_21rocsparse_index_base_PKT2_PKT3_PKS4_S5_PS6_PS9_PS4_,"axG",@progbits,_ZN9rocsparseL42csr2bsr_wavefront_per_row_multipass_kernelILj256ELj32ELj16E21rocsparse_complex_numIdEllEEv20rocsparse_direction_T4_S4_S4_S4_S4_21rocsparse_index_base_PKT2_PKT3_PKS4_S5_PS6_PS9_PS4_,comdat
	.globl	_ZN9rocsparseL42csr2bsr_wavefront_per_row_multipass_kernelILj256ELj32ELj16E21rocsparse_complex_numIdEllEEv20rocsparse_direction_T4_S4_S4_S4_S4_21rocsparse_index_base_PKT2_PKT3_PKS4_S5_PS6_PS9_PS4_ ; -- Begin function _ZN9rocsparseL42csr2bsr_wavefront_per_row_multipass_kernelILj256ELj32ELj16E21rocsparse_complex_numIdEllEEv20rocsparse_direction_T4_S4_S4_S4_S4_21rocsparse_index_base_PKT2_PKT3_PKS4_S5_PS6_PS9_PS4_
	.p2align	8
	.type	_ZN9rocsparseL42csr2bsr_wavefront_per_row_multipass_kernelILj256ELj32ELj16E21rocsparse_complex_numIdEllEEv20rocsparse_direction_T4_S4_S4_S4_S4_21rocsparse_index_base_PKT2_PKT3_PKS4_S5_PS6_PS9_PS4_,@function
_ZN9rocsparseL42csr2bsr_wavefront_per_row_multipass_kernelILj256ELj32ELj16E21rocsparse_complex_numIdEllEEv20rocsparse_direction_T4_S4_S4_S4_S4_21rocsparse_index_base_PKT2_PKT3_PKS4_S5_PS6_PS9_PS4_: ; @_ZN9rocsparseL42csr2bsr_wavefront_per_row_multipass_kernelILj256ELj32ELj16E21rocsparse_complex_numIdEllEEv20rocsparse_direction_T4_S4_S4_S4_S4_21rocsparse_index_base_PKT2_PKT3_PKS4_S5_PS6_PS9_PS4_
; %bb.0:
	s_load_dwordx2 s[4:5], s[0:1], 0x8
	s_load_dwordx4 s[16:19], s[0:1], 0x18
	s_load_dwordx2 s[20:21], s[0:1], 0x28
	s_load_dword s33, s[0:1], 0x30
	s_load_dwordx2 s[6:7], s[0:1], 0x40
	s_ashr_i32 s3, s2, 31
	v_lshrrev_b32_e32 v52, 5, v0
	s_lshl_b64 s[8:9], s[2:3], 3
	v_bfe_u32 v2, v0, 1, 4
	v_mov_b32_e32 v3, 0
	v_or_b32_e32 v1, s8, v52
	s_waitcnt lgkmcnt(0)
	v_mul_lo_u32 v4, v1, s21
	v_mad_u64_u32 v[6:7], s[10:11], v1, s20, v[2:3]
	s_mul_i32 s3, s9, s20
	v_add3_u32 v7, s3, v7, v4
	v_cmp_gt_i64_e32 vcc, s[4:5], v[6:7]
	v_cmp_gt_i64_e64 s[4:5], s[20:21], v[2:3]
	v_mov_b64_e32 v[4:5], 0
	s_and_b64 s[8:9], s[4:5], vcc
	v_mov_b64_e32 v[36:37], v[4:5]
	s_and_saveexec_b64 s[10:11], s[8:9]
	s_cbranch_execz .LBB173_2
; %bb.1:
	v_lshl_add_u64 v[8:9], v[6:7], 3, s[6:7]
	global_load_dwordx2 v[8:9], v[8:9], off
	s_waitcnt vmcnt(0)
	v_subrev_co_u32_e32 v36, vcc, s33, v8
	s_nop 1
	v_subbrev_co_u32_e32 v37, vcc, 0, v9, vcc
.LBB173_2:
	s_or_b64 exec, exec, s[10:11]
	s_and_saveexec_b64 s[10:11], s[8:9]
	s_cbranch_execz .LBB173_4
; %bb.3:
	v_lshl_add_u64 v[4:5], v[6:7], 3, s[6:7]
	global_load_dwordx2 v[4:5], v[4:5], off offset:8
	s_waitcnt vmcnt(0)
	v_subrev_co_u32_e32 v4, vcc, s33, v4
	s_nop 1
	v_subbrev_co_u32_e32 v5, vcc, 0, v5, vcc
.LBB173_4:
	s_or_b64 exec, exec, s[10:11]
	s_load_dword s22, s[0:1], 0x50
	v_lshl_or_b32 v8, s2, 3, v52
	v_mov_b32_e32 v9, 0
	v_cmp_gt_i64_e32 vcc, s[16:17], v[8:9]
	v_mov_b64_e32 v[6:7], 0
	s_and_saveexec_b64 s[2:3], vcc
	s_cbranch_execz .LBB173_6
; %bb.5:
	s_load_dwordx2 s[6:7], s[0:1], 0x60
	s_waitcnt lgkmcnt(0)
	v_lshl_add_u64 v[6:7], v[8:9], 3, s[6:7]
	global_load_dwordx2 v[6:7], v[6:7], off
	s_waitcnt vmcnt(0)
	v_subrev_co_u32_e32 v6, vcc, s22, v6
	s_nop 1
	v_subbrev_co_u32_e32 v7, vcc, 0, v7, vcc
.LBB173_6:
	s_or_b64 exec, exec, s[2:3]
	v_cmp_lt_i64_e64 s[2:3], s[18:19], 1
	s_and_b64 vcc, exec, s[2:3]
	s_cbranch_vccnz .LBB173_64
; %bb.7:
	s_mul_i32 s2, s20, s21
	s_mul_hi_u32 s3, s20, s20
	s_add_i32 s3, s3, s2
	s_load_dwordx2 s[16:17], s[0:1], 0x68
	s_add_i32 s46, s3, s2
	s_load_dwordx2 s[2:3], s[0:1], 0x58
	s_load_dwordx2 s[24:25], s[0:1], 0x48
	v_and_b32_e32 v12, 1, v0
	v_mbcnt_lo_u32_b32 v0, -1, 0
	v_mov_b32_e32 v8, 0
	v_mbcnt_hi_u32_b32 v0, -1, v0
	v_lshlrev_b32_e32 v14, 4, v2
	v_mov_b32_e32 v15, v8
	s_load_dwordx2 s[26:27], s[0:1], 0x38
	s_load_dword s6, s[0:1], 0x0
	v_lshlrev_b32_e32 v9, 2, v0
	v_mad_u64_u32 v[0:1], s[0:1], v2, s20, 0
	s_waitcnt lgkmcnt(0)
	v_lshl_add_u64 v[10:11], s[2:3], 0, v[14:15]
	v_lshl_or_b32 v53, v52, 8, v14
	v_mov_b32_e32 v14, v1
	v_mad_u64_u32 v[2:3], s[0:1], v2, s21, v[14:15]
	v_mov_b32_e32 v1, v2
	v_lshl_add_u64 v[14:15], v[0:1], 4, s[2:3]
	v_or_b32_e32 v0, v53, v12
	v_lshlrev_b32_e32 v56, 4, v0
	v_or_b32_e32 v0, 2, v12
	v_mad_u64_u32 v[18:19], s[2:3], v0, s20, 0
	v_mov_b32_e32 v1, v8
	v_mov_b32_e32 v2, v19
	v_cmp_gt_u64_e64 s[0:1], s[20:21], v[0:1]
	v_mad_u64_u32 v[0:1], s[2:3], v0, s21, v[2:3]
	v_mov_b32_e32 v19, v0
	v_or_b32_e32 v0, 4, v12
	s_cmp_lg_u32 s6, 0
	v_mad_u64_u32 v[20:21], s[6:7], v0, s20, 0
	v_mov_b32_e32 v1, v8
	v_mov_b32_e32 v2, v21
	v_cmp_gt_u64_e64 s[2:3], s[20:21], v[0:1]
	v_mad_u64_u32 v[0:1], s[6:7], v0, s21, v[2:3]
	v_mov_b32_e32 v21, v0
	v_or_b32_e32 v0, 6, v12
	v_mad_u64_u32 v[22:23], s[8:9], v0, s20, 0
	v_mov_b32_e32 v1, v8
	v_mov_b32_e32 v2, v23
	v_cmp_gt_u64_e64 s[6:7], s[20:21], v[0:1]
	v_mad_u64_u32 v[0:1], s[8:9], v0, s21, v[2:3]
	v_mov_b32_e32 v23, v0
	v_or_b32_e32 v0, 8, v12
	;; [unrolled: 7-line block ×5, first 2 shown]
	v_mad_u64_u32 v[30:31], s[28:29], v0, s20, 0
	v_mov_b32_e32 v1, v8
	v_mov_b32_e32 v2, v31
	v_cmp_gt_u64_e64 s[14:15], s[20:21], v[0:1]
	v_mad_u64_u32 v[0:1], s[28:29], v0, s21, v[2:3]
	v_mov_b32_e32 v31, v0
	v_cvt_f32_u32_e32 v0, s20
	v_or_b32_e32 v54, 4, v9
	v_or_b32_e32 v55, 0x7c, v9
	s_mov_b32 s48, 0
	v_rcp_iflag_f32_e32 v9, v0
	v_mov_b32_e32 v13, v8
	s_mov_b32 s36, s48
	s_mov_b32 s37, s48
	v_mul_f32_e32 v9, 0x4f7ffffe, v9
	v_cvt_u32_f32_e32 v64, v9
	v_cmp_gt_u64_e32 vcc, s[20:21], v[12:13]
	s_cselect_b64 s[28:29], -1, 0
	s_mov_b32 s38, s48
	s_mov_b32 s39, s48
	v_mov_b64_e32 v[0:1], s[36:37]
	s_mul_i32 s47, s20, s20
	s_mov_b32 s23, s48
	v_or_b32_e32 v57, 32, v56
	v_or_b32_e32 v58, 64, v56
	;; [unrolled: 1-line block ×7, first 2 shown]
	v_mul_lo_u32 v17, v12, s21
	v_mul_lo_u32 v16, v12, s20
	s_and_b64 s[30:31], s[4:5], vcc
	s_and_b64 s[34:35], s[4:5], s[0:1]
	s_and_b64 s[2:3], s[4:5], s[2:3]
	;; [unrolled: 1-line block ×7, first 2 shown]
	s_mov_b64 s[14:15], 0
	v_mov_b64_e32 v[38:39], 0
	v_mov_b64_e32 v[2:3], s[38:39]
	v_cndmask_b32_e64 v65, 0, 1, s[28:29]
	s_ashr_i32 s36, s21, 31
	v_mov_b32_e32 v66, 1
	v_lshlrev_b32_e32 v32, 4, v12
	s_branch .LBB173_11
.LBB173_8:                              ;   in Loop: Header=BB173_11 Depth=1
	s_nop 0
	v_mov_b64_e32 v[42:43], s[0:1]
.LBB173_9:                              ;   in Loop: Header=BB173_11 Depth=1
	s_or_b64 exec, exec, s[40:41]
.LBB173_10:                             ;   in Loop: Header=BB173_11 Depth=1
	s_or_b64 exec, exec, s[38:39]
	v_mov_b32_dpp v38, v34 row_shr:1 row_mask:0xf bank_mask:0xf
	v_mov_b32_dpp v39, v35 row_shr:1 row_mask:0xf bank_mask:0xf
	v_cmp_lt_i64_e32 vcc, v[38:39], v[34:35]
	v_lshl_add_u64 v[6:7], v[42:43], 0, v[6:7]
	s_waitcnt lgkmcnt(0)
	v_cndmask_b32_e32 v35, v35, v39, vcc
	v_cndmask_b32_e32 v34, v34, v38, vcc
	s_nop 0
	v_mov_b32_dpp v39, v35 row_shr:2 row_mask:0xf bank_mask:0xf
	v_mov_b32_dpp v38, v34 row_shr:2 row_mask:0xf bank_mask:0xf
	v_cmp_lt_i64_e32 vcc, v[38:39], v[34:35]
	s_nop 1
	v_cndmask_b32_e32 v35, v35, v39, vcc
	v_cndmask_b32_e32 v34, v34, v38, vcc
	s_nop 0
	v_mov_b32_dpp v39, v35 row_shr:4 row_mask:0xf bank_mask:0xe
	v_mov_b32_dpp v38, v34 row_shr:4 row_mask:0xf bank_mask:0xe
	v_cmp_lt_i64_e32 vcc, v[38:39], v[34:35]
	s_nop 1
	;; [unrolled: 7-line block ×3, first 2 shown]
	v_cndmask_b32_e32 v35, v35, v39, vcc
	v_cndmask_b32_e32 v34, v34, v38, vcc
	s_nop 0
	v_mov_b32_dpp v39, v35 row_bcast:15 row_mask:0xa bank_mask:0xf
	v_mov_b32_dpp v38, v34 row_bcast:15 row_mask:0xa bank_mask:0xf
	v_cmp_lt_i64_e32 vcc, v[38:39], v[34:35]
	s_nop 1
	v_cndmask_b32_e32 v9, v35, v39, vcc
	v_cndmask_b32_e32 v33, v34, v38, vcc
	ds_bpermute_b32 v38, v55, v33
	ds_bpermute_b32 v39, v55, v9
	s_waitcnt lgkmcnt(0)
	v_cmp_le_i64_e32 vcc, s[18:19], v[38:39]
	s_or_b64 s[14:15], vcc, s[14:15]
	s_andn2_b64 exec, exec, s[14:15]
	s_cbranch_execz .LBB173_64
.LBB173_11:                             ; =>This Loop Header: Depth=1
                                        ;     Child Loop BB173_14 Depth 2
	v_lshl_add_u64 v[36:37], v[36:37], 0, v[12:13]
	v_cmp_lt_i64_e32 vcc, v[36:37], v[4:5]
	v_mov_b64_e32 v[34:35], s[18:19]
	v_mov_b64_e32 v[50:51], v[4:5]
	ds_write_b8 v52, v8 offset:32768
	ds_write_b128 v56, v[0:3]
	ds_write_b128 v56, v[0:3] offset:32
	ds_write_b128 v56, v[0:3] offset:64
	;; [unrolled: 1-line block ×7, first 2 shown]
	s_waitcnt lgkmcnt(0)
	s_and_saveexec_b64 s[38:39], vcc
	s_cbranch_execz .LBB173_23
; %bb.12:                               ;   in Loop: Header=BB173_11 Depth=1
	v_mad_u64_u32 v[40:41], s[0:1], v38, s20, 0
	v_lshl_add_u64 v[42:43], v[36:37], 4, s[26:27]
	v_lshl_add_u64 v[44:45], v[36:37], 3, s[24:25]
	s_mov_b64 s[40:41], 0
	v_mov_b64_e32 v[34:35], s[18:19]
	v_mov_b64_e32 v[46:47], v[4:5]
	s_branch .LBB173_14
.LBB173_13:                             ;   in Loop: Header=BB173_14 Depth=2
	s_or_b64 exec, exec, s[0:1]
	v_lshl_add_u64 v[36:37], v[36:37], 0, 2
	v_cmp_ge_i64_e64 s[0:1], v[36:37], v[4:5]
	s_xor_b64 s[42:43], vcc, -1
	s_or_b64 s[0:1], s[42:43], s[0:1]
	s_and_b64 s[0:1], exec, s[0:1]
	v_lshl_add_u64 v[42:43], v[42:43], 0, 32
	v_lshl_add_u64 v[44:45], v[44:45], 0, 16
	s_or_b64 s[40:41], s[0:1], s[40:41]
	v_mov_b64_e32 v[46:47], v[50:51]
	s_andn2_b64 exec, exec, s[40:41]
	s_cbranch_execz .LBB173_22
.LBB173_14:                             ;   Parent Loop BB173_11 Depth=1
                                        ; =>  This Inner Loop Header: Depth=2
	global_load_dwordx2 v[48:49], v[44:45], off
	v_mov_b32_e32 v9, s48
                                        ; implicit-def: $vgpr50_vgpr51
	s_waitcnt vmcnt(0)
	v_subrev_co_u32_e32 v48, vcc, s33, v48
	s_nop 1
	v_subb_co_u32_e32 v49, vcc, v49, v9, vcc
	v_or_b32_e32 v9, s21, v49
	v_cmp_ne_u64_e32 vcc, 0, v[8:9]
	s_and_saveexec_b64 s[0:1], vcc
	s_xor_b64 s[42:43], exec, s[0:1]
	s_cbranch_execz .LBB173_16
; %bb.15:                               ;   in Loop: Header=BB173_14 Depth=2
	s_add_u32 s0, s20, s36
	s_mov_b32 s37, s36
	s_addc_u32 s1, s21, s36
	s_xor_b64 s[44:45], s[0:1], s[36:37]
	v_cvt_f32_u32_e32 v9, s44
	v_cvt_f32_u32_e32 v33, s45
	s_sub_u32 s0, 0, s44
	s_subb_u32 s1, 0, s45
	v_mov_b32_e32 v69, v8
	v_fmac_f32_e32 v9, 0x4f800000, v33
	v_rcp_f32_e32 v9, v9
	s_nop 0
	v_mul_f32_e32 v9, 0x5f7ffffc, v9
	v_mul_f32_e32 v33, 0x2f800000, v9
	v_trunc_f32_e32 v33, v33
	v_fmac_f32_e32 v9, 0xcf800000, v33
	v_cvt_u32_f32_e32 v33, v33
	v_cvt_u32_f32_e32 v9, v9
	v_mul_lo_u32 v41, s0, v33
	v_mul_hi_u32 v51, s0, v9
	v_mul_lo_u32 v50, s1, v9
	v_add_u32_e32 v41, v51, v41
	v_mul_lo_u32 v67, s0, v9
	v_add_u32_e32 v41, v41, v50
	v_mul_hi_u32 v51, v9, v41
	v_mul_lo_u32 v50, v9, v41
	v_mul_hi_u32 v68, v9, v67
	v_lshl_add_u64 v[50:51], v[68:69], 0, v[50:51]
	v_mul_hi_u32 v69, v33, v67
	v_mul_lo_u32 v67, v33, v67
	v_add_co_u32_e32 v50, vcc, v50, v67
	v_mul_hi_u32 v68, v33, v41
	s_nop 0
	v_addc_co_u32_e32 v50, vcc, v51, v69, vcc
	v_mov_b32_e32 v51, v8
	s_nop 0
	v_addc_co_u32_e32 v69, vcc, 0, v68, vcc
	v_mul_lo_u32 v68, v33, v41
	v_lshl_add_u64 v[50:51], v[50:51], 0, v[68:69]
	v_add_co_u32_e32 v9, vcc, v9, v50
	v_mul_hi_u32 v50, s0, v9
	s_nop 0
	v_addc_co_u32_e32 v33, vcc, v33, v51, vcc
	v_mul_lo_u32 v41, s0, v33
	v_add_u32_e32 v41, v50, v41
	v_mul_lo_u32 v50, s1, v9
	v_add_u32_e32 v41, v41, v50
	v_mul_lo_u32 v68, s0, v9
	v_mul_hi_u32 v70, v33, v68
	v_mul_lo_u32 v71, v33, v68
	v_mul_hi_u32 v51, v9, v41
	;; [unrolled: 2-line block ×3, first 2 shown]
	v_mov_b32_e32 v69, v8
	v_lshl_add_u64 v[50:51], v[68:69], 0, v[50:51]
	v_add_co_u32_e32 v50, vcc, v50, v71
	v_mul_hi_u32 v67, v33, v41
	s_nop 0
	v_addc_co_u32_e32 v50, vcc, v51, v70, vcc
	v_mul_lo_u32 v68, v33, v41
	s_nop 0
	v_addc_co_u32_e32 v69, vcc, 0, v67, vcc
	v_mov_b32_e32 v51, v8
	v_lshl_add_u64 v[50:51], v[50:51], 0, v[68:69]
	v_add_co_u32_e32 v9, vcc, v9, v50
	v_ashrrev_i32_e32 v50, 31, v49
	s_nop 0
	v_addc_co_u32_e32 v33, vcc, v33, v51, vcc
	v_mov_b32_e32 v51, v50
	v_lshl_add_u64 v[68:69], v[48:49], 0, v[50:51]
	v_xor_b32_e32 v49, v68, v50
	v_xor_b32_e32 v41, v69, v50
	v_mad_u64_u32 v[68:69], s[0:1], v49, v33, 0
	v_mul_hi_u32 v70, v49, v9
	v_mov_b32_e32 v71, v8
	v_lshl_add_u64 v[68:69], v[70:71], 0, v[68:69]
	v_mad_u64_u32 v[72:73], s[0:1], v41, v9, 0
	v_add_co_u32_e32 v9, vcc, v68, v72
	v_mad_u64_u32 v[70:71], s[0:1], v41, v33, 0
	s_nop 0
	v_addc_co_u32_e32 v68, vcc, v69, v73, vcc
	v_mov_b32_e32 v69, v8
	s_nop 0
	v_addc_co_u32_e32 v71, vcc, 0, v71, vcc
	v_lshl_add_u64 v[68:69], v[68:69], 0, v[70:71]
	v_mul_lo_u32 v9, s45, v68
	v_mul_lo_u32 v33, s44, v69
	v_mad_u64_u32 v[70:71], s[0:1], s44, v68, 0
	v_add3_u32 v9, v71, v33, v9
	v_sub_u32_e32 v33, v41, v9
	v_mov_b32_e32 v51, s45
	v_sub_co_u32_e32 v49, vcc, v49, v70
	v_lshl_add_u64 v[70:71], v[68:69], 0, 2
	s_nop 0
	v_subb_co_u32_e64 v33, s[0:1], v33, v51, vcc
	v_subrev_co_u32_e64 v51, s[0:1], s44, v49
	v_subb_co_u32_e32 v9, vcc, v41, v9, vcc
	s_nop 0
	v_subbrev_co_u32_e64 v33, s[0:1], 0, v33, s[0:1]
	v_cmp_le_u32_e64 s[0:1], s45, v33
	v_cmp_le_u32_e32 vcc, s45, v9
	v_lshl_add_u64 v[72:73], v[68:69], 0, 1
	v_cndmask_b32_e64 v67, 0, -1, s[0:1]
	v_cmp_le_u32_e64 s[0:1], s44, v51
	v_cndmask_b32_e64 v41, 0, -1, vcc
	v_cmp_le_u32_e32 vcc, s44, v49
	v_cndmask_b32_e64 v51, 0, -1, s[0:1]
	v_cmp_eq_u32_e64 s[0:1], s45, v33
	v_cndmask_b32_e64 v49, 0, -1, vcc
	v_cmp_eq_u32_e32 vcc, s45, v9
	v_cndmask_b32_e64 v33, v67, v51, s[0:1]
	v_cmp_ne_u32_e64 s[0:1], 0, v33
	v_cndmask_b32_e32 v9, v41, v49, vcc
	v_cmp_ne_u32_e32 vcc, 0, v9
	v_cndmask_b32_e64 v33, v73, v71, s[0:1]
	v_xor_b32_e32 v41, s36, v50
	v_cndmask_b32_e32 v9, v69, v33, vcc
	v_cndmask_b32_e64 v33, v72, v70, s[0:1]
	v_cndmask_b32_e32 v33, v68, v33, vcc
	v_xor_b32_e32 v33, v33, v41
	v_xor_b32_e32 v9, v9, v41
	v_sub_co_u32_e32 v50, vcc, v33, v41
	s_nop 1
	v_subb_co_u32_e32 v51, vcc, v9, v41, vcc
.LBB173_16:                             ;   in Loop: Header=BB173_14 Depth=2
	s_andn2_saveexec_b64 s[0:1], s[42:43]
	s_cbranch_execz .LBB173_18
; %bb.17:                               ;   in Loop: Header=BB173_14 Depth=2
	s_sub_i32 s37, 0, s20
	v_mul_lo_u32 v9, s37, v64
	v_mul_hi_u32 v9, v64, v9
	v_add_u32_e32 v9, v64, v9
	v_mul_hi_u32 v9, v48, v9
	v_mul_lo_u32 v33, v9, s20
	v_sub_u32_e32 v33, v48, v33
	v_subrev_u32_e32 v41, s20, v33
	v_cmp_le_u32_e32 vcc, s20, v33
	v_mov_b32_e32 v51, v8
	s_nop 0
	v_cndmask_b32_e32 v33, v33, v41, vcc
	v_add_u32_e32 v41, 1, v9
	v_cndmask_b32_e32 v9, v9, v41, vcc
	v_add_u32_e32 v41, 1, v9
	v_cmp_le_u32_e32 vcc, s20, v33
	s_nop 1
	v_cndmask_b32_e32 v50, v9, v41, vcc
.LBB173_18:                             ;   in Loop: Header=BB173_14 Depth=2
	s_or_b64 exec, exec, s[0:1]
	v_cmp_eq_u64_e32 vcc, v[50:51], v[38:39]
	v_cmp_ne_u64_e64 s[0:1], v[50:51], v[38:39]
	s_and_saveexec_b64 s[42:43], s[0:1]
	s_xor_b64 s[42:43], exec, s[42:43]
; %bb.19:                               ;   in Loop: Header=BB173_14 Depth=2
	v_cmp_lt_i64_e64 s[0:1], v[50:51], v[34:35]
                                        ; implicit-def: $vgpr48_vgpr49
                                        ; implicit-def: $vgpr46_vgpr47
	s_nop 1
	v_cndmask_b32_e64 v35, v35, v51, s[0:1]
	v_cndmask_b32_e64 v34, v34, v50, s[0:1]
; %bb.20:                               ;   in Loop: Header=BB173_14 Depth=2
	s_or_saveexec_b64 s[0:1], s[42:43]
	v_mov_b64_e32 v[50:51], v[36:37]
	s_xor_b64 exec, exec, s[0:1]
	s_cbranch_execz .LBB173_13
; %bb.21:                               ;   in Loop: Header=BB173_14 Depth=2
	global_load_dwordx4 v[68:71], v[42:43], off
	v_sub_u32_e32 v9, v48, v40
	v_add_lshl_u32 v9, v53, v9, 4
	v_mov_b64_e32 v[50:51], v[46:47]
	ds_write_b8 v52, v66 offset:32768
	s_waitcnt vmcnt(0)
	ds_write2_b64 v9, v[68:69], v[70:71] offset1:1
	s_branch .LBB173_13
.LBB173_22:                             ;   in Loop: Header=BB173_11 Depth=1
	s_or_b64 exec, exec, s[40:41]
.LBB173_23:                             ;   in Loop: Header=BB173_11 Depth=1
	s_or_b64 exec, exec, s[38:39]
	v_mov_b32_dpp v36, v50 row_shr:1 row_mask:0xf bank_mask:0xf
	v_mov_b32_dpp v37, v51 row_shr:1 row_mask:0xf bank_mask:0xf
	s_waitcnt lgkmcnt(0)
	v_cmp_lt_i64_e32 vcc, v[36:37], v[50:51]
	ds_read_u8 v33, v52 offset:32768
	v_mov_b64_e32 v[42:43], 0
	v_cndmask_b32_e32 v9, v51, v37, vcc
	v_cndmask_b32_e32 v36, v50, v36, vcc
	ds_bpermute_b32 v36, v54, v36
	ds_bpermute_b32 v37, v54, v9
	s_waitcnt lgkmcnt(2)
	v_and_b32_e32 v9, 1, v33
	v_cmp_eq_u32_e32 vcc, 1, v9
	s_and_saveexec_b64 s[38:39], vcc
	s_cbranch_execz .LBB173_10
; %bb.24:                               ;   in Loop: Header=BB173_11 Depth=1
	v_lshl_add_u64 v[38:39], v[38:39], 0, s[22:23]
	v_lshl_add_u64 v[40:41], v[6:7], 3, s[16:17]
	global_store_dwordx2 v[40:41], v[38:39], off
	v_mul_lo_u32 v9, s46, v6
	v_mul_lo_u32 v33, s47, v7
	v_mad_u64_u32 v[38:39], s[0:1], s47, v6, 0
	v_add3_u32 v39, v39, v33, v9
	v_lshlrev_b64 v[38:39], 4, v[38:39]
	v_lshl_add_u64 v[40:41], v[10:11], 0, v[38:39]
	v_lshl_add_u64 v[38:39], v[14:15], 0, v[38:39]
	s_and_saveexec_b64 s[0:1], s[30:31]
	s_cbranch_execz .LBB173_28
; %bb.25:                               ;   in Loop: Header=BB173_11 Depth=1
	s_and_b64 vcc, exec, s[28:29]
	s_cbranch_vccz .LBB173_55
; %bb.26:                               ;   in Loop: Header=BB173_11 Depth=1
	ds_read2_b64 v[42:45], v56 offset1:1
	v_lshl_add_u64 v[46:47], v[16:17], 4, v[40:41]
	s_waitcnt lgkmcnt(0)
	global_store_dwordx4 v[46:47], v[42:45], off
	s_cbranch_execnz .LBB173_28
.LBB173_27:                             ;   in Loop: Header=BB173_11 Depth=1
	ds_read2_b64 v[42:45], v56 offset1:1
	v_mov_b32_e32 v33, v8
	v_lshl_add_u64 v[46:47], v[38:39], 0, v[32:33]
	s_waitcnt lgkmcnt(0)
	global_store_dwordx4 v[46:47], v[42:45], off
.LBB173_28:                             ;   in Loop: Header=BB173_11 Depth=1
	s_or_b64 exec, exec, s[0:1]
	v_cmp_ne_u32_e64 s[0:1], 1, v65
	s_and_saveexec_b64 s[40:41], s[34:35]
	s_cbranch_execz .LBB173_32
; %bb.29:                               ;   in Loop: Header=BB173_11 Depth=1
	s_and_b64 vcc, exec, s[0:1]
	s_cbranch_vccnz .LBB173_56
; %bb.30:                               ;   in Loop: Header=BB173_11 Depth=1
	ds_read2_b64 v[42:45], v57 offset1:1
	v_lshl_add_u64 v[46:47], v[18:19], 4, v[40:41]
	s_waitcnt lgkmcnt(0)
	global_store_dwordx4 v[46:47], v[42:45], off
	s_cbranch_execnz .LBB173_32
.LBB173_31:                             ;   in Loop: Header=BB173_11 Depth=1
	ds_read2_b64 v[42:45], v57 offset1:1
	v_mov_b32_e32 v33, v8
	v_lshl_add_u64 v[46:47], v[38:39], 0, v[32:33]
	s_waitcnt lgkmcnt(0)
	global_store_dwordx4 v[46:47], v[42:45], off offset:32
.LBB173_32:                             ;   in Loop: Header=BB173_11 Depth=1
	s_or_b64 exec, exec, s[40:41]
	s_and_saveexec_b64 s[40:41], s[2:3]
	s_cbranch_execz .LBB173_36
; %bb.33:                               ;   in Loop: Header=BB173_11 Depth=1
	s_and_b64 vcc, exec, s[0:1]
	s_cbranch_vccnz .LBB173_57
; %bb.34:                               ;   in Loop: Header=BB173_11 Depth=1
	ds_read2_b64 v[42:45], v58 offset1:1
	v_lshl_add_u64 v[46:47], v[20:21], 4, v[40:41]
	s_waitcnt lgkmcnt(0)
	global_store_dwordx4 v[46:47], v[42:45], off
	s_cbranch_execnz .LBB173_36
.LBB173_35:                             ;   in Loop: Header=BB173_11 Depth=1
	ds_read2_b64 v[42:45], v58 offset1:1
	v_mov_b32_e32 v33, v8
	v_lshl_add_u64 v[46:47], v[38:39], 0, v[32:33]
	s_waitcnt lgkmcnt(0)
	global_store_dwordx4 v[46:47], v[42:45], off offset:64
.LBB173_36:                             ;   in Loop: Header=BB173_11 Depth=1
	s_or_b64 exec, exec, s[40:41]
	s_and_saveexec_b64 s[40:41], s[6:7]
	s_cbranch_execz .LBB173_40
; %bb.37:                               ;   in Loop: Header=BB173_11 Depth=1
	s_and_b64 vcc, exec, s[0:1]
	s_cbranch_vccnz .LBB173_58
; %bb.38:                               ;   in Loop: Header=BB173_11 Depth=1
	ds_read2_b64 v[42:45], v59 offset1:1
	v_lshl_add_u64 v[46:47], v[22:23], 4, v[40:41]
	s_waitcnt lgkmcnt(0)
	global_store_dwordx4 v[46:47], v[42:45], off
	s_cbranch_execnz .LBB173_40
.LBB173_39:                             ;   in Loop: Header=BB173_11 Depth=1
	ds_read2_b64 v[42:45], v59 offset1:1
	v_mov_b32_e32 v33, v8
	v_lshl_add_u64 v[46:47], v[38:39], 0, v[32:33]
	s_waitcnt lgkmcnt(0)
	global_store_dwordx4 v[46:47], v[42:45], off offset:96
.LBB173_40:                             ;   in Loop: Header=BB173_11 Depth=1
	s_or_b64 exec, exec, s[40:41]
	s_and_saveexec_b64 s[40:41], s[8:9]
	s_cbranch_execz .LBB173_44
; %bb.41:                               ;   in Loop: Header=BB173_11 Depth=1
	s_and_b64 vcc, exec, s[0:1]
	s_cbranch_vccnz .LBB173_59
; %bb.42:                               ;   in Loop: Header=BB173_11 Depth=1
	ds_read2_b64 v[42:45], v60 offset1:1
	v_lshl_add_u64 v[46:47], v[24:25], 4, v[40:41]
	s_waitcnt lgkmcnt(0)
	global_store_dwordx4 v[46:47], v[42:45], off
	s_cbranch_execnz .LBB173_44
.LBB173_43:                             ;   in Loop: Header=BB173_11 Depth=1
	ds_read2_b64 v[42:45], v60 offset1:1
	v_mov_b32_e32 v33, v8
	v_lshl_add_u64 v[46:47], v[38:39], 0, v[32:33]
	s_waitcnt lgkmcnt(0)
	global_store_dwordx4 v[46:47], v[42:45], off offset:128
.LBB173_44:                             ;   in Loop: Header=BB173_11 Depth=1
	s_or_b64 exec, exec, s[40:41]
	s_and_saveexec_b64 s[40:41], s[10:11]
	s_cbranch_execz .LBB173_48
; %bb.45:                               ;   in Loop: Header=BB173_11 Depth=1
	s_and_b64 vcc, exec, s[0:1]
	s_cbranch_vccnz .LBB173_60
; %bb.46:                               ;   in Loop: Header=BB173_11 Depth=1
	ds_read2_b64 v[42:45], v61 offset1:1
	v_lshl_add_u64 v[46:47], v[26:27], 4, v[40:41]
	s_waitcnt lgkmcnt(0)
	global_store_dwordx4 v[46:47], v[42:45], off
	s_cbranch_execnz .LBB173_48
.LBB173_47:                             ;   in Loop: Header=BB173_11 Depth=1
	ds_read2_b64 v[42:45], v61 offset1:1
	v_mov_b32_e32 v33, v8
	v_lshl_add_u64 v[46:47], v[38:39], 0, v[32:33]
	s_waitcnt lgkmcnt(0)
	global_store_dwordx4 v[46:47], v[42:45], off offset:160
.LBB173_48:                             ;   in Loop: Header=BB173_11 Depth=1
	s_or_b64 exec, exec, s[40:41]
	s_and_saveexec_b64 s[40:41], s[12:13]
	s_cbranch_execz .LBB173_52
; %bb.49:                               ;   in Loop: Header=BB173_11 Depth=1
	s_and_b64 vcc, exec, s[0:1]
	s_cbranch_vccnz .LBB173_61
; %bb.50:                               ;   in Loop: Header=BB173_11 Depth=1
	ds_read2_b64 v[42:45], v62 offset1:1
	v_lshl_add_u64 v[46:47], v[28:29], 4, v[40:41]
	s_waitcnt lgkmcnt(0)
	global_store_dwordx4 v[46:47], v[42:45], off
	s_cbranch_execnz .LBB173_52
.LBB173_51:                             ;   in Loop: Header=BB173_11 Depth=1
	ds_read2_b64 v[42:45], v62 offset1:1
	v_mov_b32_e32 v33, v8
	v_lshl_add_u64 v[46:47], v[38:39], 0, v[32:33]
	s_waitcnt lgkmcnt(0)
	global_store_dwordx4 v[46:47], v[42:45], off offset:192
.LBB173_52:                             ;   in Loop: Header=BB173_11 Depth=1
	s_or_b64 exec, exec, s[40:41]
	s_nop 0
	v_mov_b64_e32 v[42:43], 1
	s_and_saveexec_b64 s[40:41], s[4:5]
	s_cbranch_execz .LBB173_9
; %bb.53:                               ;   in Loop: Header=BB173_11 Depth=1
	s_and_b64 vcc, exec, s[0:1]
	s_cbranch_vccnz .LBB173_62
; %bb.54:                               ;   in Loop: Header=BB173_11 Depth=1
	ds_read2_b64 v[42:45], v63 offset1:1
	v_lshl_add_u64 v[40:41], v[30:31], 4, v[40:41]
	s_mov_b64 s[0:1], 1
	s_waitcnt lgkmcnt(0)
	global_store_dwordx4 v[40:41], v[42:45], off
	s_cbranch_execnz .LBB173_8
	s_branch .LBB173_63
.LBB173_55:                             ;   in Loop: Header=BB173_11 Depth=1
	s_branch .LBB173_27
.LBB173_56:                             ;   in Loop: Header=BB173_11 Depth=1
	s_branch .LBB173_31
.LBB173_57:                             ;   in Loop: Header=BB173_11 Depth=1
	s_branch .LBB173_35
.LBB173_58:                             ;   in Loop: Header=BB173_11 Depth=1
	s_branch .LBB173_39
.LBB173_59:                             ;   in Loop: Header=BB173_11 Depth=1
	s_branch .LBB173_43
.LBB173_60:                             ;   in Loop: Header=BB173_11 Depth=1
	s_branch .LBB173_47
.LBB173_61:                             ;   in Loop: Header=BB173_11 Depth=1
	s_branch .LBB173_51
.LBB173_62:                             ;   in Loop: Header=BB173_11 Depth=1
                                        ; implicit-def: $sgpr0_sgpr1
.LBB173_63:                             ;   in Loop: Header=BB173_11 Depth=1
	ds_read2_b64 v[40:43], v63 offset1:1
	v_mov_b32_e32 v33, v8
	v_lshl_add_u64 v[38:39], v[38:39], 0, v[32:33]
	s_mov_b64 s[0:1], 1
	s_waitcnt lgkmcnt(0)
	global_store_dwordx4 v[38:39], v[40:43], off offset:224
	s_branch .LBB173_8
.LBB173_64:
	s_endpgm
	.section	.rodata,"a",@progbits
	.p2align	6, 0x0
	.amdhsa_kernel _ZN9rocsparseL42csr2bsr_wavefront_per_row_multipass_kernelILj256ELj32ELj16E21rocsparse_complex_numIdEllEEv20rocsparse_direction_T4_S4_S4_S4_S4_21rocsparse_index_base_PKT2_PKT3_PKS4_S5_PS6_PS9_PS4_
		.amdhsa_group_segment_fixed_size 32776
		.amdhsa_private_segment_fixed_size 0
		.amdhsa_kernarg_size 112
		.amdhsa_user_sgpr_count 2
		.amdhsa_user_sgpr_dispatch_ptr 0
		.amdhsa_user_sgpr_queue_ptr 0
		.amdhsa_user_sgpr_kernarg_segment_ptr 1
		.amdhsa_user_sgpr_dispatch_id 0
		.amdhsa_user_sgpr_kernarg_preload_length 0
		.amdhsa_user_sgpr_kernarg_preload_offset 0
		.amdhsa_user_sgpr_private_segment_size 0
		.amdhsa_uses_dynamic_stack 0
		.amdhsa_enable_private_segment 0
		.amdhsa_system_sgpr_workgroup_id_x 1
		.amdhsa_system_sgpr_workgroup_id_y 0
		.amdhsa_system_sgpr_workgroup_id_z 0
		.amdhsa_system_sgpr_workgroup_info 0
		.amdhsa_system_vgpr_workitem_id 0
		.amdhsa_next_free_vgpr 74
		.amdhsa_next_free_sgpr 49
		.amdhsa_accum_offset 76
		.amdhsa_reserve_vcc 1
		.amdhsa_float_round_mode_32 0
		.amdhsa_float_round_mode_16_64 0
		.amdhsa_float_denorm_mode_32 3
		.amdhsa_float_denorm_mode_16_64 3
		.amdhsa_dx10_clamp 1
		.amdhsa_ieee_mode 1
		.amdhsa_fp16_overflow 0
		.amdhsa_tg_split 0
		.amdhsa_exception_fp_ieee_invalid_op 0
		.amdhsa_exception_fp_denorm_src 0
		.amdhsa_exception_fp_ieee_div_zero 0
		.amdhsa_exception_fp_ieee_overflow 0
		.amdhsa_exception_fp_ieee_underflow 0
		.amdhsa_exception_fp_ieee_inexact 0
		.amdhsa_exception_int_div_zero 0
	.end_amdhsa_kernel
	.section	.text._ZN9rocsparseL42csr2bsr_wavefront_per_row_multipass_kernelILj256ELj32ELj16E21rocsparse_complex_numIdEllEEv20rocsparse_direction_T4_S4_S4_S4_S4_21rocsparse_index_base_PKT2_PKT3_PKS4_S5_PS6_PS9_PS4_,"axG",@progbits,_ZN9rocsparseL42csr2bsr_wavefront_per_row_multipass_kernelILj256ELj32ELj16E21rocsparse_complex_numIdEllEEv20rocsparse_direction_T4_S4_S4_S4_S4_21rocsparse_index_base_PKT2_PKT3_PKS4_S5_PS6_PS9_PS4_,comdat
.Lfunc_end173:
	.size	_ZN9rocsparseL42csr2bsr_wavefront_per_row_multipass_kernelILj256ELj32ELj16E21rocsparse_complex_numIdEllEEv20rocsparse_direction_T4_S4_S4_S4_S4_21rocsparse_index_base_PKT2_PKT3_PKS4_S5_PS6_PS9_PS4_, .Lfunc_end173-_ZN9rocsparseL42csr2bsr_wavefront_per_row_multipass_kernelILj256ELj32ELj16E21rocsparse_complex_numIdEllEEv20rocsparse_direction_T4_S4_S4_S4_S4_21rocsparse_index_base_PKT2_PKT3_PKS4_S5_PS6_PS9_PS4_
                                        ; -- End function
	.section	.AMDGPU.csdata,"",@progbits
; Kernel info:
; codeLenInByte = 3284
; NumSgprs: 55
; NumVgprs: 74
; NumAgprs: 0
; TotalNumVgprs: 74
; ScratchSize: 0
; MemoryBound: 0
; FloatMode: 240
; IeeeMode: 1
; LDSByteSize: 32776 bytes/workgroup (compile time only)
; SGPRBlocks: 6
; VGPRBlocks: 9
; NumSGPRsForWavesPerEU: 55
; NumVGPRsForWavesPerEU: 74
; AccumOffset: 76
; Occupancy: 1
; WaveLimiterHint : 0
; COMPUTE_PGM_RSRC2:SCRATCH_EN: 0
; COMPUTE_PGM_RSRC2:USER_SGPR: 2
; COMPUTE_PGM_RSRC2:TRAP_HANDLER: 0
; COMPUTE_PGM_RSRC2:TGID_X_EN: 1
; COMPUTE_PGM_RSRC2:TGID_Y_EN: 0
; COMPUTE_PGM_RSRC2:TGID_Z_EN: 0
; COMPUTE_PGM_RSRC2:TIDIG_COMP_CNT: 0
; COMPUTE_PGM_RSRC3_GFX90A:ACCUM_OFFSET: 18
; COMPUTE_PGM_RSRC3_GFX90A:TG_SPLIT: 0
	.section	.text._ZN9rocsparseL38csr2bsr_block_per_row_multipass_kernelILj256ELj32E21rocsparse_complex_numIdEllEEv20rocsparse_direction_T3_S4_S4_S4_S4_21rocsparse_index_base_PKT1_PKT2_PKS4_S5_PS6_PS9_PS4_,"axG",@progbits,_ZN9rocsparseL38csr2bsr_block_per_row_multipass_kernelILj256ELj32E21rocsparse_complex_numIdEllEEv20rocsparse_direction_T3_S4_S4_S4_S4_21rocsparse_index_base_PKT1_PKT2_PKS4_S5_PS6_PS9_PS4_,comdat
	.globl	_ZN9rocsparseL38csr2bsr_block_per_row_multipass_kernelILj256ELj32E21rocsparse_complex_numIdEllEEv20rocsparse_direction_T3_S4_S4_S4_S4_21rocsparse_index_base_PKT1_PKT2_PKS4_S5_PS6_PS9_PS4_ ; -- Begin function _ZN9rocsparseL38csr2bsr_block_per_row_multipass_kernelILj256ELj32E21rocsparse_complex_numIdEllEEv20rocsparse_direction_T3_S4_S4_S4_S4_21rocsparse_index_base_PKT1_PKT2_PKS4_S5_PS6_PS9_PS4_
	.p2align	8
	.type	_ZN9rocsparseL38csr2bsr_block_per_row_multipass_kernelILj256ELj32E21rocsparse_complex_numIdEllEEv20rocsparse_direction_T3_S4_S4_S4_S4_21rocsparse_index_base_PKT1_PKT2_PKS4_S5_PS6_PS9_PS4_,@function
_ZN9rocsparseL38csr2bsr_block_per_row_multipass_kernelILj256ELj32E21rocsparse_complex_numIdEllEEv20rocsparse_direction_T3_S4_S4_S4_S4_21rocsparse_index_base_PKT1_PKT2_PKS4_S5_PS6_PS9_PS4_: ; @_ZN9rocsparseL38csr2bsr_block_per_row_multipass_kernelILj256ELj32E21rocsparse_complex_numIdEllEEv20rocsparse_direction_T3_S4_S4_S4_S4_21rocsparse_index_base_PKT1_PKT2_PKS4_S5_PS6_PS9_PS4_
; %bb.0:
	s_load_dwordx2 s[6:7], s[0:1], 0x8
	s_load_dwordx4 s[20:23], s[0:1], 0x20
	s_load_dword s33, s[0:1], 0x30
	s_load_dwordx2 s[4:5], s[0:1], 0x40
	s_ashr_i32 s3, s2, 31
	v_lshrrev_b32_e32 v2, 3, v0
	v_mov_b32_e32 v3, 0
	s_waitcnt lgkmcnt(0)
	s_mul_i32 s8, s2, s23
	s_mul_i32 s9, s3, s22
	v_mov_b32_e32 v1, s22
	s_add_i32 s10, s8, s9
	v_mad_u64_u32 v[6:7], s[8:9], s2, v1, v[2:3]
	v_add_u32_e32 v7, s10, v7
	v_cmp_gt_i64_e32 vcc, s[6:7], v[6:7]
	v_cmp_gt_i64_e64 s[18:19], s[22:23], v[2:3]
	v_mov_b64_e32 v[4:5], 0
	s_and_b64 s[6:7], s[18:19], vcc
	v_mov_b64_e32 v[22:23], v[4:5]
	s_and_saveexec_b64 s[8:9], s[6:7]
	s_cbranch_execnz .LBB174_3
; %bb.1:
	s_or_b64 exec, exec, s[8:9]
	s_and_saveexec_b64 s[8:9], s[6:7]
	s_cbranch_execnz .LBB174_4
.LBB174_2:
	s_or_b64 exec, exec, s[8:9]
	v_cmp_lt_i64_e64 s[4:5], s[20:21], 1
	s_and_b64 vcc, exec, s[4:5]
	s_cbranch_vccz .LBB174_5
	s_branch .LBB174_45
.LBB174_3:
	v_lshl_add_u64 v[8:9], v[6:7], 3, s[4:5]
	global_load_dwordx2 v[8:9], v[8:9], off
	s_waitcnt vmcnt(0)
	v_subrev_co_u32_e32 v22, vcc, s33, v8
	s_nop 1
	v_subbrev_co_u32_e32 v23, vcc, 0, v9, vcc
	s_or_b64 exec, exec, s[8:9]
	s_and_saveexec_b64 s[8:9], s[6:7]
	s_cbranch_execz .LBB174_2
.LBB174_4:
	v_lshl_add_u64 v[4:5], v[6:7], 3, s[4:5]
	global_load_dwordx2 v[4:5], v[4:5], off offset:8
	s_waitcnt vmcnt(0)
	v_subrev_co_u32_e32 v4, vcc, s33, v4
	s_nop 1
	v_subbrev_co_u32_e32 v5, vcc, 0, v5, vcc
	s_or_b64 exec, exec, s[8:9]
	v_cmp_lt_i64_e64 s[4:5], s[20:21], 1
	s_and_b64 vcc, exec, s[4:5]
	s_cbranch_vccnz .LBB174_45
.LBB174_5:
	s_load_dwordx2 s[24:25], s[0:1], 0x68
	s_load_dwordx4 s[4:7], s[0:1], 0x58
	s_load_dword s60, s[0:1], 0x50
	s_mul_i32 s8, s22, s23
	s_mul_hi_u32 s9, s22, s22
	s_add_i32 s9, s9, s8
	s_add_i32 s62, s9, s8
	s_lshl_b64 s[2:3], s[2:3], 3
	s_waitcnt lgkmcnt(0)
	s_add_u32 s2, s6, s2
	s_addc_u32 s3, s7, s3
	s_load_dwordx2 s[6:7], s[2:3], 0x0
	s_load_dwordx2 s[26:27], s[0:1], 0x48
	;; [unrolled: 1-line block ×3, first 2 shown]
	s_load_dword s8, s[0:1], 0x0
	v_mad_u64_u32 v[12:13], s[2:3], v2, s22, 0
	v_mov_b32_e32 v14, v13
	v_lshlrev_b32_e32 v8, 4, v2
	v_mov_b32_e32 v6, 0
	s_waitcnt lgkmcnt(0)
	s_sub_u32 s30, s6, s60
	v_lshlrev_b32_e32 v36, 5, v2
	v_mad_u64_u32 v[2:3], s[2:3], v2, s23, v[14:15]
	v_mov_b32_e32 v9, v6
	v_and_b32_e32 v10, 7, v0
	s_subb_u32 s31, s7, 0
	v_mov_b32_e32 v13, v2
	s_movk_i32 s2, 0x80
	v_lshl_add_u64 v[8:9], s[4:5], 0, v[8:9]
	v_mbcnt_lo_u32_b32 v1, -1, 0
	s_cmp_eq_u32 s8, 0
	v_lshl_add_u64 v[2:3], v[12:13], 4, s[4:5]
	v_lshlrev_b32_e32 v38, 3, v0
	v_cmp_gt_u32_e64 s[2:3], s2, v0
	v_cmp_gt_u32_e64 s[4:5], 64, v0
	;; [unrolled: 1-line block ×7, first 2 shown]
	v_cmp_eq_u32_e64 s[16:17], 0, v0
	v_or_b32_e32 v0, v36, v10
	v_mad_u64_u32 v[14:15], s[36:37], v10, s22, 0
	v_mbcnt_hi_u32_b32 v1, -1, v1
	v_lshlrev_b32_e32 v39, 4, v0
	v_mov_b32_e32 v0, v15
	v_lshl_or_b32 v37, v1, 2, 28
	v_mad_u64_u32 v[0:1], s[36:37], v10, s23, v[0:1]
	v_mov_b32_e32 v15, v0
	v_or_b32_e32 v0, 8, v10
	v_mov_b32_e32 v11, v6
	v_lshlrev_b32_e32 v12, 4, v10
	v_mov_b32_e32 v13, v6
	v_mad_u64_u32 v[16:17], s[38:39], v0, s22, 0
	v_lshl_add_u64 v[12:13], v[2:3], 0, v[12:13]
	v_cmp_gt_i64_e32 vcc, s[22:23], v[10:11]
	v_mov_b32_e32 v1, v6
	v_mov_b32_e32 v2, v17
	v_cvt_f32_u32_e32 v7, s22
	s_cselect_b64 s[0:1], -1, 0
	s_and_b64 s[34:35], s[18:19], vcc
	v_cmp_gt_i64_e32 vcc, s[22:23], v[0:1]
	v_mad_u64_u32 v[0:1], s[38:39], v0, s23, v[2:3]
	v_mov_b32_e32 v17, v0
	v_or_b32_e32 v0, 16, v10
	v_mad_u64_u32 v[18:19], s[40:41], v0, s22, 0
	v_mov_b32_e32 v1, v6
	v_mov_b32_e32 v2, v19
	v_rcp_iflag_f32_e32 v7, v7
	s_and_b64 s[36:37], s[18:19], vcc
	v_cmp_gt_i64_e32 vcc, s[22:23], v[0:1]
	v_mad_u64_u32 v[0:1], s[40:41], v0, s23, v[2:3]
	v_mov_b32_e32 v19, v0
	v_or_b32_e32 v0, 24, v10
	v_mov_b32_e32 v1, v6
	s_and_b64 s[38:39], s[18:19], vcc
	v_cmp_gt_i64_e32 vcc, s[22:23], v[0:1]
	s_and_b64 s[40:41], s[18:19], vcc
	v_mad_u64_u32 v[20:21], s[18:19], v0, s22, 0
	v_mul_f32_e32 v7, 0x4f7ffffe, v7
	s_mov_b32 s61, 0
	v_mov_b32_e32 v2, v21
	v_cvt_u32_f32_e32 v43, v7
	v_mad_u64_u32 v[0:1], s[18:19], v0, s23, v[2:3]
	s_mov_b32 s44, s61
	s_mov_b32 s45, s61
	v_mov_b32_e32 v21, v0
	s_mov_b32 s46, s61
	s_mov_b32 s47, s61
	v_mov_b64_e32 v[0:1], s[44:45]
	s_mul_i32 s63, s22, s22
	v_or_b32_e32 v40, 0x80, v39
	v_or_b32_e32 v41, 0x100, v39
	;; [unrolled: 1-line block ×3, first 2 shown]
	s_mov_b64 s[48:49], 0
	v_mov_b64_e32 v[2:3], s[46:47]
	s_mov_b64 s[42:43], 0x80
	s_mov_b64 s[44:45], 0x100
	;; [unrolled: 1-line block ×3, first 2 shown]
	v_mov_b32_e32 v44, 1
	s_branch .LBB174_7
.LBB174_6:                              ;   in Loop: Header=BB174_7 Depth=1
	s_or_b64 exec, exec, s[48:49]
	s_waitcnt lgkmcnt(0)
	s_barrier
	ds_read_b64 v[24:25], v6
	s_add_u32 s30, s18, s30
	s_addc_u32 s31, s19, s31
	s_waitcnt lgkmcnt(0)
	s_barrier
	v_cmp_gt_i64_e32 vcc, s[20:21], v[24:25]
	v_readfirstlane_b32 s48, v24
	v_readfirstlane_b32 s49, v25
	s_cbranch_vccz .LBB174_45
.LBB174_7:                              ; =>This Loop Header: Depth=1
                                        ;     Child Loop BB174_10 Depth 2
	v_lshl_add_u64 v[22:23], v[22:23], 0, v[10:11]
	v_cmp_lt_i64_e32 vcc, v[22:23], v[4:5]
	v_mov_b64_e32 v[24:25], s[20:21]
	v_mov_b64_e32 v[34:35], v[4:5]
	ds_write_b8 v6, v6 offset:16384
	ds_write_b128 v39, v[0:3]
	ds_write_b128 v39, v[0:3] offset:128
	ds_write_b128 v39, v[0:3] offset:256
	;; [unrolled: 1-line block ×3, first 2 shown]
	s_waitcnt lgkmcnt(0)
	s_barrier
	s_and_saveexec_b64 s[50:51], vcc
	s_cbranch_execz .LBB174_19
; %bb.8:                                ;   in Loop: Header=BB174_7 Depth=1
	s_mul_i32 s64, s48, s22
	v_lshl_add_u64 v[26:27], v[22:23], 4, s[28:29]
	v_lshl_add_u64 v[28:29], v[22:23], 3, s[26:27]
	s_mov_b64 s[52:53], 0
	v_mov_b64_e32 v[24:25], s[20:21]
	v_mov_b64_e32 v[30:31], v[4:5]
	s_branch .LBB174_10
.LBB174_9:                              ;   in Loop: Header=BB174_10 Depth=2
	s_or_b64 exec, exec, s[18:19]
	v_lshl_add_u64 v[22:23], v[22:23], 0, 8
	v_cmp_ge_i64_e64 s[18:19], v[22:23], v[4:5]
	s_xor_b64 s[54:55], vcc, -1
	s_or_b64 s[18:19], s[54:55], s[18:19]
	s_and_b64 s[18:19], exec, s[18:19]
	v_lshl_add_u64 v[26:27], v[26:27], 0, s[42:43]
	v_lshl_add_u64 v[28:29], v[28:29], 0, 64
	s_or_b64 s[52:53], s[18:19], s[52:53]
	v_mov_b64_e32 v[30:31], v[34:35]
	s_andn2_b64 exec, exec, s[52:53]
	s_cbranch_execz .LBB174_18
.LBB174_10:                             ;   Parent Loop BB174_7 Depth=1
                                        ; =>  This Inner Loop Header: Depth=2
	global_load_dwordx2 v[32:33], v[28:29], off
	v_mov_b32_e32 v7, s61
                                        ; implicit-def: $vgpr34_vgpr35
	s_waitcnt vmcnt(0)
	v_subrev_co_u32_e32 v32, vcc, s33, v32
	s_nop 1
	v_subb_co_u32_e32 v33, vcc, v33, v7, vcc
	v_or_b32_e32 v7, s23, v33
	v_cmp_ne_u64_e32 vcc, 0, v[6:7]
	s_and_saveexec_b64 s[18:19], vcc
	s_xor_b64 s[54:55], exec, s[18:19]
	s_cbranch_execz .LBB174_12
; %bb.11:                               ;   in Loop: Header=BB174_10 Depth=2
	s_ashr_i32 s56, s23, 31
	s_add_u32 s18, s22, s56
	s_mov_b32 s57, s56
	s_addc_u32 s19, s23, s56
	s_xor_b64 s[58:59], s[18:19], s[56:57]
	v_cvt_f32_u32_e32 v7, s58
	v_cvt_f32_u32_e32 v34, s59
	s_sub_u32 s18, 0, s58
	s_subb_u32 s19, 0, s59
	v_mov_b32_e32 v47, v6
	v_fmac_f32_e32 v7, 0x4f800000, v34
	v_rcp_f32_e32 v7, v7
	s_nop 0
	v_mul_f32_e32 v7, 0x5f7ffffc, v7
	v_mul_f32_e32 v34, 0x2f800000, v7
	v_trunc_f32_e32 v34, v34
	v_fmac_f32_e32 v7, 0xcf800000, v34
	v_cvt_u32_f32_e32 v45, v34
	v_cvt_u32_f32_e32 v7, v7
	v_mul_lo_u32 v34, s18, v45
	v_mul_hi_u32 v46, s18, v7
	v_mul_lo_u32 v35, s19, v7
	v_add_u32_e32 v34, v46, v34
	v_mul_lo_u32 v48, s18, v7
	v_add_u32_e32 v49, v34, v35
	v_mul_hi_u32 v35, v7, v49
	v_mul_lo_u32 v34, v7, v49
	v_mul_hi_u32 v46, v7, v48
	v_lshl_add_u64 v[34:35], v[46:47], 0, v[34:35]
	v_mul_hi_u32 v47, v45, v48
	v_mul_lo_u32 v48, v45, v48
	v_add_co_u32_e32 v34, vcc, v34, v48
	v_mul_hi_u32 v46, v45, v49
	s_nop 0
	v_addc_co_u32_e32 v34, vcc, v35, v47, vcc
	v_mov_b32_e32 v35, v6
	s_nop 0
	v_addc_co_u32_e32 v47, vcc, 0, v46, vcc
	v_mul_lo_u32 v46, v45, v49
	v_lshl_add_u64 v[34:35], v[34:35], 0, v[46:47]
	v_add_co_u32_e32 v7, vcc, v7, v34
	v_mul_lo_u32 v46, s18, v7
	s_nop 0
	v_addc_co_u32_e32 v45, vcc, v45, v35, vcc
	v_mul_lo_u32 v34, s18, v45
	v_mul_hi_u32 v35, s18, v7
	v_add_u32_e32 v34, v35, v34
	v_mul_lo_u32 v35, s19, v7
	v_add_u32_e32 v48, v34, v35
	v_mul_hi_u32 v50, v45, v46
	v_mul_lo_u32 v51, v45, v46
	v_mul_hi_u32 v35, v7, v48
	v_mul_lo_u32 v34, v7, v48
	v_mul_hi_u32 v46, v7, v46
	v_mov_b32_e32 v47, v6
	v_lshl_add_u64 v[34:35], v[46:47], 0, v[34:35]
	v_add_co_u32_e32 v34, vcc, v34, v51
	v_mul_hi_u32 v49, v45, v48
	s_nop 0
	v_addc_co_u32_e32 v34, vcc, v35, v50, vcc
	v_mul_lo_u32 v46, v45, v48
	s_nop 0
	v_addc_co_u32_e32 v47, vcc, 0, v49, vcc
	v_mov_b32_e32 v35, v6
	v_lshl_add_u64 v[34:35], v[34:35], 0, v[46:47]
	v_add_co_u32_e32 v7, vcc, v7, v34
	v_ashrrev_i32_e32 v34, 31, v33
	s_nop 0
	v_addc_co_u32_e32 v45, vcc, v45, v35, vcc
	v_mov_b32_e32 v35, v34
	v_lshl_add_u64 v[46:47], v[32:33], 0, v[34:35]
	v_xor_b32_e32 v35, v46, v34
	v_xor_b32_e32 v33, v47, v34
	v_mad_u64_u32 v[46:47], s[18:19], v35, v45, 0
	v_mul_hi_u32 v48, v35, v7
	v_mov_b32_e32 v49, v6
	v_lshl_add_u64 v[46:47], v[48:49], 0, v[46:47]
	v_mad_u64_u32 v[50:51], s[18:19], v33, v7, 0
	v_add_co_u32_e32 v7, vcc, v46, v50
	v_mad_u64_u32 v[48:49], s[18:19], v33, v45, 0
	s_nop 0
	v_addc_co_u32_e32 v46, vcc, v47, v51, vcc
	v_mov_b32_e32 v47, v6
	s_nop 0
	v_addc_co_u32_e32 v49, vcc, 0, v49, vcc
	v_lshl_add_u64 v[46:47], v[46:47], 0, v[48:49]
	v_mul_lo_u32 v7, s59, v46
	v_mul_lo_u32 v45, s58, v47
	v_mad_u64_u32 v[48:49], s[18:19], s58, v46, 0
	v_add3_u32 v7, v49, v45, v7
	v_sub_u32_e32 v45, v33, v7
	v_mov_b32_e32 v49, s59
	v_sub_co_u32_e32 v35, vcc, v35, v48
	v_lshl_add_u64 v[50:51], v[46:47], 0, 1
	s_nop 0
	v_subb_co_u32_e64 v45, s[18:19], v45, v49, vcc
	v_subrev_co_u32_e64 v48, s[18:19], s58, v35
	v_subb_co_u32_e32 v7, vcc, v33, v7, vcc
	s_nop 0
	v_subbrev_co_u32_e64 v45, s[18:19], 0, v45, s[18:19]
	v_cmp_le_u32_e64 s[18:19], s59, v45
	v_cmp_le_u32_e32 vcc, s59, v7
	s_nop 0
	v_cndmask_b32_e64 v49, 0, -1, s[18:19]
	v_cmp_le_u32_e64 s[18:19], s58, v48
	v_cndmask_b32_e64 v33, 0, -1, vcc
	v_cmp_le_u32_e32 vcc, s58, v35
	v_cndmask_b32_e64 v48, 0, -1, s[18:19]
	v_cmp_eq_u32_e64 s[18:19], s59, v45
	v_cndmask_b32_e64 v35, 0, -1, vcc
	v_cmp_eq_u32_e32 vcc, s59, v7
	v_cndmask_b32_e64 v45, v49, v48, s[18:19]
	v_lshl_add_u64 v[48:49], v[46:47], 0, 2
	v_cmp_ne_u32_e64 s[18:19], 0, v45
	v_cndmask_b32_e32 v7, v33, v35, vcc
	v_cmp_ne_u32_e32 vcc, 0, v7
	v_cndmask_b32_e64 v33, v50, v48, s[18:19]
	v_cndmask_b32_e64 v45, v51, v49, s[18:19]
	v_cndmask_b32_e32 v33, v46, v33, vcc
	v_xor_b32_e32 v35, s56, v34
	v_cndmask_b32_e32 v7, v47, v45, vcc
	v_xor_b32_e32 v33, v33, v35
	v_xor_b32_e32 v7, v7, v35
	v_sub_co_u32_e32 v34, vcc, v33, v35
	s_nop 1
	v_subb_co_u32_e32 v35, vcc, v7, v35, vcc
.LBB174_12:                             ;   in Loop: Header=BB174_10 Depth=2
	s_andn2_saveexec_b64 s[18:19], s[54:55]
	s_cbranch_execz .LBB174_14
; %bb.13:                               ;   in Loop: Header=BB174_10 Depth=2
	s_sub_i32 s54, 0, s22
	v_mul_lo_u32 v7, s54, v43
	v_mul_hi_u32 v7, v43, v7
	v_add_u32_e32 v7, v43, v7
	v_mul_hi_u32 v7, v32, v7
	v_mul_lo_u32 v33, v7, s22
	v_sub_u32_e32 v33, v32, v33
	v_subrev_u32_e32 v34, s22, v33
	v_cmp_le_u32_e32 vcc, s22, v33
	v_mov_b32_e32 v35, v6
	s_nop 0
	v_cndmask_b32_e32 v33, v33, v34, vcc
	v_add_u32_e32 v34, 1, v7
	v_cndmask_b32_e32 v7, v7, v34, vcc
	v_add_u32_e32 v34, 1, v7
	v_cmp_le_u32_e32 vcc, s22, v33
	s_nop 1
	v_cndmask_b32_e32 v34, v7, v34, vcc
.LBB174_14:                             ;   in Loop: Header=BB174_10 Depth=2
	s_or_b64 exec, exec, s[18:19]
	v_cmp_eq_u64_e32 vcc, s[48:49], v[34:35]
	v_cmp_ne_u64_e64 s[18:19], s[48:49], v[34:35]
	s_and_saveexec_b64 s[54:55], s[18:19]
	s_xor_b64 s[54:55], exec, s[54:55]
; %bb.15:                               ;   in Loop: Header=BB174_10 Depth=2
	v_cmp_lt_i64_e64 s[18:19], v[34:35], v[24:25]
                                        ; implicit-def: $vgpr32_vgpr33
                                        ; implicit-def: $vgpr30_vgpr31
	s_nop 1
	v_cndmask_b32_e64 v25, v25, v35, s[18:19]
	v_cndmask_b32_e64 v24, v24, v34, s[18:19]
; %bb.16:                               ;   in Loop: Header=BB174_10 Depth=2
	s_or_saveexec_b64 s[18:19], s[54:55]
	v_mov_b64_e32 v[34:35], v[22:23]
	s_xor_b64 exec, exec, s[18:19]
	s_cbranch_execz .LBB174_9
; %bb.17:                               ;   in Loop: Header=BB174_10 Depth=2
	global_load_dwordx4 v[46:49], v[26:27], off
	v_subrev_u32_e32 v7, s64, v32
	v_add_lshl_u32 v7, v36, v7, 4
	v_mov_b64_e32 v[34:35], v[30:31]
	ds_write_b8 v6, v44 offset:16384
	s_waitcnt vmcnt(0)
	ds_write2_b64 v7, v[46:47], v[48:49] offset1:1
	s_branch .LBB174_9
.LBB174_18:                             ;   in Loop: Header=BB174_7 Depth=1
	s_or_b64 exec, exec, s[52:53]
.LBB174_19:                             ;   in Loop: Header=BB174_7 Depth=1
	s_or_b64 exec, exec, s[50:51]
	v_mov_b32_dpp v22, v34 row_shr:1 row_mask:0xf bank_mask:0xf
	v_mov_b32_dpp v23, v35 row_shr:1 row_mask:0xf bank_mask:0xf
	v_cmp_lt_i64_e32 vcc, v[22:23], v[34:35]
	s_waitcnt lgkmcnt(0)
	s_barrier
	v_cndmask_b32_e32 v23, v35, v23, vcc
	v_cndmask_b32_e32 v22, v34, v22, vcc
	s_nop 0
	v_mov_b32_dpp v27, v23 row_shr:2 row_mask:0xf bank_mask:0xf
	v_mov_b32_dpp v26, v22 row_shr:2 row_mask:0xf bank_mask:0xf
	v_cmp_lt_i64_e32 vcc, v[26:27], v[22:23]
	s_mov_b64 s[18:19], 0
	s_nop 0
	v_cndmask_b32_e32 v23, v23, v27, vcc
	v_cndmask_b32_e32 v22, v22, v26, vcc
	s_nop 0
	v_mov_b32_dpp v27, v23 row_shr:4 row_mask:0xf bank_mask:0xe
	v_mov_b32_dpp v26, v22 row_shr:4 row_mask:0xf bank_mask:0xe
	v_cmp_lt_i64_e32 vcc, v[26:27], v[22:23]
	s_nop 1
	v_cndmask_b32_e32 v7, v23, v27, vcc
	ds_read_u8 v27, v6 offset:16384
	v_cndmask_b32_e32 v22, v22, v26, vcc
	ds_bpermute_b32 v22, v37, v22
	ds_bpermute_b32 v23, v37, v7
	s_waitcnt lgkmcnt(2)
	v_cmp_eq_u32_e32 vcc, 0, v27
	s_cbranch_vccnz .LBB174_26
; %bb.20:                               ;   in Loop: Header=BB174_7 Depth=1
	s_add_u32 s18, s48, s60
	s_addc_u32 s19, s49, 0
	s_lshl_b64 s[48:49], s[30:31], 3
	s_add_u32 s48, s24, s48
	v_mov_b64_e32 v[26:27], s[18:19]
	s_mul_i32 s18, s63, s31
	s_mul_hi_u32 s19, s63, s30
	s_addc_u32 s49, s25, s49
	s_add_i32 s18, s19, s18
	s_mul_i32 s19, s62, s30
	s_add_i32 s19, s18, s19
	s_mul_i32 s18, s63, s30
	s_lshl_b64 s[18:19], s[18:19], 4
	global_store_dwordx2 v6, v[26:27], s[48:49]
	v_lshl_add_u64 v[26:27], v[8:9], 0, s[18:19]
	v_lshl_add_u64 v[28:29], v[12:13], 0, s[18:19]
	s_and_saveexec_b64 s[18:19], s[34:35]
	s_cbranch_execnz .LBB174_42
; %bb.21:                               ;   in Loop: Header=BB174_7 Depth=1
	s_or_b64 exec, exec, s[18:19]
	s_and_saveexec_b64 s[18:19], s[36:37]
	s_cbranch_execnz .LBB174_43
.LBB174_22:                             ;   in Loop: Header=BB174_7 Depth=1
	s_or_b64 exec, exec, s[18:19]
	s_and_saveexec_b64 s[18:19], s[38:39]
	s_cbranch_execnz .LBB174_44
.LBB174_23:                             ;   in Loop: Header=BB174_7 Depth=1
	s_or_b64 exec, exec, s[18:19]
	s_and_saveexec_b64 s[18:19], s[40:41]
	s_cbranch_execz .LBB174_25
.LBB174_24:                             ;   in Loop: Header=BB174_7 Depth=1
	ds_read2_b64 v[30:33], v42 offset1:1
	v_lshl_add_u64 v[28:29], v[28:29], 0, s[46:47]
	v_lshl_add_u64 v[26:27], v[20:21], 4, v[26:27]
	v_cndmask_b32_e64 v27, v27, v29, s[0:1]
	v_cndmask_b32_e64 v26, v26, v28, s[0:1]
	s_waitcnt lgkmcnt(0)
	global_store_dwordx4 v[26:27], v[30:33], off
.LBB174_25:                             ;   in Loop: Header=BB174_7 Depth=1
	s_or_b64 exec, exec, s[18:19]
	s_mov_b64 s[18:19], 1
.LBB174_26:                             ;   in Loop: Header=BB174_7 Depth=1
	s_waitcnt lgkmcnt(0)
	s_barrier
	ds_write_b64 v38, v[24:25]
	s_waitcnt lgkmcnt(0)
	s_barrier
	s_and_saveexec_b64 s[48:49], s[2:3]
	s_cbranch_execz .LBB174_28
; %bb.27:                               ;   in Loop: Header=BB174_7 Depth=1
	ds_read2st64_b64 v[24:27], v38 offset1:2
	s_waitcnt lgkmcnt(0)
	v_cmp_lt_i64_e32 vcc, v[26:27], v[24:25]
	s_nop 1
	v_cndmask_b32_e32 v25, v25, v27, vcc
	v_cndmask_b32_e32 v24, v24, v26, vcc
	ds_write_b64 v38, v[24:25]
.LBB174_28:                             ;   in Loop: Header=BB174_7 Depth=1
	s_or_b64 exec, exec, s[48:49]
	s_waitcnt lgkmcnt(0)
	s_barrier
	s_and_saveexec_b64 s[48:49], s[4:5]
	s_cbranch_execz .LBB174_30
; %bb.29:                               ;   in Loop: Header=BB174_7 Depth=1
	ds_read2st64_b64 v[24:27], v38 offset1:1
	s_waitcnt lgkmcnt(0)
	v_cmp_lt_i64_e32 vcc, v[26:27], v[24:25]
	s_nop 1
	v_cndmask_b32_e32 v25, v25, v27, vcc
	v_cndmask_b32_e32 v24, v24, v26, vcc
	ds_write_b64 v38, v[24:25]
.LBB174_30:                             ;   in Loop: Header=BB174_7 Depth=1
	s_or_b64 exec, exec, s[48:49]
	s_waitcnt lgkmcnt(0)
	s_barrier
	s_and_saveexec_b64 s[48:49], s[6:7]
	s_cbranch_execz .LBB174_32
; %bb.31:                               ;   in Loop: Header=BB174_7 Depth=1
	ds_read2_b64 v[24:27], v38 offset1:32
	s_waitcnt lgkmcnt(0)
	v_cmp_lt_i64_e32 vcc, v[26:27], v[24:25]
	s_nop 1
	v_cndmask_b32_e32 v25, v25, v27, vcc
	v_cndmask_b32_e32 v24, v24, v26, vcc
	ds_write_b64 v38, v[24:25]
.LBB174_32:                             ;   in Loop: Header=BB174_7 Depth=1
	s_or_b64 exec, exec, s[48:49]
	s_waitcnt lgkmcnt(0)
	s_barrier
	s_and_saveexec_b64 s[48:49], s[8:9]
	s_cbranch_execz .LBB174_34
; %bb.33:                               ;   in Loop: Header=BB174_7 Depth=1
	ds_read2_b64 v[24:27], v38 offset1:16
	s_waitcnt lgkmcnt(0)
	v_cmp_lt_i64_e32 vcc, v[26:27], v[24:25]
	s_nop 1
	v_cndmask_b32_e32 v25, v25, v27, vcc
	v_cndmask_b32_e32 v24, v24, v26, vcc
	ds_write_b64 v38, v[24:25]
.LBB174_34:                             ;   in Loop: Header=BB174_7 Depth=1
	;; [unrolled: 14-line block ×5, first 2 shown]
	s_or_b64 exec, exec, s[48:49]
	s_waitcnt lgkmcnt(0)
	s_barrier
	s_and_saveexec_b64 s[48:49], s[16:17]
	s_cbranch_execz .LBB174_6
; %bb.41:                               ;   in Loop: Header=BB174_7 Depth=1
	ds_read_b128 v[24:27], v6
	s_waitcnt lgkmcnt(0)
	v_cmp_lt_i64_e32 vcc, v[26:27], v[24:25]
	s_nop 1
	v_cndmask_b32_e32 v25, v25, v27, vcc
	v_cndmask_b32_e32 v24, v24, v26, vcc
	ds_write_b64 v6, v[24:25]
	s_branch .LBB174_6
.LBB174_42:                             ;   in Loop: Header=BB174_7 Depth=1
	ds_read2_b64 v[30:33], v39 offset1:1
	v_lshl_add_u64 v[34:35], v[14:15], 4, v[26:27]
	v_cndmask_b32_e64 v35, v35, v29, s[0:1]
	v_cndmask_b32_e64 v34, v34, v28, s[0:1]
	s_waitcnt lgkmcnt(0)
	global_store_dwordx4 v[34:35], v[30:33], off
	s_or_b64 exec, exec, s[18:19]
	s_and_saveexec_b64 s[18:19], s[36:37]
	s_cbranch_execz .LBB174_22
.LBB174_43:                             ;   in Loop: Header=BB174_7 Depth=1
	ds_read2_b64 v[30:33], v40 offset1:1
	v_lshl_add_u64 v[34:35], v[28:29], 0, s[42:43]
	v_lshl_add_u64 v[46:47], v[16:17], 4, v[26:27]
	v_cndmask_b32_e64 v35, v47, v35, s[0:1]
	v_cndmask_b32_e64 v34, v46, v34, s[0:1]
	s_waitcnt lgkmcnt(0)
	global_store_dwordx4 v[34:35], v[30:33], off
	s_or_b64 exec, exec, s[18:19]
	s_and_saveexec_b64 s[18:19], s[38:39]
	s_cbranch_execz .LBB174_23
.LBB174_44:                             ;   in Loop: Header=BB174_7 Depth=1
	ds_read2_b64 v[30:33], v41 offset1:1
	v_lshl_add_u64 v[34:35], v[28:29], 0, s[44:45]
	v_lshl_add_u64 v[46:47], v[18:19], 4, v[26:27]
	v_cndmask_b32_e64 v35, v47, v35, s[0:1]
	v_cndmask_b32_e64 v34, v46, v34, s[0:1]
	s_waitcnt lgkmcnt(0)
	global_store_dwordx4 v[34:35], v[30:33], off
	s_or_b64 exec, exec, s[18:19]
	s_and_saveexec_b64 s[18:19], s[40:41]
	s_cbranch_execnz .LBB174_24
	s_branch .LBB174_25
.LBB174_45:
	s_endpgm
	.section	.rodata,"a",@progbits
	.p2align	6, 0x0
	.amdhsa_kernel _ZN9rocsparseL38csr2bsr_block_per_row_multipass_kernelILj256ELj32E21rocsparse_complex_numIdEllEEv20rocsparse_direction_T3_S4_S4_S4_S4_21rocsparse_index_base_PKT1_PKT2_PKS4_S5_PS6_PS9_PS4_
		.amdhsa_group_segment_fixed_size 16392
		.amdhsa_private_segment_fixed_size 0
		.amdhsa_kernarg_size 112
		.amdhsa_user_sgpr_count 2
		.amdhsa_user_sgpr_dispatch_ptr 0
		.amdhsa_user_sgpr_queue_ptr 0
		.amdhsa_user_sgpr_kernarg_segment_ptr 1
		.amdhsa_user_sgpr_dispatch_id 0
		.amdhsa_user_sgpr_kernarg_preload_length 0
		.amdhsa_user_sgpr_kernarg_preload_offset 0
		.amdhsa_user_sgpr_private_segment_size 0
		.amdhsa_uses_dynamic_stack 0
		.amdhsa_enable_private_segment 0
		.amdhsa_system_sgpr_workgroup_id_x 1
		.amdhsa_system_sgpr_workgroup_id_y 0
		.amdhsa_system_sgpr_workgroup_id_z 0
		.amdhsa_system_sgpr_workgroup_info 0
		.amdhsa_system_vgpr_workitem_id 0
		.amdhsa_next_free_vgpr 52
		.amdhsa_next_free_sgpr 65
		.amdhsa_accum_offset 52
		.amdhsa_reserve_vcc 1
		.amdhsa_float_round_mode_32 0
		.amdhsa_float_round_mode_16_64 0
		.amdhsa_float_denorm_mode_32 3
		.amdhsa_float_denorm_mode_16_64 3
		.amdhsa_dx10_clamp 1
		.amdhsa_ieee_mode 1
		.amdhsa_fp16_overflow 0
		.amdhsa_tg_split 0
		.amdhsa_exception_fp_ieee_invalid_op 0
		.amdhsa_exception_fp_denorm_src 0
		.amdhsa_exception_fp_ieee_div_zero 0
		.amdhsa_exception_fp_ieee_overflow 0
		.amdhsa_exception_fp_ieee_underflow 0
		.amdhsa_exception_fp_ieee_inexact 0
		.amdhsa_exception_int_div_zero 0
	.end_amdhsa_kernel
	.section	.text._ZN9rocsparseL38csr2bsr_block_per_row_multipass_kernelILj256ELj32E21rocsparse_complex_numIdEllEEv20rocsparse_direction_T3_S4_S4_S4_S4_21rocsparse_index_base_PKT1_PKT2_PKS4_S5_PS6_PS9_PS4_,"axG",@progbits,_ZN9rocsparseL38csr2bsr_block_per_row_multipass_kernelILj256ELj32E21rocsparse_complex_numIdEllEEv20rocsparse_direction_T3_S4_S4_S4_S4_21rocsparse_index_base_PKT1_PKT2_PKS4_S5_PS6_PS9_PS4_,comdat
.Lfunc_end174:
	.size	_ZN9rocsparseL38csr2bsr_block_per_row_multipass_kernelILj256ELj32E21rocsparse_complex_numIdEllEEv20rocsparse_direction_T3_S4_S4_S4_S4_21rocsparse_index_base_PKT1_PKT2_PKS4_S5_PS6_PS9_PS4_, .Lfunc_end174-_ZN9rocsparseL38csr2bsr_block_per_row_multipass_kernelILj256ELj32E21rocsparse_complex_numIdEllEEv20rocsparse_direction_T3_S4_S4_S4_S4_21rocsparse_index_base_PKT1_PKT2_PKS4_S5_PS6_PS9_PS4_
                                        ; -- End function
	.section	.AMDGPU.csdata,"",@progbits
; Kernel info:
; codeLenInByte = 3008
; NumSgprs: 71
; NumVgprs: 52
; NumAgprs: 0
; TotalNumVgprs: 52
; ScratchSize: 0
; MemoryBound: 0
; FloatMode: 240
; IeeeMode: 1
; LDSByteSize: 16392 bytes/workgroup (compile time only)
; SGPRBlocks: 8
; VGPRBlocks: 6
; NumSGPRsForWavesPerEU: 71
; NumVGPRsForWavesPerEU: 52
; AccumOffset: 52
; Occupancy: 3
; WaveLimiterHint : 1
; COMPUTE_PGM_RSRC2:SCRATCH_EN: 0
; COMPUTE_PGM_RSRC2:USER_SGPR: 2
; COMPUTE_PGM_RSRC2:TRAP_HANDLER: 0
; COMPUTE_PGM_RSRC2:TGID_X_EN: 1
; COMPUTE_PGM_RSRC2:TGID_Y_EN: 0
; COMPUTE_PGM_RSRC2:TGID_Z_EN: 0
; COMPUTE_PGM_RSRC2:TIDIG_COMP_CNT: 0
; COMPUTE_PGM_RSRC3_GFX90A:ACCUM_OFFSET: 12
; COMPUTE_PGM_RSRC3_GFX90A:TG_SPLIT: 0
	.section	.text._ZN9rocsparseL21csr2bsr_65_inf_kernelILj32E21rocsparse_complex_numIdEllEEv20rocsparse_direction_T2_S4_S4_S4_S4_S4_21rocsparse_index_base_PKT0_PKT1_PKS4_S5_PS6_PS9_PS4_SF_SG_SE_,"axG",@progbits,_ZN9rocsparseL21csr2bsr_65_inf_kernelILj32E21rocsparse_complex_numIdEllEEv20rocsparse_direction_T2_S4_S4_S4_S4_S4_21rocsparse_index_base_PKT0_PKT1_PKS4_S5_PS6_PS9_PS4_SF_SG_SE_,comdat
	.globl	_ZN9rocsparseL21csr2bsr_65_inf_kernelILj32E21rocsparse_complex_numIdEllEEv20rocsparse_direction_T2_S4_S4_S4_S4_S4_21rocsparse_index_base_PKT0_PKT1_PKS4_S5_PS6_PS9_PS4_SF_SG_SE_ ; -- Begin function _ZN9rocsparseL21csr2bsr_65_inf_kernelILj32E21rocsparse_complex_numIdEllEEv20rocsparse_direction_T2_S4_S4_S4_S4_S4_21rocsparse_index_base_PKT0_PKT1_PKS4_S5_PS6_PS9_PS4_SF_SG_SE_
	.p2align	8
	.type	_ZN9rocsparseL21csr2bsr_65_inf_kernelILj32E21rocsparse_complex_numIdEllEEv20rocsparse_direction_T2_S4_S4_S4_S4_S4_21rocsparse_index_base_PKT0_PKT1_PKS4_S5_PS6_PS9_PS4_SF_SG_SE_,@function
_ZN9rocsparseL21csr2bsr_65_inf_kernelILj32E21rocsparse_complex_numIdEllEEv20rocsparse_direction_T2_S4_S4_S4_S4_S4_21rocsparse_index_base_PKT0_PKT1_PKS4_S5_PS6_PS9_PS4_SF_SG_SE_: ; @_ZN9rocsparseL21csr2bsr_65_inf_kernelILj32E21rocsparse_complex_numIdEllEEv20rocsparse_direction_T2_S4_S4_S4_S4_S4_21rocsparse_index_base_PKT0_PKT1_PKS4_S5_PS6_PS9_PS4_SF_SG_SE_
; %bb.0:
	s_load_dwordx2 s[4:5], s[0:1], 0x18
	s_load_dwordx4 s[8:11], s[0:1], 0x8
	s_mov_b32 s3, 0
	s_mov_b64 s[6:7], 0
	s_waitcnt lgkmcnt(0)
	v_mov_b32_e32 v2, s4
	v_mov_b32_e32 v3, s5
	s_load_dwordx2 s[4:5], s[0:1], 0x78
	s_load_dword s16, s[0:1], 0x58
	v_cmp_ge_i64_e32 vcc, s[2:3], v[2:3]
	s_cbranch_vccnz .LBB175_2
; %bb.1:
	s_load_dwordx2 s[6:7], s[0:1], 0x68
	s_lshl_b64 s[12:13], s[2:3], 3
	s_waitcnt lgkmcnt(0)
	s_add_u32 s6, s6, s12
	s_addc_u32 s7, s7, s13
	s_load_dwordx2 s[6:7], s[6:7], 0x0
	s_waitcnt lgkmcnt(0)
	s_sub_u32 s6, s6, s16
	s_subb_u32 s7, s7, 0
.LBB175_2:
	s_load_dwordx4 s[12:15], s[0:1], 0x28
	s_load_dword s33, s[0:1], 0x38
	v_mov_b32_e32 v1, 0
	s_waitcnt lgkmcnt(0)
	s_mul_i32 s3, s2, s15
	s_mul_hi_u32 s17, s2, s14
	s_mul_i32 s18, s2, s14
	s_add_i32 s19, s17, s3
	s_lshl_b64 s[18:19], s[18:19], 9
	s_add_u32 s4, s4, s18
	s_addc_u32 s5, s5, s19
	v_mad_u64_u32 v[2:3], s[18:19], v0, s14, 0
	v_mov_b32_e32 v4, v3
	v_mad_u64_u32 v[4:5], s[18:19], v0, s15, v[4:5]
	v_mov_b32_e32 v3, v4
	v_lshlrev_b64 v[4:5], 3, v[2:3]
	s_lshl_b64 s[18:19], s[14:15], 8
	v_lshl_add_u64 v[6:7], s[4:5], 0, v[4:5]
	s_add_u32 s4, s4, s18
	s_addc_u32 s5, s5, s19
	v_lshl_add_u64 v[8:9], s[4:5], 0, v[4:5]
	v_cmp_lt_i64_e64 s[4:5], s[14:15], 1
	v_cmp_gt_i64_e64 s[36:37], s[14:15], 0
	s_and_b64 vcc, exec, s[4:5]
	s_cbranch_vccnz .LBB175_7
; %bb.3:
	s_load_dwordx2 s[4:5], s[0:1], 0x48
	v_mov_b32_e32 v4, s12
	s_mul_i32 s17, s2, s13
	s_mul_hi_u32 s3, s2, s12
	v_mad_u64_u32 v[4:5], s[20:21], s2, v4, v[0:1]
	s_add_i32 s19, s3, s17
	s_mov_b32 s3, 0
	v_add_u32_e32 v5, s17, v5
	s_waitcnt lgkmcnt(0)
	v_lshl_add_u64 v[4:5], v[4:5], 3, s[4:5]
	s_mov_b32 s4, s3
	s_mov_b32 s5, s3
	s_mul_i32 s18, s2, s12
	v_lshl_add_u64 v[4:5], v[4:5], 0, 8
	v_mov_b64_e32 v[10:11], s[4:5]
	s_mov_b64 s[20:21], 0x100
	v_mov_b64_e32 v[12:13], v[8:9]
	v_mov_b64_e32 v[14:15], v[6:7]
	;; [unrolled: 1-line block ×3, first 2 shown]
	s_mov_b64 s[22:23], s[14:15]
	s_branch .LBB175_5
.LBB175_4:                              ;   in Loop: Header=BB175_5 Depth=1
	s_or_b64 exec, exec, s[4:5]
	s_add_u32 s22, s22, -1
	s_addc_u32 s23, s23, -1
	v_lshl_add_u64 v[16:17], v[16:17], 0, 32
	v_lshl_add_u64 v[14:15], v[14:15], 0, 8
	;; [unrolled: 1-line block ×3, first 2 shown]
	s_cmp_eq_u64 s[22:23], 0
	v_lshl_add_u64 v[12:13], v[12:13], 0, 8
	s_cbranch_scc1 .LBB175_7
.LBB175_5:                              ; =>This Inner Loop Header: Depth=1
	v_lshl_add_u64 v[18:19], s[18:19], 0, v[16:17]
	v_cmp_gt_i64_e32 vcc, s[8:9], v[18:19]
	v_cmp_gt_i64_e64 s[4:5], s[12:13], v[16:17]
	s_and_b64 s[24:25], vcc, s[4:5]
	global_store_dwordx2 v[14:15], v[10:11], off
	global_store_dwordx2 v[12:13], v[10:11], off
	s_and_saveexec_b64 s[4:5], s[24:25]
	s_cbranch_execz .LBB175_4
; %bb.6:                                ;   in Loop: Header=BB175_5 Depth=1
	global_load_dwordx4 v[18:21], v[4:5], off offset:-8
	v_mov_b32_e32 v22, s3
	s_waitcnt vmcnt(0)
	v_subrev_co_u32_e32 v18, vcc, s33, v18
	s_nop 1
	v_subb_co_u32_e32 v19, vcc, v19, v22, vcc
	v_subrev_co_u32_e32 v20, vcc, s33, v20
	s_nop 1
	v_subb_co_u32_e32 v21, vcc, v21, v22, vcc
	global_store_dwordx2 v[14:15], v[18:19], off
	global_store_dwordx2 v[12:13], v[20:21], off
	s_branch .LBB175_4
.LBB175_7:
	v_cmp_lt_i64_e64 s[4:5], s[10:11], 1
	s_and_b64 vcc, exec, s[4:5]
	s_cbranch_vccnz .LBB175_52
; %bb.8:
	s_load_dwordx4 s[20:23], s[0:1], 0x80
	s_load_dwordx2 s[4:5], s[0:1], 0x70
	s_lshl_b64 s[8:9], s[14:15], 5
	s_mul_i32 s3, s9, s2
	s_mul_hi_u32 s9, s8, s2
	s_add_i32 s3, s9, s3
	s_mul_i32 s2, s8, s2
	s_lshl_b64 s[8:9], s[2:3], 3
	s_waitcnt lgkmcnt(0)
	s_add_u32 s8, s20, s8
	s_addc_u32 s9, s21, s9
	s_lshl_b64 s[2:3], s[2:3], 4
	v_lshl_add_u64 v[10:11], v[2:3], 3, s[8:9]
	s_add_u32 s2, s22, s2
	s_load_dwordx2 s[8:9], s[0:1], 0x60
	s_load_dwordx2 s[18:19], s[0:1], 0x50
	;; [unrolled: 1-line block ×3, first 2 shown]
	s_load_dword s24, s[0:1], 0x0
	s_addc_u32 s3, s23, s3
	v_lshl_add_u64 v[12:13], v[2:3], 4, s[2:3]
	s_lshl_b64 s[2:3], s[6:7], 3
	s_add_u32 s22, s4, s2
	s_addc_u32 s23, s5, s3
	v_mbcnt_lo_u32_b32 v3, -1, 0
	v_mov_b32_e32 v2, 0
	v_mbcnt_hi_u32_b32 v3, -1, v3
	v_mov_b32_e32 v4, 0x7c
	s_waitcnt lgkmcnt(0)
	s_cmp_lg_u32 s24, 0
	s_mov_b32 s48, 0
	v_lshl_or_b32 v40, v3, 2, v4
	s_cselect_b64 s[24:25], -1, 0
	s_add_u32 s26, s6, -1
	v_lshlrev_b32_e32 v4, 4, v0
	v_mov_b32_e32 v5, v2
	v_mov_b64_e32 v[20:21], 0
	v_cndmask_b32_e64 v3, 0, 1, s[36:37]
	v_cmp_eq_u32_e64 s[0:1], 31, v0
	s_mov_b32 s17, s48
	s_addc_u32 s27, s7, -1
	s_lshl_b64 s[28:29], s[12:13], 4
	s_lshl_b64 s[30:31], s[12:13], 9
	v_lshl_add_u64 v[14:15], s[8:9], 0, v[4:5]
	s_mov_b64 s[34:35], 0
	v_cmp_ne_u32_e64 s[2:3], 1, v3
	s_mov_b64 s[36:37], 0x200
	v_mov_b64_e32 v[18:19], v[20:21]
	v_mov_b64_e32 v[16:17], v[20:21]
	s_branch .LBB175_10
.LBB175_9:                              ;   in Loop: Header=BB175_10 Depth=1
	s_waitcnt lgkmcnt(2)
	v_lshl_add_u64 v[20:21], v[4:5], 0, 1
	v_cmp_le_i64_e32 vcc, s[10:11], v[20:21]
	s_or_b64 s[34:35], vcc, s[34:35]
	s_andn2_b64 exec, exec, s[34:35]
	s_cbranch_execz .LBB175_52
.LBB175_10:                             ; =>This Loop Header: Depth=1
                                        ;     Child Loop BB175_14 Depth 2
                                        ;       Child Loop BB175_17 Depth 3
                                        ;     Child Loop BB175_33 Depth 2
	s_and_b64 vcc, exec, s[2:3]
	v_mov_b64_e32 v[22:23], s[10:11]
	s_cbranch_vccnz .LBB175_23
; %bb.11:                               ;   in Loop: Header=BB175_10 Depth=1
	s_mov_b64 s[4:5], 0
	v_mov_b64_e32 v[22:23], s[10:11]
	s_branch .LBB175_14
.LBB175_12:                             ;   in Loop: Header=BB175_14 Depth=2
	s_or_b64 exec, exec, s[38:39]
.LBB175_13:                             ;   in Loop: Header=BB175_14 Depth=2
	s_or_b64 exec, exec, s[6:7]
	s_add_u32 s4, s4, 1
	s_addc_u32 s5, s5, 0
	s_cmp_eq_u64 s[4:5], s[14:15]
	s_cbranch_scc1 .LBB175_23
.LBB175_14:                             ;   Parent Loop BB175_10 Depth=1
                                        ; =>  This Loop Header: Depth=2
                                        ;       Child Loop BB175_17 Depth 3
	s_lshl_b64 s[6:7], s[4:5], 3
	v_lshl_add_u64 v[24:25], v[6:7], 0, s[6:7]
	v_lshl_add_u64 v[4:5], v[8:9], 0, s[6:7]
	global_load_dwordx2 v[32:33], v[24:25], off
	global_load_dwordx2 v[26:27], v[4:5], off
	v_lshl_add_u64 v[28:29], s[4:5], 4, v[12:13]
	v_mov_b32_e32 v3, v2
	v_mov_b32_e32 v4, v2
	;; [unrolled: 1-line block ×3, first 2 shown]
	global_store_dwordx4 v[28:29], v[2:5], off
	v_mov_b64_e32 v[30:31], s[10:11]
	s_waitcnt vmcnt(1)
	v_cmp_lt_i64_e32 vcc, v[32:33], v[26:27]
	v_lshl_add_u64 v[4:5], v[10:11], 0, s[6:7]
	global_store_dwordx2 v[4:5], v[30:31], off
	s_and_saveexec_b64 s[6:7], vcc
	s_cbranch_execz .LBB175_13
; %bb.15:                               ;   in Loop: Header=BB175_14 Depth=2
	v_lshl_add_u64 v[36:37], v[32:33], 3, s[18:19]
	v_lshl_add_u64 v[38:39], v[32:33], 4, s[20:21]
	s_mov_b64 s[38:39], 0
                                        ; implicit-def: $sgpr40_sgpr41
                                        ; implicit-def: $sgpr44_sgpr45
                                        ; implicit-def: $sgpr42_sgpr43
	s_branch .LBB175_17
.LBB175_16:                             ;   in Loop: Header=BB175_17 Depth=3
	s_or_b64 exec, exec, s[46:47]
	s_and_b64 s[46:47], exec, s[44:45]
	s_or_b64 s[38:39], s[46:47], s[38:39]
	s_andn2_b64 s[40:41], s[40:41], exec
	s_and_b64 s[46:47], s[42:43], exec
	s_or_b64 s[40:41], s[40:41], s[46:47]
	s_andn2_b64 exec, exec, s[38:39]
	s_cbranch_execz .LBB175_19
.LBB175_17:                             ;   Parent Loop BB175_10 Depth=1
                                        ;     Parent Loop BB175_14 Depth=2
                                        ; =>    This Inner Loop Header: Depth=3
	global_load_dwordx4 v[42:45], v[38:39], off
	v_mov_b32_e32 v3, s48
	v_mov_b64_e32 v[30:31], v[32:33]
	s_or_b64 s[42:43], s[42:43], exec
	s_or_b64 s[44:45], s[44:45], exec
                                        ; implicit-def: $vgpr32_vgpr33
	s_waitcnt vmcnt(0)
	global_store_dwordx4 v[28:29], v[42:45], off
	global_load_dwordx2 v[34:35], v[36:37], off
	s_waitcnt vmcnt(0)
	v_subrev_co_u32_e32 v34, vcc, s33, v34
	s_nop 1
	v_subb_co_u32_e32 v35, vcc, v35, v3, vcc
	v_cmp_lt_i64_e32 vcc, v[34:35], v[20:21]
	s_and_saveexec_b64 s[46:47], vcc
	s_cbranch_execz .LBB175_16
; %bb.18:                               ;   in Loop: Header=BB175_17 Depth=3
	v_lshl_add_u64 v[32:33], v[30:31], 0, 1
	v_cmp_ge_i64_e32 vcc, v[32:33], v[26:27]
	s_andn2_b64 s[44:45], s[44:45], exec
	s_and_b64 s[50:51], vcc, exec
	v_lshl_add_u64 v[36:37], v[36:37], 0, 8
	v_lshl_add_u64 v[38:39], v[38:39], 0, 16
	s_andn2_b64 s[42:43], s[42:43], exec
	s_or_b64 s[44:45], s[44:45], s[50:51]
	s_branch .LBB175_16
.LBB175_19:                             ;   in Loop: Header=BB175_14 Depth=2
	s_or_b64 exec, exec, s[38:39]
	s_xor_b64 s[38:39], s[40:41], -1
	s_and_saveexec_b64 s[40:41], s[38:39]
	s_xor_b64 s[38:39], exec, s[40:41]
	s_cbranch_execz .LBB175_21
; %bb.20:                               ;   in Loop: Header=BB175_14 Depth=2
	global_store_dwordx2 v[4:5], v[34:35], off
                                        ; implicit-def: $vgpr4_vgpr5
                                        ; implicit-def: $vgpr24_vgpr25
.LBB175_21:                             ;   in Loop: Header=BB175_14 Depth=2
	s_andn2_saveexec_b64 s[38:39], s[38:39]
	s_cbranch_execz .LBB175_12
; %bb.22:                               ;   in Loop: Header=BB175_14 Depth=2
	v_cmp_lt_i64_e32 vcc, v[34:35], v[22:23]
	global_store_dwordx2 v[4:5], v[34:35], off
	global_store_dwordx2 v[24:25], v[30:31], off
	v_cndmask_b32_e32 v23, v23, v35, vcc
	v_cndmask_b32_e32 v22, v22, v34, vcc
	s_branch .LBB175_12
.LBB175_23:                             ;   in Loop: Header=BB175_10 Depth=1
	s_nop 0
	v_mov_b32_dpp v4, v22 row_shr:1 row_mask:0xf bank_mask:0xf
	v_mov_b32_dpp v5, v23 row_shr:1 row_mask:0xf bank_mask:0xf
	v_cmp_lt_i64_e32 vcc, v[4:5], v[22:23]
	s_nop 1
	v_cndmask_b32_e32 v5, v23, v5, vcc
	v_cndmask_b32_e32 v4, v22, v4, vcc
	s_nop 0
	v_mov_b32_dpp v21, v5 row_shr:2 row_mask:0xf bank_mask:0xf
	v_mov_b32_dpp v20, v4 row_shr:2 row_mask:0xf bank_mask:0xf
	v_cmp_lt_i64_e32 vcc, v[20:21], v[4:5]
	s_nop 1
	v_cndmask_b32_e32 v5, v5, v21, vcc
	v_cndmask_b32_e32 v4, v4, v20, vcc
	;; [unrolled: 7-line block ×4, first 2 shown]
	s_nop 0
	v_mov_b32_dpp v21, v5 row_bcast:15 row_mask:0xa bank_mask:0xf
	v_mov_b32_dpp v20, v4 row_bcast:15 row_mask:0xa bank_mask:0xf
	v_cmp_lt_i64_e32 vcc, v[20:21], v[4:5]
	s_nop 1
	v_cndmask_b32_e32 v5, v5, v21, vcc
	v_cndmask_b32_e32 v4, v4, v20, vcc
	v_cmp_gt_i64_e32 vcc, s[10:11], v[4:5]
	s_and_b64 s[4:5], s[0:1], vcc
	s_and_saveexec_b64 s[6:7], s[4:5]
	s_cbranch_execz .LBB175_29
; %bb.24:                               ;   in Loop: Header=BB175_10 Depth=1
	v_or_b32_e32 v3, s13, v5
	v_cmp_ne_u64_e32 vcc, 0, v[2:3]
                                        ; implicit-def: $vgpr20_vgpr21
	s_and_saveexec_b64 s[4:5], vcc
	s_xor_b64 s[38:39], exec, s[4:5]
	s_cbranch_execnz .LBB175_50
; %bb.25:                               ;   in Loop: Header=BB175_10 Depth=1
	s_andn2_saveexec_b64 s[4:5], s[38:39]
	s_cbranch_execnz .LBB175_51
.LBB175_26:                             ;   in Loop: Header=BB175_10 Depth=1
	s_or_b64 exec, exec, s[4:5]
	v_cmp_ge_i64_e32 vcc, v[20:21], v[18:19]
	s_and_saveexec_b64 s[4:5], vcc
	s_cbranch_execz .LBB175_28
.LBB175_27:                             ;   in Loop: Header=BB175_10 Depth=1
	v_lshl_add_u64 v[18:19], v[20:21], 0, s[16:17]
	s_waitcnt lgkmcnt(0)
	v_lshl_add_u64 v[22:23], v[16:17], 3, s[22:23]
	global_store_dwordx2 v[22:23], v[18:19], off
	v_lshl_add_u64 v[16:17], v[16:17], 0, 1
	v_lshl_add_u64 v[18:19], v[20:21], 0, 1
.LBB175_28:                             ;   in Loop: Header=BB175_10 Depth=1
	s_or_b64 exec, exec, s[4:5]
.LBB175_29:                             ;   in Loop: Header=BB175_10 Depth=1
	s_or_b64 exec, exec, s[6:7]
	ds_bpermute_b32 v4, v40, v4
	ds_bpermute_b32 v5, v40, v5
	s_waitcnt lgkmcnt(3)
	ds_bpermute_b32 v16, v40, v16
	s_waitcnt lgkmcnt(3)
	ds_bpermute_b32 v17, v40, v17
	s_and_b64 vcc, exec, s[2:3]
	s_cbranch_vccnz .LBB175_9
; %bb.30:                               ;   in Loop: Header=BB175_10 Depth=1
	s_waitcnt lgkmcnt(0)
	v_lshl_add_u64 v[20:21], s[26:27], 0, v[16:17]
	v_mov_b32_e32 v3, v17
	v_mul_lo_u32 v24, v21, s12
	v_mul_lo_u32 v25, v20, s13
	v_mad_u64_u32 v[20:21], s[4:5], v20, s12, 0
	v_mov_b32_e32 v22, v16
	v_mov_b32_e32 v23, v2
	v_add3_u32 v21, v21, v25, v24
	v_lshl_add_u64 v[24:25], s[26:27], 0, v[2:3]
	v_lshl_add_u64 v[22:23], v[24:25], 0, v[22:23]
	v_mul_lo_u32 v3, s12, v23
	v_mul_lo_u32 v24, s13, v22
	v_mad_u64_u32 v[22:23], s[4:5], s12, v22, v[0:1]
	v_add3_u32 v3, v24, v23, v3
	v_mov_b64_e32 v[24:25], s[8:9]
	v_mul_lo_u32 v3, s28, v3
	v_mul_lo_u32 v26, s29, v22
	v_mad_u64_u32 v[22:23], s[4:5], s28, v22, v[24:25]
	v_add3_u32 v23, v26, v23, v3
	v_mov_b64_e32 v[24:25], v[10:11]
	v_mov_b64_e32 v[26:27], v[12:13]
	;; [unrolled: 1-line block ×3, first 2 shown]
	s_mov_b64 s[38:39], s[14:15]
	s_branch .LBB175_33
.LBB175_31:                             ;   in Loop: Header=BB175_33 Depth=2
	s_or_b64 exec, exec, s[4:5]
	global_load_dwordx4 v[34:37], v[26:27], off
	v_lshl_add_u64 v[30:31], v[32:33], 4, v[22:23]
	s_waitcnt vmcnt(0)
	global_store_dwordx4 v[30:31], v[34:37], off
.LBB175_32:                             ;   in Loop: Header=BB175_33 Depth=2
	s_or_b64 exec, exec, s[40:41]
	s_add_u32 s38, s38, -1
	s_addc_u32 s39, s39, -1
	v_lshl_add_u64 v[22:23], v[22:23], 0, s[30:31]
	v_lshl_add_u64 v[28:29], v[28:29], 0, s[36:37]
	;; [unrolled: 1-line block ×3, first 2 shown]
	s_cmp_eq_u64 s[38:39], 0
	v_lshl_add_u64 v[24:25], v[24:25], 0, 8
	s_cbranch_scc1 .LBB175_9
.LBB175_33:                             ;   Parent Loop BB175_10 Depth=1
                                        ; =>  This Inner Loop Header: Depth=2
	global_load_dwordx2 v[30:31], v[24:25], off
	s_waitcnt vmcnt(0)
	v_cmp_gt_i64_e32 vcc, s[10:11], v[30:31]
	s_and_saveexec_b64 s[40:41], vcc
	s_cbranch_execz .LBB175_32
; %bb.34:                               ;   in Loop: Header=BB175_33 Depth=2
	v_or_b32_e32 v36, s13, v31
	v_mov_b32_e32 v3, v36
	v_cmp_ne_u64_e32 vcc, 0, v[2:3]
                                        ; implicit-def: $vgpr32_vgpr33
	s_and_saveexec_b64 s[4:5], vcc
	s_xor_b64 s[6:7], exec, s[4:5]
	s_cbranch_execz .LBB175_36
; %bb.35:                               ;   in Loop: Header=BB175_33 Depth=2
	s_ashr_i32 s42, s13, 31
	s_add_u32 s4, s12, s42
	s_mov_b32 s43, s42
	s_addc_u32 s5, s13, s42
	s_xor_b64 s[44:45], s[4:5], s[42:43]
	v_cvt_f32_u32_e32 v3, s44
	v_cvt_f32_u32_e32 v32, s45
	s_sub_u32 s4, 0, s44
	s_subb_u32 s5, 0, s45
	v_mov_b32_e32 v35, v2
	v_fmac_f32_e32 v3, 0x4f800000, v32
	v_rcp_f32_e32 v3, v3
	s_nop 0
	v_mul_f32_e32 v3, 0x5f7ffffc, v3
	v_mul_f32_e32 v32, 0x2f800000, v3
	v_trunc_f32_e32 v32, v32
	v_fmac_f32_e32 v3, 0xcf800000, v32
	v_cvt_u32_f32_e32 v37, v32
	v_cvt_u32_f32_e32 v3, v3
	v_mul_lo_u32 v32, s4, v37
	v_mul_hi_u32 v34, s4, v3
	v_mul_lo_u32 v33, s5, v3
	v_add_u32_e32 v32, v34, v32
	v_mul_lo_u32 v38, s4, v3
	v_add_u32_e32 v39, v32, v33
	v_mul_hi_u32 v33, v3, v39
	v_mul_lo_u32 v32, v3, v39
	v_mul_hi_u32 v34, v3, v38
	v_lshl_add_u64 v[32:33], v[34:35], 0, v[32:33]
	v_mul_hi_u32 v35, v37, v38
	v_mul_lo_u32 v38, v37, v38
	v_add_co_u32_e32 v32, vcc, v32, v38
	v_mul_hi_u32 v34, v37, v39
	s_nop 0
	v_addc_co_u32_e32 v32, vcc, v33, v35, vcc
	v_mov_b32_e32 v33, v2
	s_nop 0
	v_addc_co_u32_e32 v35, vcc, 0, v34, vcc
	v_mul_lo_u32 v34, v37, v39
	v_lshl_add_u64 v[32:33], v[32:33], 0, v[34:35]
	v_add_co_u32_e32 v3, vcc, v3, v32
	v_mul_lo_u32 v34, s4, v3
	s_nop 0
	v_addc_co_u32_e32 v37, vcc, v37, v33, vcc
	v_mul_lo_u32 v32, s4, v37
	v_mul_hi_u32 v33, s4, v3
	v_add_u32_e32 v32, v33, v32
	v_mul_lo_u32 v33, s5, v3
	v_add_u32_e32 v38, v32, v33
	v_mul_hi_u32 v41, v37, v34
	v_mul_lo_u32 v42, v37, v34
	v_mul_hi_u32 v33, v3, v38
	v_mul_lo_u32 v32, v3, v38
	v_mul_hi_u32 v34, v3, v34
	v_mov_b32_e32 v35, v2
	v_lshl_add_u64 v[32:33], v[34:35], 0, v[32:33]
	v_add_co_u32_e32 v32, vcc, v32, v42
	v_mul_hi_u32 v39, v37, v38
	s_nop 0
	v_addc_co_u32_e32 v32, vcc, v33, v41, vcc
	v_mul_lo_u32 v34, v37, v38
	s_nop 0
	v_addc_co_u32_e32 v35, vcc, 0, v39, vcc
	v_mov_b32_e32 v33, v2
	v_lshl_add_u64 v[32:33], v[32:33], 0, v[34:35]
	v_add_co_u32_e32 v3, vcc, v3, v32
	v_ashrrev_i32_e32 v32, 31, v31
	s_nop 0
	v_addc_co_u32_e32 v37, vcc, v37, v33, vcc
	v_mov_b32_e32 v33, v32
	v_lshl_add_u64 v[34:35], v[30:31], 0, v[32:33]
	v_xor_b32_e32 v41, v34, v32
	v_xor_b32_e32 v33, v35, v32
	v_mad_u64_u32 v[34:35], s[4:5], v41, v37, 0
	v_mul_hi_u32 v38, v41, v3
	v_mov_b32_e32 v39, v2
	v_lshl_add_u64 v[34:35], v[38:39], 0, v[34:35]
	v_mad_u64_u32 v[42:43], s[4:5], v33, v3, 0
	v_add_co_u32_e32 v3, vcc, v34, v42
	v_mad_u64_u32 v[38:39], s[4:5], v33, v37, 0
	s_nop 0
	v_addc_co_u32_e32 v34, vcc, v35, v43, vcc
	v_mov_b32_e32 v35, v2
	s_nop 0
	v_addc_co_u32_e32 v39, vcc, 0, v39, vcc
	v_lshl_add_u64 v[34:35], v[34:35], 0, v[38:39]
	v_mul_lo_u32 v3, s45, v34
	v_mul_lo_u32 v37, s44, v35
	v_mad_u64_u32 v[38:39], s[4:5], s44, v34, 0
	v_add3_u32 v3, v39, v37, v3
	v_sub_u32_e32 v37, v33, v3
	v_mov_b32_e32 v39, s45
	v_sub_co_u32_e32 v41, vcc, v41, v38
	v_lshl_add_u64 v[42:43], v[34:35], 0, 1
	s_nop 0
	v_subb_co_u32_e64 v37, s[4:5], v37, v39, vcc
	v_subrev_co_u32_e64 v38, s[4:5], s44, v41
	v_subb_co_u32_e32 v3, vcc, v33, v3, vcc
	s_nop 0
	v_subbrev_co_u32_e64 v37, s[4:5], 0, v37, s[4:5]
	v_cmp_le_u32_e64 s[4:5], s45, v37
	v_cmp_le_u32_e32 vcc, s45, v3
	s_nop 0
	v_cndmask_b32_e64 v39, 0, -1, s[4:5]
	v_cmp_le_u32_e64 s[4:5], s44, v38
	v_cndmask_b32_e64 v33, 0, -1, vcc
	v_cmp_le_u32_e32 vcc, s44, v41
	v_cndmask_b32_e64 v38, 0, -1, s[4:5]
	v_cmp_eq_u32_e64 s[4:5], s45, v37
	s_nop 1
	v_cndmask_b32_e64 v37, v39, v38, s[4:5]
	v_lshl_add_u64 v[38:39], v[34:35], 0, 2
	v_cmp_ne_u32_e64 s[4:5], 0, v37
	s_nop 1
	v_cndmask_b32_e64 v37, v43, v39, s[4:5]
	v_cndmask_b32_e64 v39, 0, -1, vcc
	v_cmp_eq_u32_e32 vcc, s45, v3
	s_nop 1
	v_cndmask_b32_e32 v3, v33, v39, vcc
	v_cmp_ne_u32_e32 vcc, 0, v3
	v_cndmask_b32_e64 v33, v42, v38, s[4:5]
	s_nop 0
	v_cndmask_b32_e32 v33, v34, v33, vcc
	v_xor_b32_e32 v34, s42, v32
	v_cndmask_b32_e32 v3, v35, v37, vcc
	v_xor_b32_e32 v32, v33, v34
	v_xor_b32_e32 v3, v3, v34
	v_sub_co_u32_e32 v32, vcc, v32, v34
	s_nop 1
	v_subb_co_u32_e32 v33, vcc, v3, v34, vcc
.LBB175_36:                             ;   in Loop: Header=BB175_33 Depth=2
	s_andn2_saveexec_b64 s[4:5], s[6:7]
	s_cbranch_execz .LBB175_38
; %bb.37:                               ;   in Loop: Header=BB175_33 Depth=2
	v_cvt_f32_u32_e32 v3, s12
	s_sub_i32 s6, 0, s12
	v_rcp_iflag_f32_e32 v3, v3
	s_nop 0
	v_mul_f32_e32 v3, 0x4f7ffffe, v3
	v_cvt_u32_f32_e32 v3, v3
	v_mul_lo_u32 v32, s6, v3
	v_mul_hi_u32 v32, v3, v32
	v_add_u32_e32 v3, v3, v32
	v_mul_hi_u32 v3, v30, v3
	v_mul_lo_u32 v32, v3, s12
	v_sub_u32_e32 v32, v30, v32
	v_add_u32_e32 v33, 1, v3
	v_subrev_u32_e32 v34, s12, v32
	v_cmp_le_u32_e32 vcc, s12, v32
	s_nop 1
	v_cndmask_b32_e32 v32, v32, v34, vcc
	v_cndmask_b32_e32 v3, v3, v33, vcc
	v_add_u32_e32 v33, 1, v3
	v_cmp_le_u32_e32 vcc, s12, v32
	s_nop 1
	v_cndmask_b32_e32 v32, v3, v33, vcc
	v_mov_b32_e32 v33, v2
.LBB175_38:                             ;   in Loop: Header=BB175_33 Depth=2
	s_or_b64 exec, exec, s[4:5]
	v_or_b32_e32 v3, s13, v5
	v_cmp_ne_u64_e32 vcc, 0, v[2:3]
                                        ; implicit-def: $vgpr34_vgpr35
	s_and_saveexec_b64 s[4:5], vcc
	s_xor_b64 s[6:7], exec, s[4:5]
	s_cbranch_execnz .LBB175_41
; %bb.39:                               ;   in Loop: Header=BB175_33 Depth=2
	s_andn2_saveexec_b64 s[4:5], s[6:7]
	s_cbranch_execnz .LBB175_42
.LBB175_40:                             ;   in Loop: Header=BB175_33 Depth=2
	s_or_b64 exec, exec, s[4:5]
	v_cmp_eq_u64_e32 vcc, v[32:33], v[34:35]
	s_and_b64 exec, exec, vcc
	s_cbranch_execz .LBB175_32
	s_branch .LBB175_43
.LBB175_41:                             ;   in Loop: Header=BB175_33 Depth=2
	s_ashr_i32 s42, s13, 31
	s_add_u32 s4, s12, s42
	s_mov_b32 s43, s42
	s_addc_u32 s5, s13, s42
	s_xor_b64 s[44:45], s[4:5], s[42:43]
	v_cvt_f32_u32_e32 v3, s44
	v_cvt_f32_u32_e32 v34, s45
	s_sub_u32 s4, 0, s44
	s_subb_u32 s5, 0, s45
	v_mov_b32_e32 v39, v2
	v_fmac_f32_e32 v3, 0x4f800000, v34
	v_rcp_f32_e32 v3, v3
	s_nop 0
	v_mul_f32_e32 v3, 0x5f7ffffc, v3
	v_mul_f32_e32 v34, 0x2f800000, v3
	v_trunc_f32_e32 v34, v34
	v_fmac_f32_e32 v3, 0xcf800000, v34
	v_cvt_u32_f32_e32 v37, v34
	v_cvt_u32_f32_e32 v3, v3
	v_mul_lo_u32 v34, s4, v37
	v_mul_hi_u32 v38, s4, v3
	v_mul_lo_u32 v35, s5, v3
	v_add_u32_e32 v34, v38, v34
	v_mul_lo_u32 v41, s4, v3
	v_add_u32_e32 v42, v34, v35
	v_mul_hi_u32 v35, v3, v42
	v_mul_lo_u32 v34, v3, v42
	v_mul_hi_u32 v38, v3, v41
	v_lshl_add_u64 v[34:35], v[38:39], 0, v[34:35]
	v_mul_hi_u32 v39, v37, v41
	v_mul_lo_u32 v41, v37, v41
	v_add_co_u32_e32 v34, vcc, v34, v41
	v_mul_hi_u32 v38, v37, v42
	s_nop 0
	v_addc_co_u32_e32 v34, vcc, v35, v39, vcc
	v_mov_b32_e32 v35, v2
	s_nop 0
	v_addc_co_u32_e32 v39, vcc, 0, v38, vcc
	v_mul_lo_u32 v38, v37, v42
	v_lshl_add_u64 v[34:35], v[34:35], 0, v[38:39]
	v_add_co_u32_e32 v3, vcc, v3, v34
	v_mul_lo_u32 v38, s4, v3
	s_nop 0
	v_addc_co_u32_e32 v37, vcc, v37, v35, vcc
	v_mul_lo_u32 v34, s4, v37
	v_mul_hi_u32 v35, s4, v3
	v_add_u32_e32 v34, v35, v34
	v_mul_lo_u32 v35, s5, v3
	v_add_u32_e32 v41, v34, v35
	v_mul_hi_u32 v43, v37, v38
	v_mul_lo_u32 v44, v37, v38
	v_mul_hi_u32 v35, v3, v41
	v_mul_lo_u32 v34, v3, v41
	v_mul_hi_u32 v38, v3, v38
	v_mov_b32_e32 v39, v2
	v_lshl_add_u64 v[34:35], v[38:39], 0, v[34:35]
	v_add_co_u32_e32 v34, vcc, v34, v44
	v_mul_hi_u32 v42, v37, v41
	s_nop 0
	v_addc_co_u32_e32 v34, vcc, v35, v43, vcc
	v_mul_lo_u32 v38, v37, v41
	s_nop 0
	v_addc_co_u32_e32 v39, vcc, 0, v42, vcc
	v_mov_b32_e32 v35, v2
	v_lshl_add_u64 v[34:35], v[34:35], 0, v[38:39]
	v_add_co_u32_e32 v3, vcc, v3, v34
	v_ashrrev_i32_e32 v34, 31, v5
	s_nop 0
	v_addc_co_u32_e32 v37, vcc, v37, v35, vcc
	v_mov_b32_e32 v35, v34
	v_lshl_add_u64 v[38:39], v[4:5], 0, v[34:35]
	v_xor_b32_e32 v41, v38, v34
	v_xor_b32_e32 v35, v39, v34
	v_mad_u64_u32 v[38:39], s[4:5], v41, v37, 0
	v_mul_hi_u32 v42, v41, v3
	v_mov_b32_e32 v43, v2
	v_lshl_add_u64 v[38:39], v[42:43], 0, v[38:39]
	v_mad_u64_u32 v[44:45], s[4:5], v35, v3, 0
	v_add_co_u32_e32 v3, vcc, v38, v44
	v_mad_u64_u32 v[42:43], s[4:5], v35, v37, 0
	s_nop 0
	v_addc_co_u32_e32 v38, vcc, v39, v45, vcc
	v_mov_b32_e32 v39, v2
	s_nop 0
	v_addc_co_u32_e32 v43, vcc, 0, v43, vcc
	v_lshl_add_u64 v[38:39], v[38:39], 0, v[42:43]
	v_mul_lo_u32 v3, s45, v38
	v_mul_lo_u32 v37, s44, v39
	v_mad_u64_u32 v[42:43], s[4:5], s44, v38, 0
	v_add3_u32 v3, v43, v37, v3
	v_sub_u32_e32 v37, v35, v3
	v_mov_b32_e32 v43, s45
	v_sub_co_u32_e32 v41, vcc, v41, v42
	v_lshl_add_u64 v[44:45], v[38:39], 0, 1
	s_nop 0
	v_subb_co_u32_e64 v37, s[4:5], v37, v43, vcc
	v_subrev_co_u32_e64 v42, s[4:5], s44, v41
	v_subb_co_u32_e32 v3, vcc, v35, v3, vcc
	s_nop 0
	v_subbrev_co_u32_e64 v37, s[4:5], 0, v37, s[4:5]
	v_cmp_le_u32_e64 s[4:5], s45, v37
	v_cmp_le_u32_e32 vcc, s45, v3
	s_nop 0
	v_cndmask_b32_e64 v43, 0, -1, s[4:5]
	v_cmp_le_u32_e64 s[4:5], s44, v42
	v_cndmask_b32_e64 v35, 0, -1, vcc
	v_cmp_le_u32_e32 vcc, s44, v41
	v_cndmask_b32_e64 v42, 0, -1, s[4:5]
	v_cmp_eq_u32_e64 s[4:5], s45, v37
	v_cndmask_b32_e64 v41, 0, -1, vcc
	v_cmp_eq_u32_e32 vcc, s45, v3
	v_cndmask_b32_e64 v37, v43, v42, s[4:5]
	v_lshl_add_u64 v[42:43], v[38:39], 0, 2
	v_cmp_ne_u32_e64 s[4:5], 0, v37
	v_cndmask_b32_e32 v3, v35, v41, vcc
	v_cmp_ne_u32_e32 vcc, 0, v3
	v_cndmask_b32_e64 v37, v45, v43, s[4:5]
	v_cndmask_b32_e64 v35, v44, v42, s[4:5]
	v_cndmask_b32_e32 v3, v39, v37, vcc
	v_cndmask_b32_e32 v35, v38, v35, vcc
	v_xor_b32_e32 v37, s42, v34
	v_xor_b32_e32 v34, v35, v37
	v_xor_b32_e32 v3, v3, v37
	v_sub_co_u32_e32 v34, vcc, v34, v37
	s_nop 1
	v_subb_co_u32_e32 v35, vcc, v3, v37, vcc
	s_andn2_saveexec_b64 s[4:5], s[6:7]
	s_cbranch_execz .LBB175_40
.LBB175_42:                             ;   in Loop: Header=BB175_33 Depth=2
	v_cvt_f32_u32_e32 v3, s12
	s_sub_i32 s6, 0, s12
	v_rcp_iflag_f32_e32 v3, v3
	s_nop 0
	v_mul_f32_e32 v3, 0x4f7ffffe, v3
	v_cvt_u32_f32_e32 v3, v3
	v_mul_lo_u32 v34, s6, v3
	v_mul_hi_u32 v34, v3, v34
	v_add_u32_e32 v3, v3, v34
	v_mul_hi_u32 v3, v4, v3
	v_mul_lo_u32 v34, v3, s12
	v_sub_u32_e32 v34, v4, v34
	v_add_u32_e32 v35, 1, v3
	v_subrev_u32_e32 v37, s12, v34
	v_cmp_le_u32_e32 vcc, s12, v34
	s_nop 1
	v_cndmask_b32_e32 v34, v34, v37, vcc
	v_cndmask_b32_e32 v3, v3, v35, vcc
	v_add_u32_e32 v35, 1, v3
	v_cmp_le_u32_e32 vcc, s12, v34
	s_nop 1
	v_cndmask_b32_e32 v34, v3, v35, vcc
	v_mov_b32_e32 v35, v2
	s_or_b64 exec, exec, s[4:5]
	v_cmp_eq_u64_e32 vcc, v[32:33], v[34:35]
	s_and_b64 exec, exec, vcc
	s_cbranch_execz .LBB175_32
.LBB175_43:                             ;   in Loop: Header=BB175_33 Depth=2
	s_and_b64 vcc, exec, s[24:25]
	s_cbranch_vccz .LBB175_45
; %bb.44:                               ;   in Loop: Header=BB175_33 Depth=2
	global_load_dwordx4 v[42:45], v[26:27], off
	v_mul_lo_u32 v3, v33, s12
	v_mul_lo_u32 v34, v32, s13
	v_mad_u64_u32 v[32:33], s[4:5], v32, s12, 0
	v_add3_u32 v3, v33, v34, v3
	v_sub_co_u32_e32 v32, vcc, v30, v32
	s_nop 1
	v_subb_co_u32_e32 v33, vcc, v31, v3, vcc
	v_lshl_add_u64 v[32:33], v[32:33], 0, v[20:21]
	v_mul_lo_u32 v3, s28, v33
	v_mul_lo_u32 v34, s29, v32
	v_mad_u64_u32 v[32:33], s[4:5], s28, v32, v[28:29]
	v_add3_u32 v33, v34, v33, v3
	s_waitcnt vmcnt(0)
	global_store_dwordx4 v[32:33], v[42:45], off
	s_cbranch_execnz .LBB175_32
	s_branch .LBB175_46
.LBB175_45:                             ;   in Loop: Header=BB175_33 Depth=2
.LBB175_46:                             ;   in Loop: Header=BB175_33 Depth=2
	v_mov_b32_e32 v3, v36
	v_cmp_ne_u64_e32 vcc, 0, v[2:3]
                                        ; implicit-def: $vgpr32_vgpr33
	s_and_saveexec_b64 s[4:5], vcc
	s_xor_b64 s[42:43], exec, s[4:5]
	s_cbranch_execz .LBB175_48
; %bb.47:                               ;   in Loop: Header=BB175_33 Depth=2
	s_ashr_i32 s4, s13, 31
	s_add_u32 s6, s12, s4
	s_mov_b32 s5, s4
	s_addc_u32 s7, s13, s4
	s_xor_b64 s[44:45], s[6:7], s[4:5]
	v_cvt_f32_u32_e32 v3, s44
	v_cvt_f32_u32_e32 v32, s45
	s_sub_u32 s4, 0, s44
	s_subb_u32 s5, 0, s45
	v_mov_b32_e32 v35, v2
	v_fmac_f32_e32 v3, 0x4f800000, v32
	v_rcp_f32_e32 v3, v3
	s_nop 0
	v_mul_f32_e32 v3, 0x5f7ffffc, v3
	v_mul_f32_e32 v32, 0x2f800000, v3
	v_trunc_f32_e32 v32, v32
	v_fmac_f32_e32 v3, 0xcf800000, v32
	v_cvt_u32_f32_e32 v36, v32
	v_cvt_u32_f32_e32 v3, v3
	v_mul_lo_u32 v32, s4, v36
	v_mul_hi_u32 v34, s4, v3
	v_mul_lo_u32 v33, s5, v3
	v_add_u32_e32 v32, v34, v32
	v_mul_lo_u32 v37, s4, v3
	v_add_u32_e32 v38, v32, v33
	v_mul_hi_u32 v33, v3, v38
	v_mul_lo_u32 v32, v3, v38
	v_mul_hi_u32 v34, v3, v37
	v_lshl_add_u64 v[32:33], v[34:35], 0, v[32:33]
	v_mul_hi_u32 v35, v36, v37
	v_mul_lo_u32 v37, v36, v37
	v_add_co_u32_e32 v32, vcc, v32, v37
	v_mul_hi_u32 v34, v36, v38
	s_nop 0
	v_addc_co_u32_e32 v32, vcc, v33, v35, vcc
	v_mov_b32_e32 v33, v2
	s_nop 0
	v_addc_co_u32_e32 v35, vcc, 0, v34, vcc
	v_mul_lo_u32 v34, v36, v38
	v_lshl_add_u64 v[32:33], v[32:33], 0, v[34:35]
	v_add_co_u32_e32 v3, vcc, v3, v32
	v_mul_lo_u32 v34, s4, v3
	s_nop 0
	v_addc_co_u32_e32 v36, vcc, v36, v33, vcc
	v_mul_lo_u32 v32, s4, v36
	v_mul_hi_u32 v33, s4, v3
	v_add_u32_e32 v32, v33, v32
	v_mul_lo_u32 v33, s5, v3
	v_add_u32_e32 v37, v32, v33
	v_mul_hi_u32 v39, v36, v34
	v_mul_lo_u32 v41, v36, v34
	v_mul_hi_u32 v33, v3, v37
	v_mul_lo_u32 v32, v3, v37
	v_mul_hi_u32 v34, v3, v34
	v_mov_b32_e32 v35, v2
	v_lshl_add_u64 v[32:33], v[34:35], 0, v[32:33]
	v_add_co_u32_e32 v32, vcc, v32, v41
	v_mul_hi_u32 v38, v36, v37
	s_nop 0
	v_addc_co_u32_e32 v32, vcc, v33, v39, vcc
	v_mul_lo_u32 v34, v36, v37
	s_nop 0
	v_addc_co_u32_e32 v35, vcc, 0, v38, vcc
	v_mov_b32_e32 v33, v2
	v_lshl_add_u64 v[32:33], v[32:33], 0, v[34:35]
	v_ashrrev_i32_e32 v34, 31, v31
	v_mov_b32_e32 v35, v34
	v_add_co_u32_e32 v3, vcc, v3, v32
	v_lshl_add_u64 v[30:31], v[30:31], 0, v[34:35]
	s_nop 0
	v_addc_co_u32_e32 v36, vcc, v36, v33, vcc
	v_xor_b32_e32 v38, v30, v34
	v_xor_b32_e32 v35, v31, v34
	v_mad_u64_u32 v[30:31], s[4:5], v38, v36, 0
	v_mul_hi_u32 v32, v38, v3
	v_mov_b32_e32 v33, v2
	v_lshl_add_u64 v[30:31], v[32:33], 0, v[30:31]
	v_mad_u64_u32 v[32:33], s[4:5], v35, v36, 0
	v_mad_u64_u32 v[36:37], s[4:5], v35, v3, 0
	v_add_co_u32_e32 v3, vcc, v30, v36
	s_nop 1
	v_addc_co_u32_e32 v30, vcc, v31, v37, vcc
	v_mov_b32_e32 v31, v2
	s_nop 0
	v_addc_co_u32_e32 v33, vcc, 0, v33, vcc
	v_lshl_add_u64 v[30:31], v[30:31], 0, v[32:33]
	v_mul_lo_u32 v3, s45, v30
	v_mul_lo_u32 v32, s44, v31
	v_mad_u64_u32 v[30:31], s[4:5], s44, v30, 0
	v_add3_u32 v3, v31, v32, v3
	v_sub_u32_e32 v31, v35, v3
	v_mov_b32_e32 v32, s45
	v_sub_co_u32_e32 v30, vcc, v38, v30
	s_nop 1
	v_subb_co_u32_e64 v31, s[4:5], v31, v32, vcc
	v_subrev_co_u32_e64 v33, s[4:5], s44, v30
	v_subb_co_u32_e32 v3, vcc, v35, v3, vcc
	s_nop 0
	v_subbrev_co_u32_e64 v36, s[6:7], 0, v31, s[4:5]
	v_cmp_le_u32_e64 s[6:7], s45, v36
	v_subb_co_u32_e64 v31, s[4:5], v31, v32, s[4:5]
	s_nop 0
	v_cndmask_b32_e64 v37, 0, -1, s[6:7]
	v_cmp_le_u32_e64 s[6:7], s44, v33
	v_subrev_co_u32_e64 v32, s[4:5], s44, v33
	s_nop 0
	v_cndmask_b32_e64 v38, 0, -1, s[6:7]
	v_cmp_eq_u32_e64 s[6:7], s45, v36
	v_subbrev_co_u32_e64 v31, s[4:5], 0, v31, s[4:5]
	s_nop 0
	v_cndmask_b32_e64 v37, v37, v38, s[6:7]
	v_cmp_le_u32_e32 vcc, s45, v3
	v_cmp_ne_u32_e64 s[4:5], 0, v37
	s_nop 0
	v_cndmask_b32_e64 v35, 0, -1, vcc
	v_cmp_le_u32_e32 vcc, s44, v30
	v_cndmask_b32_e64 v31, v36, v31, s[4:5]
	s_nop 0
	v_cndmask_b32_e64 v36, 0, -1, vcc
	v_cmp_eq_u32_e32 vcc, s45, v3
	s_nop 1
	v_cndmask_b32_e32 v35, v35, v36, vcc
	v_cmp_ne_u32_e32 vcc, 0, v35
	s_nop 1
	v_cndmask_b32_e32 v3, v3, v31, vcc
	v_cndmask_b32_e64 v31, v33, v32, s[4:5]
	v_cndmask_b32_e32 v30, v30, v31, vcc
	v_xor_b32_e32 v30, v30, v34
	v_xor_b32_e32 v3, v3, v34
	v_sub_co_u32_e32 v32, vcc, v30, v34
                                        ; implicit-def: $vgpr30_vgpr31
	s_nop 1
	v_subb_co_u32_e32 v33, vcc, v3, v34, vcc
.LBB175_48:                             ;   in Loop: Header=BB175_33 Depth=2
	s_andn2_saveexec_b64 s[4:5], s[42:43]
	s_cbranch_execz .LBB175_31
; %bb.49:                               ;   in Loop: Header=BB175_33 Depth=2
	v_cvt_f32_u32_e32 v3, s12
	s_sub_i32 s6, 0, s12
	v_mov_b32_e32 v33, v2
	v_rcp_iflag_f32_e32 v3, v3
	s_nop 0
	v_mul_f32_e32 v3, 0x4f7ffffe, v3
	v_cvt_u32_f32_e32 v3, v3
	v_mul_lo_u32 v31, s6, v3
	v_mul_hi_u32 v31, v3, v31
	v_add_u32_e32 v3, v3, v31
	v_mul_hi_u32 v3, v30, v3
	v_mul_lo_u32 v3, v3, s12
	v_sub_u32_e32 v3, v30, v3
	v_subrev_u32_e32 v30, s12, v3
	v_cmp_le_u32_e32 vcc, s12, v3
	s_nop 1
	v_cndmask_b32_e32 v3, v3, v30, vcc
	v_subrev_u32_e32 v30, s12, v3
	v_cmp_le_u32_e32 vcc, s12, v3
	s_nop 1
	v_cndmask_b32_e32 v32, v3, v30, vcc
	s_branch .LBB175_31
.LBB175_50:                             ;   in Loop: Header=BB175_10 Depth=1
	s_ashr_i32 s40, s13, 31
	s_add_u32 s4, s12, s40
	s_mov_b32 s41, s40
	s_addc_u32 s5, s13, s40
	s_xor_b64 s[42:43], s[4:5], s[40:41]
	v_cvt_f32_u32_e32 v3, s42
	v_cvt_f32_u32_e32 v20, s43
	s_sub_u32 s4, 0, s42
	s_subb_u32 s5, 0, s43
	v_mov_b32_e32 v23, v2
	v_fmac_f32_e32 v3, 0x4f800000, v20
	v_rcp_f32_e32 v3, v3
	s_nop 0
	v_mul_f32_e32 v3, 0x5f7ffffc, v3
	v_mul_f32_e32 v20, 0x2f800000, v3
	v_trunc_f32_e32 v20, v20
	v_fmac_f32_e32 v3, 0xcf800000, v20
	v_cvt_u32_f32_e32 v24, v20
	v_cvt_u32_f32_e32 v3, v3
	v_mul_lo_u32 v20, s4, v24
	v_mul_hi_u32 v22, s4, v3
	v_mul_lo_u32 v21, s5, v3
	v_add_u32_e32 v20, v22, v20
	v_mul_lo_u32 v25, s4, v3
	v_add_u32_e32 v26, v20, v21
	v_mul_hi_u32 v21, v3, v26
	v_mul_lo_u32 v20, v3, v26
	v_mul_hi_u32 v22, v3, v25
	v_lshl_add_u64 v[20:21], v[22:23], 0, v[20:21]
	v_mul_hi_u32 v23, v24, v25
	v_mul_lo_u32 v25, v24, v25
	v_add_co_u32_e32 v20, vcc, v20, v25
	v_mul_hi_u32 v22, v24, v26
	s_nop 0
	v_addc_co_u32_e32 v20, vcc, v21, v23, vcc
	v_mov_b32_e32 v21, v2
	s_nop 0
	v_addc_co_u32_e32 v23, vcc, 0, v22, vcc
	v_mul_lo_u32 v22, v24, v26
	v_lshl_add_u64 v[20:21], v[20:21], 0, v[22:23]
	v_add_co_u32_e32 v3, vcc, v3, v20
	v_mul_lo_u32 v22, s4, v3
	s_nop 0
	v_addc_co_u32_e32 v24, vcc, v24, v21, vcc
	v_mul_lo_u32 v20, s4, v24
	v_mul_hi_u32 v21, s4, v3
	v_add_u32_e32 v20, v21, v20
	v_mul_lo_u32 v21, s5, v3
	v_add_u32_e32 v25, v20, v21
	v_mul_hi_u32 v27, v24, v22
	v_mul_lo_u32 v28, v24, v22
	v_mul_hi_u32 v21, v3, v25
	v_mul_lo_u32 v20, v3, v25
	v_mul_hi_u32 v22, v3, v22
	v_mov_b32_e32 v23, v2
	v_lshl_add_u64 v[20:21], v[22:23], 0, v[20:21]
	v_add_co_u32_e32 v20, vcc, v20, v28
	v_mul_hi_u32 v26, v24, v25
	s_nop 0
	v_addc_co_u32_e32 v20, vcc, v21, v27, vcc
	v_mul_lo_u32 v22, v24, v25
	s_nop 0
	v_addc_co_u32_e32 v23, vcc, 0, v26, vcc
	v_mov_b32_e32 v21, v2
	v_lshl_add_u64 v[20:21], v[20:21], 0, v[22:23]
	v_add_co_u32_e32 v3, vcc, v3, v20
	v_ashrrev_i32_e32 v20, 31, v5
	s_nop 0
	v_addc_co_u32_e32 v26, vcc, v24, v21, vcc
	v_mov_b32_e32 v21, v20
	v_lshl_add_u64 v[22:23], v[4:5], 0, v[20:21]
	v_xor_b32_e32 v28, v22, v20
	v_xor_b32_e32 v21, v23, v20
	v_mad_u64_u32 v[22:23], s[4:5], v28, v26, 0
	v_mul_hi_u32 v24, v28, v3
	v_mov_b32_e32 v25, v2
	v_lshl_add_u64 v[22:23], v[24:25], 0, v[22:23]
	v_mad_u64_u32 v[24:25], s[4:5], v21, v26, 0
	v_mad_u64_u32 v[26:27], s[4:5], v21, v3, 0
	v_add_co_u32_e32 v3, vcc, v22, v26
	s_nop 1
	v_addc_co_u32_e32 v22, vcc, v23, v27, vcc
	v_mov_b32_e32 v23, v2
	s_nop 0
	v_addc_co_u32_e32 v25, vcc, 0, v25, vcc
	v_lshl_add_u64 v[22:23], v[22:23], 0, v[24:25]
	v_mul_lo_u32 v3, s43, v22
	v_mul_lo_u32 v26, s42, v23
	v_mad_u64_u32 v[24:25], s[4:5], s42, v22, 0
	v_add3_u32 v3, v25, v26, v3
	v_sub_u32_e32 v25, v21, v3
	v_mov_b32_e32 v26, s43
	v_sub_co_u32_e32 v28, vcc, v28, v24
	s_nop 1
	v_subb_co_u32_e64 v24, s[4:5], v25, v26, vcc
	v_subrev_co_u32_e64 v25, s[4:5], s42, v28
	v_subb_co_u32_e32 v3, vcc, v21, v3, vcc
	s_nop 0
	v_subbrev_co_u32_e64 v24, s[4:5], 0, v24, s[4:5]
	v_cmp_le_u32_e64 s[4:5], s43, v24
	v_cmp_le_u32_e32 vcc, s43, v3
	s_nop 0
	v_cndmask_b32_e64 v26, 0, -1, s[4:5]
	v_cmp_le_u32_e64 s[4:5], s42, v25
	v_cndmask_b32_e64 v21, 0, -1, vcc
	v_cmp_le_u32_e32 vcc, s42, v28
	v_cndmask_b32_e64 v25, 0, -1, s[4:5]
	v_cmp_eq_u32_e64 s[4:5], s43, v24
	s_nop 1
	v_cndmask_b32_e64 v29, v26, v25, s[4:5]
	v_lshl_add_u64 v[24:25], v[22:23], 0, 2
	v_lshl_add_u64 v[26:27], v[22:23], 0, 1
	v_cmp_ne_u32_e64 s[4:5], 0, v29
	s_nop 1
	v_cndmask_b32_e64 v25, v27, v25, s[4:5]
	v_cndmask_b32_e64 v27, 0, -1, vcc
	v_cmp_eq_u32_e32 vcc, s43, v3
	s_nop 1
	v_cndmask_b32_e32 v3, v21, v27, vcc
	v_cmp_ne_u32_e32 vcc, 0, v3
	v_cndmask_b32_e64 v21, v26, v24, s[4:5]
	s_nop 0
	v_cndmask_b32_e32 v21, v22, v21, vcc
	v_xor_b32_e32 v22, s40, v20
	v_cndmask_b32_e32 v3, v23, v25, vcc
	v_xor_b32_e32 v20, v21, v22
	v_xor_b32_e32 v3, v3, v22
	v_sub_co_u32_e32 v20, vcc, v20, v22
	s_nop 1
	v_subb_co_u32_e32 v21, vcc, v3, v22, vcc
	s_andn2_saveexec_b64 s[4:5], s[38:39]
	s_cbranch_execz .LBB175_26
.LBB175_51:                             ;   in Loop: Header=BB175_10 Depth=1
	v_cvt_f32_u32_e32 v3, s12
	s_sub_i32 s38, 0, s12
	v_rcp_iflag_f32_e32 v3, v3
	s_nop 0
	v_mul_f32_e32 v3, 0x4f7ffffe, v3
	v_cvt_u32_f32_e32 v3, v3
	v_mul_lo_u32 v20, s38, v3
	v_mul_hi_u32 v20, v3, v20
	v_add_u32_e32 v3, v3, v20
	v_mul_hi_u32 v3, v4, v3
	v_mul_lo_u32 v20, v3, s12
	v_sub_u32_e32 v20, v4, v20
	v_add_u32_e32 v21, 1, v3
	v_subrev_u32_e32 v22, s12, v20
	v_cmp_le_u32_e32 vcc, s12, v20
	s_nop 1
	v_cndmask_b32_e32 v20, v20, v22, vcc
	v_cndmask_b32_e32 v3, v3, v21, vcc
	v_add_u32_e32 v21, 1, v3
	v_cmp_le_u32_e32 vcc, s12, v20
	s_nop 1
	v_cndmask_b32_e32 v20, v3, v21, vcc
	v_mov_b32_e32 v21, v2
	s_or_b64 exec, exec, s[4:5]
	v_cmp_ge_i64_e32 vcc, v[20:21], v[18:19]
	s_and_saveexec_b64 s[4:5], vcc
	s_cbranch_execnz .LBB175_27
	s_branch .LBB175_28
.LBB175_52:
	s_endpgm
	.section	.rodata,"a",@progbits
	.p2align	6, 0x0
	.amdhsa_kernel _ZN9rocsparseL21csr2bsr_65_inf_kernelILj32E21rocsparse_complex_numIdEllEEv20rocsparse_direction_T2_S4_S4_S4_S4_S4_21rocsparse_index_base_PKT0_PKT1_PKS4_S5_PS6_PS9_PS4_SF_SG_SE_
		.amdhsa_group_segment_fixed_size 0
		.amdhsa_private_segment_fixed_size 0
		.amdhsa_kernarg_size 144
		.amdhsa_user_sgpr_count 2
		.amdhsa_user_sgpr_dispatch_ptr 0
		.amdhsa_user_sgpr_queue_ptr 0
		.amdhsa_user_sgpr_kernarg_segment_ptr 1
		.amdhsa_user_sgpr_dispatch_id 0
		.amdhsa_user_sgpr_kernarg_preload_length 0
		.amdhsa_user_sgpr_kernarg_preload_offset 0
		.amdhsa_user_sgpr_private_segment_size 0
		.amdhsa_uses_dynamic_stack 0
		.amdhsa_enable_private_segment 0
		.amdhsa_system_sgpr_workgroup_id_x 1
		.amdhsa_system_sgpr_workgroup_id_y 0
		.amdhsa_system_sgpr_workgroup_id_z 0
		.amdhsa_system_sgpr_workgroup_info 0
		.amdhsa_system_vgpr_workitem_id 0
		.amdhsa_next_free_vgpr 46
		.amdhsa_next_free_sgpr 52
		.amdhsa_accum_offset 48
		.amdhsa_reserve_vcc 1
		.amdhsa_float_round_mode_32 0
		.amdhsa_float_round_mode_16_64 0
		.amdhsa_float_denorm_mode_32 3
		.amdhsa_float_denorm_mode_16_64 3
		.amdhsa_dx10_clamp 1
		.amdhsa_ieee_mode 1
		.amdhsa_fp16_overflow 0
		.amdhsa_tg_split 0
		.amdhsa_exception_fp_ieee_invalid_op 0
		.amdhsa_exception_fp_denorm_src 0
		.amdhsa_exception_fp_ieee_div_zero 0
		.amdhsa_exception_fp_ieee_overflow 0
		.amdhsa_exception_fp_ieee_underflow 0
		.amdhsa_exception_fp_ieee_inexact 0
		.amdhsa_exception_int_div_zero 0
	.end_amdhsa_kernel
	.section	.text._ZN9rocsparseL21csr2bsr_65_inf_kernelILj32E21rocsparse_complex_numIdEllEEv20rocsparse_direction_T2_S4_S4_S4_S4_S4_21rocsparse_index_base_PKT0_PKT1_PKS4_S5_PS6_PS9_PS4_SF_SG_SE_,"axG",@progbits,_ZN9rocsparseL21csr2bsr_65_inf_kernelILj32E21rocsparse_complex_numIdEllEEv20rocsparse_direction_T2_S4_S4_S4_S4_S4_21rocsparse_index_base_PKT0_PKT1_PKS4_S5_PS6_PS9_PS4_SF_SG_SE_,comdat
.Lfunc_end175:
	.size	_ZN9rocsparseL21csr2bsr_65_inf_kernelILj32E21rocsparse_complex_numIdEllEEv20rocsparse_direction_T2_S4_S4_S4_S4_S4_21rocsparse_index_base_PKT0_PKT1_PKS4_S5_PS6_PS9_PS4_SF_SG_SE_, .Lfunc_end175-_ZN9rocsparseL21csr2bsr_65_inf_kernelILj32E21rocsparse_complex_numIdEllEEv20rocsparse_direction_T2_S4_S4_S4_S4_S4_21rocsparse_index_base_PKT0_PKT1_PKS4_S5_PS6_PS9_PS4_SF_SG_SE_
                                        ; -- End function
	.section	.AMDGPU.csdata,"",@progbits
; Kernel info:
; codeLenInByte = 5532
; NumSgprs: 58
; NumVgprs: 46
; NumAgprs: 0
; TotalNumVgprs: 46
; ScratchSize: 0
; MemoryBound: 0
; FloatMode: 240
; IeeeMode: 1
; LDSByteSize: 0 bytes/workgroup (compile time only)
; SGPRBlocks: 7
; VGPRBlocks: 5
; NumSGPRsForWavesPerEU: 58
; NumVGPRsForWavesPerEU: 46
; AccumOffset: 48
; Occupancy: 8
; WaveLimiterHint : 1
; COMPUTE_PGM_RSRC2:SCRATCH_EN: 0
; COMPUTE_PGM_RSRC2:USER_SGPR: 2
; COMPUTE_PGM_RSRC2:TRAP_HANDLER: 0
; COMPUTE_PGM_RSRC2:TGID_X_EN: 1
; COMPUTE_PGM_RSRC2:TGID_Y_EN: 0
; COMPUTE_PGM_RSRC2:TGID_Z_EN: 0
; COMPUTE_PGM_RSRC2:TIDIG_COMP_CNT: 0
; COMPUTE_PGM_RSRC3_GFX90A:ACCUM_OFFSET: 11
; COMPUTE_PGM_RSRC3_GFX90A:TG_SPLIT: 0
	.text
	.p2alignl 6, 3212836864
	.fill 256, 4, 3212836864
	.type	__hip_cuid_c5d722f8ce85fa55,@object ; @__hip_cuid_c5d722f8ce85fa55
	.section	.bss,"aw",@nobits
	.globl	__hip_cuid_c5d722f8ce85fa55
__hip_cuid_c5d722f8ce85fa55:
	.byte	0                               ; 0x0
	.size	__hip_cuid_c5d722f8ce85fa55, 1

	.ident	"AMD clang version 19.0.0git (https://github.com/RadeonOpenCompute/llvm-project roc-6.4.0 25133 c7fe45cf4b819c5991fe208aaa96edf142730f1d)"
	.section	".note.GNU-stack","",@progbits
	.addrsig
	.addrsig_sym __hip_cuid_c5d722f8ce85fa55
	.amdgpu_metadata
---
amdhsa.kernels:
  - .agpr_count:     0
    .args:
      - .offset:         0
        .size:           4
        .value_kind:     by_value
      - .offset:         4
        .size:           4
        .value_kind:     by_value
      - .offset:         8
        .size:           4
        .value_kind:     by_value
      - .offset:         12
        .size:           4
        .value_kind:     by_value
      - .offset:         16
        .size:           4
        .value_kind:     by_value
      - .address_space:  global
        .offset:         24
        .size:           8
        .value_kind:     global_buffer
      - .address_space:  global
        .offset:         32
        .size:           8
        .value_kind:     global_buffer
      - .address_space:  global
        .offset:         40
        .size:           8
        .value_kind:     global_buffer
      - .offset:         48
        .size:           4
        .value_kind:     by_value
      - .address_space:  global
        .offset:         56
        .size:           8
        .value_kind:     global_buffer
      - .address_space:  global
        .offset:         64
        .size:           8
        .value_kind:     global_buffer
      - .address_space:  global
        .offset:         72
        .size:           8
        .value_kind:     global_buffer
      - .offset:         80
        .size:           4
        .value_kind:     hidden_block_count_x
      - .offset:         84
        .size:           4
        .value_kind:     hidden_block_count_y
      - .offset:         88
        .size:           4
        .value_kind:     hidden_block_count_z
      - .offset:         92
        .size:           2
        .value_kind:     hidden_group_size_x
      - .offset:         94
        .size:           2
        .value_kind:     hidden_group_size_y
      - .offset:         96
        .size:           2
        .value_kind:     hidden_group_size_z
      - .offset:         98
        .size:           2
        .value_kind:     hidden_remainder_x
      - .offset:         100
        .size:           2
        .value_kind:     hidden_remainder_y
      - .offset:         102
        .size:           2
        .value_kind:     hidden_remainder_z
      - .offset:         120
        .size:           8
        .value_kind:     hidden_global_offset_x
      - .offset:         128
        .size:           8
        .value_kind:     hidden_global_offset_y
      - .offset:         136
        .size:           8
        .value_kind:     hidden_global_offset_z
      - .offset:         144
        .size:           2
        .value_kind:     hidden_grid_dims
    .group_segment_fixed_size: 0
    .kernarg_segment_align: 8
    .kernarg_segment_size: 336
    .language:       OpenCL C
    .language_version:
      - 2
      - 0
    .max_flat_workgroup_size: 256
    .name:           _ZN9rocsparseL35csr2bsr_block_dim_equals_one_kernelILj256EiiiEEvT2_S1_S1_S1_21rocsparse_index_base_PKT0_PKT1_PKS1_S2_PS3_PS6_PS1_
    .private_segment_fixed_size: 0
    .sgpr_count:     20
    .sgpr_spill_count: 0
    .symbol:         _ZN9rocsparseL35csr2bsr_block_dim_equals_one_kernelILj256EiiiEEvT2_S1_S1_S1_21rocsparse_index_base_PKT0_PKT1_PKS1_S2_PS3_PS6_PS1_.kd
    .uniform_work_group_size: 1
    .uses_dynamic_stack: false
    .vgpr_count:     6
    .vgpr_spill_count: 0
    .wavefront_size: 64
  - .agpr_count:     0
    .args:
      - .offset:         0
        .size:           4
        .value_kind:     by_value
      - .offset:         4
        .size:           4
        .value_kind:     by_value
      - .offset:         8
        .size:           4
        .value_kind:     by_value
      - .offset:         12
        .size:           4
        .value_kind:     by_value
      - .offset:         16
        .size:           4
        .value_kind:     by_value
      - .offset:         20
        .size:           4
        .value_kind:     by_value
      - .offset:         24
        .size:           4
        .value_kind:     by_value
      - .actual_access:  read_only
        .address_space:  global
        .offset:         32
        .size:           8
        .value_kind:     global_buffer
      - .actual_access:  read_only
        .address_space:  global
        .offset:         40
        .size:           8
        .value_kind:     global_buffer
      - .actual_access:  read_only
        .address_space:  global
        .offset:         48
        .size:           8
        .value_kind:     global_buffer
      - .offset:         56
        .size:           4
        .value_kind:     by_value
      - .actual_access:  write_only
        .address_space:  global
        .offset:         64
        .size:           8
        .value_kind:     global_buffer
      - .actual_access:  read_only
        .address_space:  global
        .offset:         72
        .size:           8
        .value_kind:     global_buffer
      - .actual_access:  write_only
        .address_space:  global
        .offset:         80
        .size:           8
        .value_kind:     global_buffer
    .group_segment_fixed_size: 1040
    .kernarg_segment_align: 8
    .kernarg_segment_size: 88
    .language:       OpenCL C
    .language_version:
      - 2
      - 0
    .max_flat_workgroup_size: 256
    .name:           _ZN9rocsparseL42csr2bsr_wavefront_per_row_multipass_kernelILj256ELj16ELj4EiiiEEv20rocsparse_direction_T4_S2_S2_S2_S2_21rocsparse_index_base_PKT2_PKT3_PKS2_S3_PS4_PS7_PS2_
    .private_segment_fixed_size: 0
    .sgpr_count:     32
    .sgpr_spill_count: 0
    .symbol:         _ZN9rocsparseL42csr2bsr_wavefront_per_row_multipass_kernelILj256ELj16ELj4EiiiEEv20rocsparse_direction_T4_S2_S2_S2_S2_21rocsparse_index_base_PKT2_PKT3_PKS2_S3_PS4_PS7_PS2_.kd
    .uniform_work_group_size: 1
    .uses_dynamic_stack: false
    .vgpr_count:     26
    .vgpr_spill_count: 0
    .wavefront_size: 64
  - .agpr_count:     0
    .args:
      - .offset:         0
        .size:           4
        .value_kind:     by_value
      - .offset:         4
        .size:           4
        .value_kind:     by_value
      - .offset:         8
        .size:           4
        .value_kind:     by_value
      - .offset:         12
        .size:           4
        .value_kind:     by_value
      - .offset:         16
        .size:           4
        .value_kind:     by_value
      - .offset:         20
        .size:           4
        .value_kind:     by_value
      - .offset:         24
        .size:           4
        .value_kind:     by_value
      - .actual_access:  read_only
        .address_space:  global
        .offset:         32
        .size:           8
        .value_kind:     global_buffer
      - .actual_access:  read_only
        .address_space:  global
        .offset:         40
        .size:           8
        .value_kind:     global_buffer
      - .actual_access:  read_only
        .address_space:  global
        .offset:         48
        .size:           8
        .value_kind:     global_buffer
      - .offset:         56
        .size:           4
        .value_kind:     by_value
      - .actual_access:  write_only
        .address_space:  global
        .offset:         64
        .size:           8
        .value_kind:     global_buffer
      - .actual_access:  read_only
        .address_space:  global
        .offset:         72
        .size:           8
        .value_kind:     global_buffer
      - .actual_access:  write_only
        .address_space:  global
        .offset:         80
        .size:           8
        .value_kind:     global_buffer
    .group_segment_fixed_size: 1028
    .kernarg_segment_align: 8
    .kernarg_segment_size: 88
    .language:       OpenCL C
    .language_version:
      - 2
      - 0
    .max_flat_workgroup_size: 256
    .name:           _ZN9rocsparseL42csr2bsr_wavefront_per_row_multipass_kernelILj256ELj64ELj8EiiiEEv20rocsparse_direction_T4_S2_S2_S2_S2_21rocsparse_index_base_PKT2_PKT3_PKS2_S3_PS4_PS7_PS2_
    .private_segment_fixed_size: 0
    .sgpr_count:     32
    .sgpr_spill_count: 0
    .symbol:         _ZN9rocsparseL42csr2bsr_wavefront_per_row_multipass_kernelILj256ELj64ELj8EiiiEEv20rocsparse_direction_T4_S2_S2_S2_S2_21rocsparse_index_base_PKT2_PKT3_PKS2_S3_PS4_PS7_PS2_.kd
    .uniform_work_group_size: 1
    .uses_dynamic_stack: false
    .vgpr_count:     26
    .vgpr_spill_count: 0
    .wavefront_size: 64
  - .agpr_count:     0
    .args:
      - .offset:         0
        .size:           4
        .value_kind:     by_value
      - .offset:         4
        .size:           4
        .value_kind:     by_value
      - .offset:         8
        .size:           4
        .value_kind:     by_value
      - .offset:         12
        .size:           4
        .value_kind:     by_value
      - .offset:         16
        .size:           4
        .value_kind:     by_value
      - .offset:         20
        .size:           4
        .value_kind:     by_value
      - .offset:         24
        .size:           4
        .value_kind:     by_value
      - .actual_access:  read_only
        .address_space:  global
        .offset:         32
        .size:           8
        .value_kind:     global_buffer
      - .actual_access:  read_only
        .address_space:  global
        .offset:         40
        .size:           8
        .value_kind:     global_buffer
      - .actual_access:  read_only
        .address_space:  global
        .offset:         48
        .size:           8
        .value_kind:     global_buffer
      - .offset:         56
        .size:           4
        .value_kind:     by_value
      - .actual_access:  write_only
        .address_space:  global
        .offset:         64
        .size:           8
        .value_kind:     global_buffer
      - .actual_access:  read_only
        .address_space:  global
        .offset:         72
        .size:           8
        .value_kind:     global_buffer
      - .actual_access:  write_only
        .address_space:  global
        .offset:         80
        .size:           8
        .value_kind:     global_buffer
    .group_segment_fixed_size: 2056
    .kernarg_segment_align: 8
    .kernarg_segment_size: 88
    .language:       OpenCL C
    .language_version:
      - 2
      - 0
    .max_flat_workgroup_size: 256
    .name:           _ZN9rocsparseL42csr2bsr_wavefront_per_row_multipass_kernelILj256ELj32ELj8EiiiEEv20rocsparse_direction_T4_S2_S2_S2_S2_21rocsparse_index_base_PKT2_PKT3_PKS2_S3_PS4_PS7_PS2_
    .private_segment_fixed_size: 0
    .sgpr_count:     38
    .sgpr_spill_count: 0
    .symbol:         _ZN9rocsparseL42csr2bsr_wavefront_per_row_multipass_kernelILj256ELj32ELj8EiiiEEv20rocsparse_direction_T4_S2_S2_S2_S2_21rocsparse_index_base_PKT2_PKT3_PKS2_S3_PS4_PS7_PS2_.kd
    .uniform_work_group_size: 1
    .uses_dynamic_stack: false
    .vgpr_count:     33
    .vgpr_spill_count: 0
    .wavefront_size: 64
  - .agpr_count:     0
    .args:
      - .offset:         0
        .size:           4
        .value_kind:     by_value
      - .offset:         4
        .size:           4
        .value_kind:     by_value
      - .offset:         8
        .size:           4
        .value_kind:     by_value
      - .offset:         12
        .size:           4
        .value_kind:     by_value
      - .offset:         16
        .size:           4
        .value_kind:     by_value
      - .offset:         20
        .size:           4
        .value_kind:     by_value
      - .offset:         24
        .size:           4
        .value_kind:     by_value
      - .actual_access:  read_only
        .address_space:  global
        .offset:         32
        .size:           8
        .value_kind:     global_buffer
      - .actual_access:  read_only
        .address_space:  global
        .offset:         40
        .size:           8
        .value_kind:     global_buffer
      - .actual_access:  read_only
        .address_space:  global
        .offset:         48
        .size:           8
        .value_kind:     global_buffer
      - .offset:         56
        .size:           4
        .value_kind:     by_value
      - .actual_access:  write_only
        .address_space:  global
        .offset:         64
        .size:           8
        .value_kind:     global_buffer
      - .actual_access:  read_only
        .address_space:  global
        .offset:         72
        .size:           8
        .value_kind:     global_buffer
      - .actual_access:  write_only
        .address_space:  global
        .offset:         80
        .size:           8
        .value_kind:     global_buffer
    .group_segment_fixed_size: 4100
    .kernarg_segment_align: 8
    .kernarg_segment_size: 88
    .language:       OpenCL C
    .language_version:
      - 2
      - 0
    .max_flat_workgroup_size: 256
    .name:           _ZN9rocsparseL42csr2bsr_wavefront_per_row_multipass_kernelILj256ELj64ELj16EiiiEEv20rocsparse_direction_T4_S2_S2_S2_S2_21rocsparse_index_base_PKT2_PKT3_PKS2_S3_PS4_PS7_PS2_
    .private_segment_fixed_size: 0
    .sgpr_count:     41
    .sgpr_spill_count: 0
    .symbol:         _ZN9rocsparseL42csr2bsr_wavefront_per_row_multipass_kernelILj256ELj64ELj16EiiiEEv20rocsparse_direction_T4_S2_S2_S2_S2_21rocsparse_index_base_PKT2_PKT3_PKS2_S3_PS4_PS7_PS2_.kd
    .uniform_work_group_size: 1
    .uses_dynamic_stack: false
    .vgpr_count:     36
    .vgpr_spill_count: 0
    .wavefront_size: 64
  - .agpr_count:     0
    .args:
      - .offset:         0
        .size:           4
        .value_kind:     by_value
      - .offset:         4
        .size:           4
        .value_kind:     by_value
      - .offset:         8
        .size:           4
        .value_kind:     by_value
      - .offset:         12
        .size:           4
        .value_kind:     by_value
      - .offset:         16
        .size:           4
        .value_kind:     by_value
      - .offset:         20
        .size:           4
        .value_kind:     by_value
      - .offset:         24
        .size:           4
        .value_kind:     by_value
      - .actual_access:  read_only
        .address_space:  global
        .offset:         32
        .size:           8
        .value_kind:     global_buffer
      - .actual_access:  read_only
        .address_space:  global
        .offset:         40
        .size:           8
        .value_kind:     global_buffer
      - .actual_access:  read_only
        .address_space:  global
        .offset:         48
        .size:           8
        .value_kind:     global_buffer
      - .offset:         56
        .size:           4
        .value_kind:     by_value
      - .actual_access:  write_only
        .address_space:  global
        .offset:         64
        .size:           8
        .value_kind:     global_buffer
      - .actual_access:  read_only
        .address_space:  global
        .offset:         72
        .size:           8
        .value_kind:     global_buffer
      - .actual_access:  write_only
        .address_space:  global
        .offset:         80
        .size:           8
        .value_kind:     global_buffer
    .group_segment_fixed_size: 8200
    .kernarg_segment_align: 8
    .kernarg_segment_size: 88
    .language:       OpenCL C
    .language_version:
      - 2
      - 0
    .max_flat_workgroup_size: 256
    .name:           _ZN9rocsparseL42csr2bsr_wavefront_per_row_multipass_kernelILj256ELj32ELj16EiiiEEv20rocsparse_direction_T4_S2_S2_S2_S2_21rocsparse_index_base_PKT2_PKT3_PKS2_S3_PS4_PS7_PS2_
    .private_segment_fixed_size: 0
    .sgpr_count:     49
    .sgpr_spill_count: 0
    .symbol:         _ZN9rocsparseL42csr2bsr_wavefront_per_row_multipass_kernelILj256ELj32ELj16EiiiEEv20rocsparse_direction_T4_S2_S2_S2_S2_21rocsparse_index_base_PKT2_PKT3_PKS2_S3_PS4_PS7_PS2_.kd
    .uniform_work_group_size: 1
    .uses_dynamic_stack: false
    .vgpr_count:     44
    .vgpr_spill_count: 0
    .wavefront_size: 64
  - .agpr_count:     0
    .args:
      - .offset:         0
        .size:           4
        .value_kind:     by_value
      - .offset:         4
        .size:           4
        .value_kind:     by_value
      - .offset:         8
        .size:           4
        .value_kind:     by_value
      - .offset:         12
        .size:           4
        .value_kind:     by_value
      - .offset:         16
        .size:           4
        .value_kind:     by_value
      - .offset:         20
        .size:           4
        .value_kind:     by_value
      - .offset:         24
        .size:           4
        .value_kind:     by_value
      - .actual_access:  read_only
        .address_space:  global
        .offset:         32
        .size:           8
        .value_kind:     global_buffer
      - .actual_access:  read_only
        .address_space:  global
        .offset:         40
        .size:           8
        .value_kind:     global_buffer
      - .actual_access:  read_only
        .address_space:  global
        .offset:         48
        .size:           8
        .value_kind:     global_buffer
      - .offset:         56
        .size:           4
        .value_kind:     by_value
      - .actual_access:  write_only
        .address_space:  global
        .offset:         64
        .size:           8
        .value_kind:     global_buffer
      - .actual_access:  read_only
        .address_space:  global
        .offset:         72
        .size:           8
        .value_kind:     global_buffer
      - .actual_access:  write_only
        .address_space:  global
        .offset:         80
        .size:           8
        .value_kind:     global_buffer
    .group_segment_fixed_size: 4100
    .kernarg_segment_align: 8
    .kernarg_segment_size: 88
    .language:       OpenCL C
    .language_version:
      - 2
      - 0
    .max_flat_workgroup_size: 256
    .name:           _ZN9rocsparseL38csr2bsr_block_per_row_multipass_kernelILj256ELj32EiiiEEv20rocsparse_direction_T3_S2_S2_S2_S2_21rocsparse_index_base_PKT1_PKT2_PKS2_S3_PS4_PS7_PS2_
    .private_segment_fixed_size: 0
    .sgpr_count:     60
    .sgpr_spill_count: 0
    .symbol:         _ZN9rocsparseL38csr2bsr_block_per_row_multipass_kernelILj256ELj32EiiiEEv20rocsparse_direction_T3_S2_S2_S2_S2_21rocsparse_index_base_PKT1_PKT2_PKS2_S3_PS4_PS7_PS2_.kd
    .uniform_work_group_size: 1
    .uses_dynamic_stack: false
    .vgpr_count:     33
    .vgpr_spill_count: 0
    .wavefront_size: 64
  - .agpr_count:     0
    .args:
      - .offset:         0
        .size:           4
        .value_kind:     by_value
      - .offset:         4
        .size:           4
        .value_kind:     by_value
      - .offset:         8
        .size:           4
        .value_kind:     by_value
      - .offset:         12
        .size:           4
        .value_kind:     by_value
      - .offset:         16
        .size:           4
        .value_kind:     by_value
      - .offset:         20
        .size:           4
        .value_kind:     by_value
      - .offset:         24
        .size:           4
        .value_kind:     by_value
      - .actual_access:  read_only
        .address_space:  global
        .offset:         32
        .size:           8
        .value_kind:     global_buffer
      - .actual_access:  read_only
        .address_space:  global
        .offset:         40
        .size:           8
        .value_kind:     global_buffer
      - .actual_access:  read_only
        .address_space:  global
        .offset:         48
        .size:           8
        .value_kind:     global_buffer
      - .offset:         56
        .size:           4
        .value_kind:     by_value
      - .actual_access:  write_only
        .address_space:  global
        .offset:         64
        .size:           8
        .value_kind:     global_buffer
      - .actual_access:  read_only
        .address_space:  global
        .offset:         72
        .size:           8
        .value_kind:     global_buffer
      - .actual_access:  write_only
        .address_space:  global
        .offset:         80
        .size:           8
        .value_kind:     global_buffer
    .group_segment_fixed_size: 16388
    .kernarg_segment_align: 8
    .kernarg_segment_size: 88
    .language:       OpenCL C
    .language_version:
      - 2
      - 0
    .max_flat_workgroup_size: 256
    .name:           _ZN9rocsparseL38csr2bsr_block_per_row_multipass_kernelILj256ELj64EiiiEEv20rocsparse_direction_T3_S2_S2_S2_S2_21rocsparse_index_base_PKT1_PKT2_PKS2_S3_PS4_PS7_PS2_
    .private_segment_fixed_size: 0
    .sgpr_count:     104
    .sgpr_spill_count: 0
    .symbol:         _ZN9rocsparseL38csr2bsr_block_per_row_multipass_kernelILj256ELj64EiiiEEv20rocsparse_direction_T3_S2_S2_S2_S2_21rocsparse_index_base_PKT1_PKT2_PKS2_S3_PS4_PS7_PS2_.kd
    .uniform_work_group_size: 1
    .uses_dynamic_stack: false
    .vgpr_count:     57
    .vgpr_spill_count: 0
    .wavefront_size: 64
  - .agpr_count:     0
    .args:
      - .offset:         0
        .size:           4
        .value_kind:     by_value
      - .offset:         4
        .size:           4
        .value_kind:     by_value
      - .offset:         8
        .size:           4
        .value_kind:     by_value
      - .offset:         12
        .size:           4
        .value_kind:     by_value
      - .offset:         16
        .size:           4
        .value_kind:     by_value
      - .offset:         20
        .size:           4
        .value_kind:     by_value
      - .offset:         24
        .size:           4
        .value_kind:     by_value
      - .offset:         28
        .size:           4
        .value_kind:     by_value
      - .actual_access:  read_only
        .address_space:  global
        .offset:         32
        .size:           8
        .value_kind:     global_buffer
      - .actual_access:  read_only
        .address_space:  global
        .offset:         40
        .size:           8
        .value_kind:     global_buffer
      - .actual_access:  read_only
        .address_space:  global
        .offset:         48
        .size:           8
        .value_kind:     global_buffer
      - .offset:         56
        .size:           4
        .value_kind:     by_value
      - .actual_access:  write_only
        .address_space:  global
        .offset:         64
        .size:           8
        .value_kind:     global_buffer
      - .actual_access:  read_only
        .address_space:  global
        .offset:         72
        .size:           8
        .value_kind:     global_buffer
      - .actual_access:  write_only
        .address_space:  global
        .offset:         80
        .size:           8
        .value_kind:     global_buffer
      - .address_space:  global
        .offset:         88
        .size:           8
        .value_kind:     global_buffer
      - .address_space:  global
        .offset:         96
        .size:           8
        .value_kind:     global_buffer
      - .address_space:  global
        .offset:         104
        .size:           8
        .value_kind:     global_buffer
    .group_segment_fixed_size: 0
    .kernarg_segment_align: 8
    .kernarg_segment_size: 112
    .language:       OpenCL C
    .language_version:
      - 2
      - 0
    .max_flat_workgroup_size: 32
    .name:           _ZN9rocsparseL21csr2bsr_65_inf_kernelILj32EiiiEEv20rocsparse_direction_T2_S2_S2_S2_S2_S2_21rocsparse_index_base_PKT0_PKT1_PKS2_S3_PS4_PS7_PS2_SD_SE_SC_
    .private_segment_fixed_size: 0
    .sgpr_count:     52
    .sgpr_spill_count: 0
    .symbol:         _ZN9rocsparseL21csr2bsr_65_inf_kernelILj32EiiiEEv20rocsparse_direction_T2_S2_S2_S2_S2_S2_21rocsparse_index_base_PKT0_PKT1_PKS2_S3_PS4_PS7_PS2_SD_SE_SC_.kd
    .uniform_work_group_size: 1
    .uses_dynamic_stack: false
    .vgpr_count:     34
    .vgpr_spill_count: 0
    .wavefront_size: 64
  - .agpr_count:     0
    .args:
      - .offset:         0
        .size:           4
        .value_kind:     by_value
      - .offset:         4
        .size:           4
        .value_kind:     by_value
      - .offset:         8
        .size:           4
        .value_kind:     by_value
      - .offset:         12
        .size:           4
        .value_kind:     by_value
      - .offset:         16
        .size:           4
        .value_kind:     by_value
      - .address_space:  global
        .offset:         24
        .size:           8
        .value_kind:     global_buffer
      - .address_space:  global
        .offset:         32
        .size:           8
        .value_kind:     global_buffer
      - .address_space:  global
        .offset:         40
        .size:           8
        .value_kind:     global_buffer
      - .offset:         48
        .size:           4
        .value_kind:     by_value
      - .address_space:  global
        .offset:         56
        .size:           8
        .value_kind:     global_buffer
      - .address_space:  global
        .offset:         64
        .size:           8
        .value_kind:     global_buffer
      - .address_space:  global
        .offset:         72
        .size:           8
        .value_kind:     global_buffer
      - .offset:         80
        .size:           4
        .value_kind:     hidden_block_count_x
      - .offset:         84
        .size:           4
        .value_kind:     hidden_block_count_y
      - .offset:         88
        .size:           4
        .value_kind:     hidden_block_count_z
      - .offset:         92
        .size:           2
        .value_kind:     hidden_group_size_x
      - .offset:         94
        .size:           2
        .value_kind:     hidden_group_size_y
      - .offset:         96
        .size:           2
        .value_kind:     hidden_group_size_z
      - .offset:         98
        .size:           2
        .value_kind:     hidden_remainder_x
      - .offset:         100
        .size:           2
        .value_kind:     hidden_remainder_y
      - .offset:         102
        .size:           2
        .value_kind:     hidden_remainder_z
      - .offset:         120
        .size:           8
        .value_kind:     hidden_global_offset_x
      - .offset:         128
        .size:           8
        .value_kind:     hidden_global_offset_y
      - .offset:         136
        .size:           8
        .value_kind:     hidden_global_offset_z
      - .offset:         144
        .size:           2
        .value_kind:     hidden_grid_dims
    .group_segment_fixed_size: 0
    .kernarg_segment_align: 8
    .kernarg_segment_size: 336
    .language:       OpenCL C
    .language_version:
      - 2
      - 0
    .max_flat_workgroup_size: 256
    .name:           _ZN9rocsparseL35csr2bsr_block_dim_equals_one_kernelILj256EiliEEvT2_S1_S1_S1_21rocsparse_index_base_PKT0_PKT1_PKS1_S2_PS3_PS6_PS1_
    .private_segment_fixed_size: 0
    .sgpr_count:     23
    .sgpr_spill_count: 0
    .symbol:         _ZN9rocsparseL35csr2bsr_block_dim_equals_one_kernelILj256EiliEEvT2_S1_S1_S1_21rocsparse_index_base_PKT0_PKT1_PKS1_S2_PS3_PS6_PS1_.kd
    .uniform_work_group_size: 1
    .uses_dynamic_stack: false
    .vgpr_count:     9
    .vgpr_spill_count: 0
    .wavefront_size: 64
  - .agpr_count:     0
    .args:
      - .offset:         0
        .size:           4
        .value_kind:     by_value
      - .offset:         4
        .size:           4
        .value_kind:     by_value
      - .offset:         8
        .size:           4
        .value_kind:     by_value
      - .offset:         12
        .size:           4
        .value_kind:     by_value
      - .offset:         16
        .size:           4
        .value_kind:     by_value
      - .offset:         20
        .size:           4
        .value_kind:     by_value
      - .offset:         24
        .size:           4
        .value_kind:     by_value
      - .actual_access:  read_only
        .address_space:  global
        .offset:         32
        .size:           8
        .value_kind:     global_buffer
      - .actual_access:  read_only
        .address_space:  global
        .offset:         40
        .size:           8
        .value_kind:     global_buffer
      - .actual_access:  read_only
        .address_space:  global
        .offset:         48
        .size:           8
        .value_kind:     global_buffer
      - .offset:         56
        .size:           4
        .value_kind:     by_value
      - .actual_access:  write_only
        .address_space:  global
        .offset:         64
        .size:           8
        .value_kind:     global_buffer
      - .actual_access:  read_only
        .address_space:  global
        .offset:         72
        .size:           8
        .value_kind:     global_buffer
      - .actual_access:  write_only
        .address_space:  global
        .offset:         80
        .size:           8
        .value_kind:     global_buffer
    .group_segment_fixed_size: 1040
    .kernarg_segment_align: 8
    .kernarg_segment_size: 88
    .language:       OpenCL C
    .language_version:
      - 2
      - 0
    .max_flat_workgroup_size: 256
    .name:           _ZN9rocsparseL42csr2bsr_wavefront_per_row_multipass_kernelILj256ELj16ELj4EiliEEv20rocsparse_direction_T4_S2_S2_S2_S2_21rocsparse_index_base_PKT2_PKT3_PKS2_S3_PS4_PS7_PS2_
    .private_segment_fixed_size: 0
    .sgpr_count:     32
    .sgpr_spill_count: 0
    .symbol:         _ZN9rocsparseL42csr2bsr_wavefront_per_row_multipass_kernelILj256ELj16ELj4EiliEEv20rocsparse_direction_T4_S2_S2_S2_S2_21rocsparse_index_base_PKT2_PKT3_PKS2_S3_PS4_PS7_PS2_.kd
    .uniform_work_group_size: 1
    .uses_dynamic_stack: false
    .vgpr_count:     32
    .vgpr_spill_count: 0
    .wavefront_size: 64
  - .agpr_count:     0
    .args:
      - .offset:         0
        .size:           4
        .value_kind:     by_value
      - .offset:         4
        .size:           4
        .value_kind:     by_value
      - .offset:         8
        .size:           4
        .value_kind:     by_value
      - .offset:         12
        .size:           4
        .value_kind:     by_value
      - .offset:         16
        .size:           4
        .value_kind:     by_value
      - .offset:         20
        .size:           4
        .value_kind:     by_value
      - .offset:         24
        .size:           4
        .value_kind:     by_value
      - .actual_access:  read_only
        .address_space:  global
        .offset:         32
        .size:           8
        .value_kind:     global_buffer
      - .actual_access:  read_only
        .address_space:  global
        .offset:         40
        .size:           8
        .value_kind:     global_buffer
      - .actual_access:  read_only
        .address_space:  global
        .offset:         48
        .size:           8
        .value_kind:     global_buffer
      - .offset:         56
        .size:           4
        .value_kind:     by_value
      - .actual_access:  write_only
        .address_space:  global
        .offset:         64
        .size:           8
        .value_kind:     global_buffer
      - .actual_access:  read_only
        .address_space:  global
        .offset:         72
        .size:           8
        .value_kind:     global_buffer
      - .actual_access:  write_only
        .address_space:  global
        .offset:         80
        .size:           8
        .value_kind:     global_buffer
    .group_segment_fixed_size: 1028
    .kernarg_segment_align: 8
    .kernarg_segment_size: 88
    .language:       OpenCL C
    .language_version:
      - 2
      - 0
    .max_flat_workgroup_size: 256
    .name:           _ZN9rocsparseL42csr2bsr_wavefront_per_row_multipass_kernelILj256ELj64ELj8EiliEEv20rocsparse_direction_T4_S2_S2_S2_S2_21rocsparse_index_base_PKT2_PKT3_PKS2_S3_PS4_PS7_PS2_
    .private_segment_fixed_size: 0
    .sgpr_count:     32
    .sgpr_spill_count: 0
    .symbol:         _ZN9rocsparseL42csr2bsr_wavefront_per_row_multipass_kernelILj256ELj64ELj8EiliEEv20rocsparse_direction_T4_S2_S2_S2_S2_21rocsparse_index_base_PKT2_PKT3_PKS2_S3_PS4_PS7_PS2_.kd
    .uniform_work_group_size: 1
    .uses_dynamic_stack: false
    .vgpr_count:     32
    .vgpr_spill_count: 0
    .wavefront_size: 64
  - .agpr_count:     0
    .args:
      - .offset:         0
        .size:           4
        .value_kind:     by_value
      - .offset:         4
        .size:           4
        .value_kind:     by_value
      - .offset:         8
        .size:           4
        .value_kind:     by_value
      - .offset:         12
        .size:           4
        .value_kind:     by_value
      - .offset:         16
        .size:           4
        .value_kind:     by_value
      - .offset:         20
        .size:           4
        .value_kind:     by_value
      - .offset:         24
        .size:           4
        .value_kind:     by_value
      - .actual_access:  read_only
        .address_space:  global
        .offset:         32
        .size:           8
        .value_kind:     global_buffer
      - .actual_access:  read_only
        .address_space:  global
        .offset:         40
        .size:           8
        .value_kind:     global_buffer
      - .actual_access:  read_only
        .address_space:  global
        .offset:         48
        .size:           8
        .value_kind:     global_buffer
      - .offset:         56
        .size:           4
        .value_kind:     by_value
      - .actual_access:  write_only
        .address_space:  global
        .offset:         64
        .size:           8
        .value_kind:     global_buffer
      - .actual_access:  read_only
        .address_space:  global
        .offset:         72
        .size:           8
        .value_kind:     global_buffer
      - .actual_access:  write_only
        .address_space:  global
        .offset:         80
        .size:           8
        .value_kind:     global_buffer
    .group_segment_fixed_size: 2056
    .kernarg_segment_align: 8
    .kernarg_segment_size: 88
    .language:       OpenCL C
    .language_version:
      - 2
      - 0
    .max_flat_workgroup_size: 256
    .name:           _ZN9rocsparseL42csr2bsr_wavefront_per_row_multipass_kernelILj256ELj32ELj8EiliEEv20rocsparse_direction_T4_S2_S2_S2_S2_21rocsparse_index_base_PKT2_PKT3_PKS2_S3_PS4_PS7_PS2_
    .private_segment_fixed_size: 0
    .sgpr_count:     36
    .sgpr_spill_count: 0
    .symbol:         _ZN9rocsparseL42csr2bsr_wavefront_per_row_multipass_kernelILj256ELj32ELj8EiliEEv20rocsparse_direction_T4_S2_S2_S2_S2_21rocsparse_index_base_PKT2_PKT3_PKS2_S3_PS4_PS7_PS2_.kd
    .uniform_work_group_size: 1
    .uses_dynamic_stack: false
    .vgpr_count:     39
    .vgpr_spill_count: 0
    .wavefront_size: 64
  - .agpr_count:     0
    .args:
      - .offset:         0
        .size:           4
        .value_kind:     by_value
      - .offset:         4
        .size:           4
        .value_kind:     by_value
      - .offset:         8
        .size:           4
        .value_kind:     by_value
      - .offset:         12
        .size:           4
        .value_kind:     by_value
      - .offset:         16
        .size:           4
        .value_kind:     by_value
      - .offset:         20
        .size:           4
        .value_kind:     by_value
      - .offset:         24
        .size:           4
        .value_kind:     by_value
      - .actual_access:  read_only
        .address_space:  global
        .offset:         32
        .size:           8
        .value_kind:     global_buffer
      - .actual_access:  read_only
        .address_space:  global
        .offset:         40
        .size:           8
        .value_kind:     global_buffer
      - .actual_access:  read_only
        .address_space:  global
        .offset:         48
        .size:           8
        .value_kind:     global_buffer
      - .offset:         56
        .size:           4
        .value_kind:     by_value
      - .actual_access:  write_only
        .address_space:  global
        .offset:         64
        .size:           8
        .value_kind:     global_buffer
      - .actual_access:  read_only
        .address_space:  global
        .offset:         72
        .size:           8
        .value_kind:     global_buffer
      - .actual_access:  write_only
        .address_space:  global
        .offset:         80
        .size:           8
        .value_kind:     global_buffer
    .group_segment_fixed_size: 4100
    .kernarg_segment_align: 8
    .kernarg_segment_size: 88
    .language:       OpenCL C
    .language_version:
      - 2
      - 0
    .max_flat_workgroup_size: 256
    .name:           _ZN9rocsparseL42csr2bsr_wavefront_per_row_multipass_kernelILj256ELj64ELj16EiliEEv20rocsparse_direction_T4_S2_S2_S2_S2_21rocsparse_index_base_PKT2_PKT3_PKS2_S3_PS4_PS7_PS2_
    .private_segment_fixed_size: 0
    .sgpr_count:     41
    .sgpr_spill_count: 0
    .symbol:         _ZN9rocsparseL42csr2bsr_wavefront_per_row_multipass_kernelILj256ELj64ELj16EiliEEv20rocsparse_direction_T4_S2_S2_S2_S2_21rocsparse_index_base_PKT2_PKT3_PKS2_S3_PS4_PS7_PS2_.kd
    .uniform_work_group_size: 1
    .uses_dynamic_stack: false
    .vgpr_count:     43
    .vgpr_spill_count: 0
    .wavefront_size: 64
  - .agpr_count:     0
    .args:
      - .offset:         0
        .size:           4
        .value_kind:     by_value
      - .offset:         4
        .size:           4
        .value_kind:     by_value
      - .offset:         8
        .size:           4
        .value_kind:     by_value
      - .offset:         12
        .size:           4
        .value_kind:     by_value
      - .offset:         16
        .size:           4
        .value_kind:     by_value
      - .offset:         20
        .size:           4
        .value_kind:     by_value
      - .offset:         24
        .size:           4
        .value_kind:     by_value
      - .actual_access:  read_only
        .address_space:  global
        .offset:         32
        .size:           8
        .value_kind:     global_buffer
      - .actual_access:  read_only
        .address_space:  global
        .offset:         40
        .size:           8
        .value_kind:     global_buffer
      - .actual_access:  read_only
        .address_space:  global
        .offset:         48
        .size:           8
        .value_kind:     global_buffer
      - .offset:         56
        .size:           4
        .value_kind:     by_value
      - .actual_access:  write_only
        .address_space:  global
        .offset:         64
        .size:           8
        .value_kind:     global_buffer
      - .actual_access:  read_only
        .address_space:  global
        .offset:         72
        .size:           8
        .value_kind:     global_buffer
      - .actual_access:  write_only
        .address_space:  global
        .offset:         80
        .size:           8
        .value_kind:     global_buffer
    .group_segment_fixed_size: 8200
    .kernarg_segment_align: 8
    .kernarg_segment_size: 88
    .language:       OpenCL C
    .language_version:
      - 2
      - 0
    .max_flat_workgroup_size: 256
    .name:           _ZN9rocsparseL42csr2bsr_wavefront_per_row_multipass_kernelILj256ELj32ELj16EiliEEv20rocsparse_direction_T4_S2_S2_S2_S2_21rocsparse_index_base_PKT2_PKT3_PKS2_S3_PS4_PS7_PS2_
    .private_segment_fixed_size: 0
    .sgpr_count:     49
    .sgpr_spill_count: 0
    .symbol:         _ZN9rocsparseL42csr2bsr_wavefront_per_row_multipass_kernelILj256ELj32ELj16EiliEEv20rocsparse_direction_T4_S2_S2_S2_S2_21rocsparse_index_base_PKT2_PKT3_PKS2_S3_PS4_PS7_PS2_.kd
    .uniform_work_group_size: 1
    .uses_dynamic_stack: false
    .vgpr_count:     51
    .vgpr_spill_count: 0
    .wavefront_size: 64
  - .agpr_count:     0
    .args:
      - .offset:         0
        .size:           4
        .value_kind:     by_value
      - .offset:         4
        .size:           4
        .value_kind:     by_value
      - .offset:         8
        .size:           4
        .value_kind:     by_value
      - .offset:         12
        .size:           4
        .value_kind:     by_value
      - .offset:         16
        .size:           4
        .value_kind:     by_value
      - .offset:         20
        .size:           4
        .value_kind:     by_value
      - .offset:         24
        .size:           4
        .value_kind:     by_value
      - .actual_access:  read_only
        .address_space:  global
        .offset:         32
        .size:           8
        .value_kind:     global_buffer
      - .actual_access:  read_only
        .address_space:  global
        .offset:         40
        .size:           8
        .value_kind:     global_buffer
      - .actual_access:  read_only
        .address_space:  global
        .offset:         48
        .size:           8
        .value_kind:     global_buffer
      - .offset:         56
        .size:           4
        .value_kind:     by_value
      - .actual_access:  write_only
        .address_space:  global
        .offset:         64
        .size:           8
        .value_kind:     global_buffer
      - .actual_access:  read_only
        .address_space:  global
        .offset:         72
        .size:           8
        .value_kind:     global_buffer
      - .actual_access:  write_only
        .address_space:  global
        .offset:         80
        .size:           8
        .value_kind:     global_buffer
    .group_segment_fixed_size: 4100
    .kernarg_segment_align: 8
    .kernarg_segment_size: 88
    .language:       OpenCL C
    .language_version:
      - 2
      - 0
    .max_flat_workgroup_size: 256
    .name:           _ZN9rocsparseL38csr2bsr_block_per_row_multipass_kernelILj256ELj32EiliEEv20rocsparse_direction_T3_S2_S2_S2_S2_21rocsparse_index_base_PKT1_PKT2_PKS2_S3_PS4_PS7_PS2_
    .private_segment_fixed_size: 0
    .sgpr_count:     60
    .sgpr_spill_count: 0
    .symbol:         _ZN9rocsparseL38csr2bsr_block_per_row_multipass_kernelILj256ELj32EiliEEv20rocsparse_direction_T3_S2_S2_S2_S2_21rocsparse_index_base_PKT1_PKT2_PKS2_S3_PS4_PS7_PS2_.kd
    .uniform_work_group_size: 1
    .uses_dynamic_stack: false
    .vgpr_count:     39
    .vgpr_spill_count: 0
    .wavefront_size: 64
  - .agpr_count:     0
    .args:
      - .offset:         0
        .size:           4
        .value_kind:     by_value
      - .offset:         4
        .size:           4
        .value_kind:     by_value
      - .offset:         8
        .size:           4
        .value_kind:     by_value
      - .offset:         12
        .size:           4
        .value_kind:     by_value
      - .offset:         16
        .size:           4
        .value_kind:     by_value
      - .offset:         20
        .size:           4
        .value_kind:     by_value
      - .offset:         24
        .size:           4
        .value_kind:     by_value
      - .actual_access:  read_only
        .address_space:  global
        .offset:         32
        .size:           8
        .value_kind:     global_buffer
      - .actual_access:  read_only
        .address_space:  global
        .offset:         40
        .size:           8
        .value_kind:     global_buffer
      - .actual_access:  read_only
        .address_space:  global
        .offset:         48
        .size:           8
        .value_kind:     global_buffer
      - .offset:         56
        .size:           4
        .value_kind:     by_value
      - .actual_access:  write_only
        .address_space:  global
        .offset:         64
        .size:           8
        .value_kind:     global_buffer
      - .actual_access:  read_only
        .address_space:  global
        .offset:         72
        .size:           8
        .value_kind:     global_buffer
      - .actual_access:  write_only
        .address_space:  global
        .offset:         80
        .size:           8
        .value_kind:     global_buffer
    .group_segment_fixed_size: 16388
    .kernarg_segment_align: 8
    .kernarg_segment_size: 88
    .language:       OpenCL C
    .language_version:
      - 2
      - 0
    .max_flat_workgroup_size: 256
    .name:           _ZN9rocsparseL38csr2bsr_block_per_row_multipass_kernelILj256ELj64EiliEEv20rocsparse_direction_T3_S2_S2_S2_S2_21rocsparse_index_base_PKT1_PKT2_PKS2_S3_PS4_PS7_PS2_
    .private_segment_fixed_size: 0
    .sgpr_count:     104
    .sgpr_spill_count: 0
    .symbol:         _ZN9rocsparseL38csr2bsr_block_per_row_multipass_kernelILj256ELj64EiliEEv20rocsparse_direction_T3_S2_S2_S2_S2_21rocsparse_index_base_PKT1_PKT2_PKS2_S3_PS4_PS7_PS2_.kd
    .uniform_work_group_size: 1
    .uses_dynamic_stack: false
    .vgpr_count:     63
    .vgpr_spill_count: 0
    .wavefront_size: 64
  - .agpr_count:     0
    .args:
      - .offset:         0
        .size:           4
        .value_kind:     by_value
      - .offset:         4
        .size:           4
        .value_kind:     by_value
      - .offset:         8
        .size:           4
        .value_kind:     by_value
      - .offset:         12
        .size:           4
        .value_kind:     by_value
      - .offset:         16
        .size:           4
        .value_kind:     by_value
      - .offset:         20
        .size:           4
        .value_kind:     by_value
      - .offset:         24
        .size:           4
        .value_kind:     by_value
      - .offset:         28
        .size:           4
        .value_kind:     by_value
      - .actual_access:  read_only
        .address_space:  global
        .offset:         32
        .size:           8
        .value_kind:     global_buffer
      - .actual_access:  read_only
        .address_space:  global
        .offset:         40
        .size:           8
        .value_kind:     global_buffer
      - .actual_access:  read_only
        .address_space:  global
        .offset:         48
        .size:           8
        .value_kind:     global_buffer
      - .offset:         56
        .size:           4
        .value_kind:     by_value
      - .actual_access:  write_only
        .address_space:  global
        .offset:         64
        .size:           8
        .value_kind:     global_buffer
      - .actual_access:  read_only
        .address_space:  global
        .offset:         72
        .size:           8
        .value_kind:     global_buffer
      - .actual_access:  write_only
        .address_space:  global
        .offset:         80
        .size:           8
        .value_kind:     global_buffer
      - .address_space:  global
        .offset:         88
        .size:           8
        .value_kind:     global_buffer
      - .address_space:  global
        .offset:         96
        .size:           8
        .value_kind:     global_buffer
      - .address_space:  global
        .offset:         104
        .size:           8
        .value_kind:     global_buffer
    .group_segment_fixed_size: 0
    .kernarg_segment_align: 8
    .kernarg_segment_size: 112
    .language:       OpenCL C
    .language_version:
      - 2
      - 0
    .max_flat_workgroup_size: 32
    .name:           _ZN9rocsparseL21csr2bsr_65_inf_kernelILj32EiliEEv20rocsparse_direction_T2_S2_S2_S2_S2_S2_21rocsparse_index_base_PKT0_PKT1_PKS2_S3_PS4_PS7_PS2_SD_SE_SC_
    .private_segment_fixed_size: 0
    .sgpr_count:     52
    .sgpr_spill_count: 0
    .symbol:         _ZN9rocsparseL21csr2bsr_65_inf_kernelILj32EiliEEv20rocsparse_direction_T2_S2_S2_S2_S2_S2_21rocsparse_index_base_PKT0_PKT1_PKS2_S3_PS4_PS7_PS2_SD_SE_SC_.kd
    .uniform_work_group_size: 1
    .uses_dynamic_stack: false
    .vgpr_count:     34
    .vgpr_spill_count: 0
    .wavefront_size: 64
  - .agpr_count:     0
    .args:
      - .offset:         0
        .size:           8
        .value_kind:     by_value
      - .offset:         8
        .size:           8
        .value_kind:     by_value
      - .offset:         16
        .size:           8
        .value_kind:     by_value
      - .offset:         24
        .size:           8
        .value_kind:     by_value
      - .offset:         32
        .size:           4
        .value_kind:     by_value
      - .address_space:  global
        .offset:         40
        .size:           8
        .value_kind:     global_buffer
      - .address_space:  global
        .offset:         48
        .size:           8
        .value_kind:     global_buffer
      - .address_space:  global
        .offset:         56
        .size:           8
        .value_kind:     global_buffer
      - .offset:         64
        .size:           4
        .value_kind:     by_value
      - .address_space:  global
        .offset:         72
        .size:           8
        .value_kind:     global_buffer
      - .address_space:  global
        .offset:         80
        .size:           8
        .value_kind:     global_buffer
      - .address_space:  global
        .offset:         88
        .size:           8
        .value_kind:     global_buffer
      - .offset:         96
        .size:           4
        .value_kind:     hidden_block_count_x
      - .offset:         100
        .size:           4
        .value_kind:     hidden_block_count_y
      - .offset:         104
        .size:           4
        .value_kind:     hidden_block_count_z
      - .offset:         108
        .size:           2
        .value_kind:     hidden_group_size_x
      - .offset:         110
        .size:           2
        .value_kind:     hidden_group_size_y
      - .offset:         112
        .size:           2
        .value_kind:     hidden_group_size_z
      - .offset:         114
        .size:           2
        .value_kind:     hidden_remainder_x
      - .offset:         116
        .size:           2
        .value_kind:     hidden_remainder_y
      - .offset:         118
        .size:           2
        .value_kind:     hidden_remainder_z
      - .offset:         136
        .size:           8
        .value_kind:     hidden_global_offset_x
      - .offset:         144
        .size:           8
        .value_kind:     hidden_global_offset_y
      - .offset:         152
        .size:           8
        .value_kind:     hidden_global_offset_z
      - .offset:         160
        .size:           2
        .value_kind:     hidden_grid_dims
    .group_segment_fixed_size: 0
    .kernarg_segment_align: 8
    .kernarg_segment_size: 352
    .language:       OpenCL C
    .language_version:
      - 2
      - 0
    .max_flat_workgroup_size: 256
    .name:           _ZN9rocsparseL35csr2bsr_block_dim_equals_one_kernelILj256EiilEEvT2_S1_S1_S1_21rocsparse_index_base_PKT0_PKT1_PKS1_S2_PS3_PS6_PS1_
    .private_segment_fixed_size: 0
    .sgpr_count:     20
    .sgpr_spill_count: 0
    .symbol:         _ZN9rocsparseL35csr2bsr_block_dim_equals_one_kernelILj256EiilEEvT2_S1_S1_S1_21rocsparse_index_base_PKT0_PKT1_PKS1_S2_PS3_PS6_PS1_.kd
    .uniform_work_group_size: 1
    .uses_dynamic_stack: false
    .vgpr_count:     10
    .vgpr_spill_count: 0
    .wavefront_size: 64
  - .agpr_count:     0
    .args:
      - .offset:         0
        .size:           4
        .value_kind:     by_value
      - .offset:         8
        .size:           8
        .value_kind:     by_value
      - .offset:         16
        .size:           8
        .value_kind:     by_value
      - .offset:         24
        .size:           8
        .value_kind:     by_value
      - .offset:         32
        .size:           8
        .value_kind:     by_value
      - .offset:         40
        .size:           8
        .value_kind:     by_value
      - .offset:         48
        .size:           4
        .value_kind:     by_value
      - .actual_access:  read_only
        .address_space:  global
        .offset:         56
        .size:           8
        .value_kind:     global_buffer
      - .actual_access:  read_only
        .address_space:  global
        .offset:         64
        .size:           8
        .value_kind:     global_buffer
      - .actual_access:  read_only
        .address_space:  global
        .offset:         72
        .size:           8
        .value_kind:     global_buffer
      - .offset:         80
        .size:           4
        .value_kind:     by_value
      - .actual_access:  write_only
        .address_space:  global
        .offset:         88
        .size:           8
        .value_kind:     global_buffer
      - .actual_access:  read_only
        .address_space:  global
        .offset:         96
        .size:           8
        .value_kind:     global_buffer
      - .actual_access:  write_only
        .address_space:  global
        .offset:         104
        .size:           8
        .value_kind:     global_buffer
    .group_segment_fixed_size: 1040
    .kernarg_segment_align: 8
    .kernarg_segment_size: 112
    .language:       OpenCL C
    .language_version:
      - 2
      - 0
    .max_flat_workgroup_size: 256
    .name:           _ZN9rocsparseL42csr2bsr_wavefront_per_row_multipass_kernelILj256ELj16ELj4EiilEEv20rocsparse_direction_T4_S2_S2_S2_S2_21rocsparse_index_base_PKT2_PKT3_PKS2_S3_PS4_PS7_PS2_
    .private_segment_fixed_size: 0
    .sgpr_count:     37
    .sgpr_spill_count: 0
    .symbol:         _ZN9rocsparseL42csr2bsr_wavefront_per_row_multipass_kernelILj256ELj16ELj4EiilEEv20rocsparse_direction_T4_S2_S2_S2_S2_21rocsparse_index_base_PKT2_PKT3_PKS2_S3_PS4_PS7_PS2_.kd
    .uniform_work_group_size: 1
    .uses_dynamic_stack: false
    .vgpr_count:     33
    .vgpr_spill_count: 0
    .wavefront_size: 64
  - .agpr_count:     0
    .args:
      - .offset:         0
        .size:           4
        .value_kind:     by_value
      - .offset:         8
        .size:           8
        .value_kind:     by_value
      - .offset:         16
        .size:           8
        .value_kind:     by_value
      - .offset:         24
        .size:           8
        .value_kind:     by_value
      - .offset:         32
        .size:           8
        .value_kind:     by_value
      - .offset:         40
        .size:           8
        .value_kind:     by_value
      - .offset:         48
        .size:           4
        .value_kind:     by_value
      - .actual_access:  read_only
        .address_space:  global
        .offset:         56
        .size:           8
        .value_kind:     global_buffer
      - .actual_access:  read_only
        .address_space:  global
        .offset:         64
        .size:           8
        .value_kind:     global_buffer
      - .actual_access:  read_only
        .address_space:  global
        .offset:         72
        .size:           8
        .value_kind:     global_buffer
      - .offset:         80
        .size:           4
        .value_kind:     by_value
      - .actual_access:  write_only
        .address_space:  global
        .offset:         88
        .size:           8
        .value_kind:     global_buffer
      - .actual_access:  read_only
        .address_space:  global
        .offset:         96
        .size:           8
        .value_kind:     global_buffer
      - .actual_access:  write_only
        .address_space:  global
        .offset:         104
        .size:           8
        .value_kind:     global_buffer
    .group_segment_fixed_size: 1028
    .kernarg_segment_align: 8
    .kernarg_segment_size: 112
    .language:       OpenCL C
    .language_version:
      - 2
      - 0
    .max_flat_workgroup_size: 256
    .name:           _ZN9rocsparseL42csr2bsr_wavefront_per_row_multipass_kernelILj256ELj64ELj8EiilEEv20rocsparse_direction_T4_S2_S2_S2_S2_21rocsparse_index_base_PKT2_PKT3_PKS2_S3_PS4_PS7_PS2_
    .private_segment_fixed_size: 0
    .sgpr_count:     37
    .sgpr_spill_count: 0
    .symbol:         _ZN9rocsparseL42csr2bsr_wavefront_per_row_multipass_kernelILj256ELj64ELj8EiilEEv20rocsparse_direction_T4_S2_S2_S2_S2_21rocsparse_index_base_PKT2_PKT3_PKS2_S3_PS4_PS7_PS2_.kd
    .uniform_work_group_size: 1
    .uses_dynamic_stack: false
    .vgpr_count:     33
    .vgpr_spill_count: 0
    .wavefront_size: 64
  - .agpr_count:     0
    .args:
      - .offset:         0
        .size:           4
        .value_kind:     by_value
      - .offset:         8
        .size:           8
        .value_kind:     by_value
      - .offset:         16
        .size:           8
        .value_kind:     by_value
      - .offset:         24
        .size:           8
        .value_kind:     by_value
      - .offset:         32
        .size:           8
        .value_kind:     by_value
      - .offset:         40
        .size:           8
        .value_kind:     by_value
      - .offset:         48
        .size:           4
        .value_kind:     by_value
      - .actual_access:  read_only
        .address_space:  global
        .offset:         56
        .size:           8
        .value_kind:     global_buffer
      - .actual_access:  read_only
        .address_space:  global
        .offset:         64
        .size:           8
        .value_kind:     global_buffer
      - .actual_access:  read_only
        .address_space:  global
        .offset:         72
        .size:           8
        .value_kind:     global_buffer
      - .offset:         80
        .size:           4
        .value_kind:     by_value
      - .actual_access:  write_only
        .address_space:  global
        .offset:         88
        .size:           8
        .value_kind:     global_buffer
      - .actual_access:  read_only
        .address_space:  global
        .offset:         96
        .size:           8
        .value_kind:     global_buffer
      - .actual_access:  write_only
        .address_space:  global
        .offset:         104
        .size:           8
        .value_kind:     global_buffer
    .group_segment_fixed_size: 2056
    .kernarg_segment_align: 8
    .kernarg_segment_size: 112
    .language:       OpenCL C
    .language_version:
      - 2
      - 0
    .max_flat_workgroup_size: 256
    .name:           _ZN9rocsparseL42csr2bsr_wavefront_per_row_multipass_kernelILj256ELj32ELj8EiilEEv20rocsparse_direction_T4_S2_S2_S2_S2_21rocsparse_index_base_PKT2_PKT3_PKS2_S3_PS4_PS7_PS2_
    .private_segment_fixed_size: 0
    .sgpr_count:     42
    .sgpr_spill_count: 0
    .symbol:         _ZN9rocsparseL42csr2bsr_wavefront_per_row_multipass_kernelILj256ELj32ELj8EiilEEv20rocsparse_direction_T4_S2_S2_S2_S2_21rocsparse_index_base_PKT2_PKT3_PKS2_S3_PS4_PS7_PS2_.kd
    .uniform_work_group_size: 1
    .uses_dynamic_stack: false
    .vgpr_count:     39
    .vgpr_spill_count: 0
    .wavefront_size: 64
  - .agpr_count:     0
    .args:
      - .offset:         0
        .size:           4
        .value_kind:     by_value
      - .offset:         8
        .size:           8
        .value_kind:     by_value
      - .offset:         16
        .size:           8
        .value_kind:     by_value
      - .offset:         24
        .size:           8
        .value_kind:     by_value
      - .offset:         32
        .size:           8
        .value_kind:     by_value
      - .offset:         40
        .size:           8
        .value_kind:     by_value
      - .offset:         48
        .size:           4
        .value_kind:     by_value
      - .actual_access:  read_only
        .address_space:  global
        .offset:         56
        .size:           8
        .value_kind:     global_buffer
      - .actual_access:  read_only
        .address_space:  global
        .offset:         64
        .size:           8
        .value_kind:     global_buffer
      - .actual_access:  read_only
        .address_space:  global
        .offset:         72
        .size:           8
        .value_kind:     global_buffer
      - .offset:         80
        .size:           4
        .value_kind:     by_value
      - .actual_access:  write_only
        .address_space:  global
        .offset:         88
        .size:           8
        .value_kind:     global_buffer
      - .actual_access:  read_only
        .address_space:  global
        .offset:         96
        .size:           8
        .value_kind:     global_buffer
      - .actual_access:  write_only
        .address_space:  global
        .offset:         104
        .size:           8
        .value_kind:     global_buffer
    .group_segment_fixed_size: 4100
    .kernarg_segment_align: 8
    .kernarg_segment_size: 112
    .language:       OpenCL C
    .language_version:
      - 2
      - 0
    .max_flat_workgroup_size: 256
    .name:           _ZN9rocsparseL42csr2bsr_wavefront_per_row_multipass_kernelILj256ELj64ELj16EiilEEv20rocsparse_direction_T4_S2_S2_S2_S2_21rocsparse_index_base_PKT2_PKT3_PKS2_S3_PS4_PS7_PS2_
    .private_segment_fixed_size: 0
    .sgpr_count:     46
    .sgpr_spill_count: 0
    .symbol:         _ZN9rocsparseL42csr2bsr_wavefront_per_row_multipass_kernelILj256ELj64ELj16EiilEEv20rocsparse_direction_T4_S2_S2_S2_S2_21rocsparse_index_base_PKT2_PKT3_PKS2_S3_PS4_PS7_PS2_.kd
    .uniform_work_group_size: 1
    .uses_dynamic_stack: false
    .vgpr_count:     43
    .vgpr_spill_count: 0
    .wavefront_size: 64
  - .agpr_count:     0
    .args:
      - .offset:         0
        .size:           4
        .value_kind:     by_value
      - .offset:         8
        .size:           8
        .value_kind:     by_value
      - .offset:         16
        .size:           8
        .value_kind:     by_value
      - .offset:         24
        .size:           8
        .value_kind:     by_value
      - .offset:         32
        .size:           8
        .value_kind:     by_value
      - .offset:         40
        .size:           8
        .value_kind:     by_value
      - .offset:         48
        .size:           4
        .value_kind:     by_value
      - .actual_access:  read_only
        .address_space:  global
        .offset:         56
        .size:           8
        .value_kind:     global_buffer
      - .actual_access:  read_only
        .address_space:  global
        .offset:         64
        .size:           8
        .value_kind:     global_buffer
      - .actual_access:  read_only
        .address_space:  global
        .offset:         72
        .size:           8
        .value_kind:     global_buffer
      - .offset:         80
        .size:           4
        .value_kind:     by_value
      - .actual_access:  write_only
        .address_space:  global
        .offset:         88
        .size:           8
        .value_kind:     global_buffer
      - .actual_access:  read_only
        .address_space:  global
        .offset:         96
        .size:           8
        .value_kind:     global_buffer
      - .actual_access:  write_only
        .address_space:  global
        .offset:         104
        .size:           8
        .value_kind:     global_buffer
    .group_segment_fixed_size: 8200
    .kernarg_segment_align: 8
    .kernarg_segment_size: 112
    .language:       OpenCL C
    .language_version:
      - 2
      - 0
    .max_flat_workgroup_size: 256
    .name:           _ZN9rocsparseL42csr2bsr_wavefront_per_row_multipass_kernelILj256ELj32ELj16EiilEEv20rocsparse_direction_T4_S2_S2_S2_S2_21rocsparse_index_base_PKT2_PKT3_PKS2_S3_PS4_PS7_PS2_
    .private_segment_fixed_size: 0
    .sgpr_count:     54
    .sgpr_spill_count: 0
    .symbol:         _ZN9rocsparseL42csr2bsr_wavefront_per_row_multipass_kernelILj256ELj32ELj16EiilEEv20rocsparse_direction_T4_S2_S2_S2_S2_21rocsparse_index_base_PKT2_PKT3_PKS2_S3_PS4_PS7_PS2_.kd
    .uniform_work_group_size: 1
    .uses_dynamic_stack: false
    .vgpr_count:     51
    .vgpr_spill_count: 0
    .wavefront_size: 64
  - .agpr_count:     0
    .args:
      - .offset:         0
        .size:           4
        .value_kind:     by_value
      - .offset:         8
        .size:           8
        .value_kind:     by_value
      - .offset:         16
        .size:           8
        .value_kind:     by_value
      - .offset:         24
        .size:           8
        .value_kind:     by_value
      - .offset:         32
        .size:           8
        .value_kind:     by_value
      - .offset:         40
        .size:           8
        .value_kind:     by_value
      - .offset:         48
        .size:           4
        .value_kind:     by_value
      - .actual_access:  read_only
        .address_space:  global
        .offset:         56
        .size:           8
        .value_kind:     global_buffer
      - .actual_access:  read_only
        .address_space:  global
        .offset:         64
        .size:           8
        .value_kind:     global_buffer
      - .actual_access:  read_only
        .address_space:  global
        .offset:         72
        .size:           8
        .value_kind:     global_buffer
      - .offset:         80
        .size:           4
        .value_kind:     by_value
      - .actual_access:  write_only
        .address_space:  global
        .offset:         88
        .size:           8
        .value_kind:     global_buffer
      - .actual_access:  read_only
        .address_space:  global
        .offset:         96
        .size:           8
        .value_kind:     global_buffer
      - .actual_access:  write_only
        .address_space:  global
        .offset:         104
        .size:           8
        .value_kind:     global_buffer
    .group_segment_fixed_size: 4100
    .kernarg_segment_align: 8
    .kernarg_segment_size: 112
    .language:       OpenCL C
    .language_version:
      - 2
      - 0
    .max_flat_workgroup_size: 256
    .name:           _ZN9rocsparseL38csr2bsr_block_per_row_multipass_kernelILj256ELj32EiilEEv20rocsparse_direction_T3_S2_S2_S2_S2_21rocsparse_index_base_PKT1_PKT2_PKS2_S3_PS4_PS7_PS2_
    .private_segment_fixed_size: 0
    .sgpr_count:     66
    .sgpr_spill_count: 0
    .symbol:         _ZN9rocsparseL38csr2bsr_block_per_row_multipass_kernelILj256ELj32EiilEEv20rocsparse_direction_T3_S2_S2_S2_S2_21rocsparse_index_base_PKT1_PKT2_PKS2_S3_PS4_PS7_PS2_.kd
    .uniform_work_group_size: 1
    .uses_dynamic_stack: false
    .vgpr_count:     38
    .vgpr_spill_count: 0
    .wavefront_size: 64
  - .agpr_count:     0
    .args:
      - .offset:         0
        .size:           4
        .value_kind:     by_value
      - .offset:         8
        .size:           8
        .value_kind:     by_value
      - .offset:         16
        .size:           8
        .value_kind:     by_value
      - .offset:         24
        .size:           8
        .value_kind:     by_value
      - .offset:         32
        .size:           8
        .value_kind:     by_value
      - .offset:         40
        .size:           8
        .value_kind:     by_value
      - .offset:         48
        .size:           4
        .value_kind:     by_value
      - .actual_access:  read_only
        .address_space:  global
        .offset:         56
        .size:           8
        .value_kind:     global_buffer
      - .actual_access:  read_only
        .address_space:  global
        .offset:         64
        .size:           8
        .value_kind:     global_buffer
      - .actual_access:  read_only
        .address_space:  global
        .offset:         72
        .size:           8
        .value_kind:     global_buffer
      - .offset:         80
        .size:           4
        .value_kind:     by_value
      - .actual_access:  write_only
        .address_space:  global
        .offset:         88
        .size:           8
        .value_kind:     global_buffer
      - .actual_access:  read_only
        .address_space:  global
        .offset:         96
        .size:           8
        .value_kind:     global_buffer
      - .actual_access:  write_only
        .address_space:  global
        .offset:         104
        .size:           8
        .value_kind:     global_buffer
    .group_segment_fixed_size: 16388
    .kernarg_segment_align: 8
    .kernarg_segment_size: 112
    .language:       OpenCL C
    .language_version:
      - 2
      - 0
    .max_flat_workgroup_size: 256
    .name:           _ZN9rocsparseL38csr2bsr_block_per_row_multipass_kernelILj256ELj64EiilEEv20rocsparse_direction_T3_S2_S2_S2_S2_21rocsparse_index_base_PKT1_PKT2_PKS2_S3_PS4_PS7_PS2_
    .private_segment_fixed_size: 0
    .sgpr_count:     106
    .sgpr_spill_count: 0
    .symbol:         _ZN9rocsparseL38csr2bsr_block_per_row_multipass_kernelILj256ELj64EiilEEv20rocsparse_direction_T3_S2_S2_S2_S2_21rocsparse_index_base_PKT1_PKT2_PKS2_S3_PS4_PS7_PS2_.kd
    .uniform_work_group_size: 1
    .uses_dynamic_stack: false
    .vgpr_count:     62
    .vgpr_spill_count: 0
    .wavefront_size: 64
  - .agpr_count:     0
    .args:
      - .offset:         0
        .size:           4
        .value_kind:     by_value
      - .offset:         8
        .size:           8
        .value_kind:     by_value
      - .offset:         16
        .size:           8
        .value_kind:     by_value
      - .offset:         24
        .size:           8
        .value_kind:     by_value
      - .offset:         32
        .size:           8
        .value_kind:     by_value
      - .offset:         40
        .size:           8
        .value_kind:     by_value
      - .offset:         48
        .size:           8
        .value_kind:     by_value
      - .offset:         56
        .size:           4
        .value_kind:     by_value
      - .actual_access:  read_only
        .address_space:  global
        .offset:         64
        .size:           8
        .value_kind:     global_buffer
      - .actual_access:  read_only
        .address_space:  global
        .offset:         72
        .size:           8
        .value_kind:     global_buffer
      - .actual_access:  read_only
        .address_space:  global
        .offset:         80
        .size:           8
        .value_kind:     global_buffer
      - .offset:         88
        .size:           4
        .value_kind:     by_value
      - .actual_access:  write_only
        .address_space:  global
        .offset:         96
        .size:           8
        .value_kind:     global_buffer
      - .actual_access:  read_only
        .address_space:  global
        .offset:         104
        .size:           8
        .value_kind:     global_buffer
      - .actual_access:  write_only
        .address_space:  global
        .offset:         112
        .size:           8
        .value_kind:     global_buffer
      - .address_space:  global
        .offset:         120
        .size:           8
        .value_kind:     global_buffer
      - .address_space:  global
        .offset:         128
        .size:           8
        .value_kind:     global_buffer
      - .address_space:  global
        .offset:         136
        .size:           8
        .value_kind:     global_buffer
    .group_segment_fixed_size: 0
    .kernarg_segment_align: 8
    .kernarg_segment_size: 144
    .language:       OpenCL C
    .language_version:
      - 2
      - 0
    .max_flat_workgroup_size: 32
    .name:           _ZN9rocsparseL21csr2bsr_65_inf_kernelILj32EiilEEv20rocsparse_direction_T2_S2_S2_S2_S2_S2_21rocsparse_index_base_PKT0_PKT1_PKS2_S3_PS4_PS7_PS2_SD_SE_SC_
    .private_segment_fixed_size: 0
    .sgpr_count:     58
    .sgpr_spill_count: 0
    .symbol:         _ZN9rocsparseL21csr2bsr_65_inf_kernelILj32EiilEEv20rocsparse_direction_T2_S2_S2_S2_S2_S2_21rocsparse_index_base_PKT0_PKT1_PKS2_S3_PS4_PS7_PS2_SD_SE_SC_.kd
    .uniform_work_group_size: 1
    .uses_dynamic_stack: false
    .vgpr_count:     46
    .vgpr_spill_count: 0
    .wavefront_size: 64
  - .agpr_count:     0
    .args:
      - .offset:         0
        .size:           8
        .value_kind:     by_value
      - .offset:         8
        .size:           8
        .value_kind:     by_value
      - .offset:         16
        .size:           8
        .value_kind:     by_value
      - .offset:         24
        .size:           8
        .value_kind:     by_value
      - .offset:         32
        .size:           4
        .value_kind:     by_value
      - .address_space:  global
        .offset:         40
        .size:           8
        .value_kind:     global_buffer
      - .address_space:  global
        .offset:         48
        .size:           8
        .value_kind:     global_buffer
      - .address_space:  global
        .offset:         56
        .size:           8
        .value_kind:     global_buffer
      - .offset:         64
        .size:           4
        .value_kind:     by_value
      - .address_space:  global
        .offset:         72
        .size:           8
        .value_kind:     global_buffer
      - .address_space:  global
        .offset:         80
        .size:           8
        .value_kind:     global_buffer
      - .address_space:  global
        .offset:         88
        .size:           8
        .value_kind:     global_buffer
      - .offset:         96
        .size:           4
        .value_kind:     hidden_block_count_x
      - .offset:         100
        .size:           4
        .value_kind:     hidden_block_count_y
      - .offset:         104
        .size:           4
        .value_kind:     hidden_block_count_z
      - .offset:         108
        .size:           2
        .value_kind:     hidden_group_size_x
      - .offset:         110
        .size:           2
        .value_kind:     hidden_group_size_y
      - .offset:         112
        .size:           2
        .value_kind:     hidden_group_size_z
      - .offset:         114
        .size:           2
        .value_kind:     hidden_remainder_x
      - .offset:         116
        .size:           2
        .value_kind:     hidden_remainder_y
      - .offset:         118
        .size:           2
        .value_kind:     hidden_remainder_z
      - .offset:         136
        .size:           8
        .value_kind:     hidden_global_offset_x
      - .offset:         144
        .size:           8
        .value_kind:     hidden_global_offset_y
      - .offset:         152
        .size:           8
        .value_kind:     hidden_global_offset_z
      - .offset:         160
        .size:           2
        .value_kind:     hidden_grid_dims
    .group_segment_fixed_size: 0
    .kernarg_segment_align: 8
    .kernarg_segment_size: 352
    .language:       OpenCL C
    .language_version:
      - 2
      - 0
    .max_flat_workgroup_size: 256
    .name:           _ZN9rocsparseL35csr2bsr_block_dim_equals_one_kernelILj256EillEEvT2_S1_S1_S1_21rocsparse_index_base_PKT0_PKT1_PKS1_S2_PS3_PS6_PS1_
    .private_segment_fixed_size: 0
    .sgpr_count:     26
    .sgpr_spill_count: 0
    .symbol:         _ZN9rocsparseL35csr2bsr_block_dim_equals_one_kernelILj256EillEEvT2_S1_S1_S1_21rocsparse_index_base_PKT0_PKT1_PKS1_S2_PS3_PS6_PS1_.kd
    .uniform_work_group_size: 1
    .uses_dynamic_stack: false
    .vgpr_count:     13
    .vgpr_spill_count: 0
    .wavefront_size: 64
  - .agpr_count:     0
    .args:
      - .offset:         0
        .size:           4
        .value_kind:     by_value
      - .offset:         8
        .size:           8
        .value_kind:     by_value
      - .offset:         16
        .size:           8
        .value_kind:     by_value
      - .offset:         24
        .size:           8
        .value_kind:     by_value
      - .offset:         32
        .size:           8
        .value_kind:     by_value
      - .offset:         40
        .size:           8
        .value_kind:     by_value
      - .offset:         48
        .size:           4
        .value_kind:     by_value
      - .actual_access:  read_only
        .address_space:  global
        .offset:         56
        .size:           8
        .value_kind:     global_buffer
      - .actual_access:  read_only
        .address_space:  global
        .offset:         64
        .size:           8
        .value_kind:     global_buffer
      - .actual_access:  read_only
        .address_space:  global
        .offset:         72
        .size:           8
        .value_kind:     global_buffer
      - .offset:         80
        .size:           4
        .value_kind:     by_value
      - .actual_access:  write_only
        .address_space:  global
        .offset:         88
        .size:           8
        .value_kind:     global_buffer
      - .actual_access:  read_only
        .address_space:  global
        .offset:         96
        .size:           8
        .value_kind:     global_buffer
      - .actual_access:  write_only
        .address_space:  global
        .offset:         104
        .size:           8
        .value_kind:     global_buffer
    .group_segment_fixed_size: 1040
    .kernarg_segment_align: 8
    .kernarg_segment_size: 112
    .language:       OpenCL C
    .language_version:
      - 2
      - 0
    .max_flat_workgroup_size: 256
    .name:           _ZN9rocsparseL42csr2bsr_wavefront_per_row_multipass_kernelILj256ELj16ELj4EillEEv20rocsparse_direction_T4_S2_S2_S2_S2_21rocsparse_index_base_PKT2_PKT3_PKS2_S3_PS4_PS7_PS2_
    .private_segment_fixed_size: 0
    .sgpr_count:     38
    .sgpr_spill_count: 0
    .symbol:         _ZN9rocsparseL42csr2bsr_wavefront_per_row_multipass_kernelILj256ELj16ELj4EillEEv20rocsparse_direction_T4_S2_S2_S2_S2_21rocsparse_index_base_PKT2_PKT3_PKS2_S3_PS4_PS7_PS2_.kd
    .uniform_work_group_size: 1
    .uses_dynamic_stack: false
    .vgpr_count:     40
    .vgpr_spill_count: 0
    .wavefront_size: 64
  - .agpr_count:     0
    .args:
      - .offset:         0
        .size:           4
        .value_kind:     by_value
      - .offset:         8
        .size:           8
        .value_kind:     by_value
      - .offset:         16
        .size:           8
        .value_kind:     by_value
      - .offset:         24
        .size:           8
        .value_kind:     by_value
      - .offset:         32
        .size:           8
        .value_kind:     by_value
      - .offset:         40
        .size:           8
        .value_kind:     by_value
      - .offset:         48
        .size:           4
        .value_kind:     by_value
      - .actual_access:  read_only
        .address_space:  global
        .offset:         56
        .size:           8
        .value_kind:     global_buffer
      - .actual_access:  read_only
        .address_space:  global
        .offset:         64
        .size:           8
        .value_kind:     global_buffer
      - .actual_access:  read_only
        .address_space:  global
        .offset:         72
        .size:           8
        .value_kind:     global_buffer
      - .offset:         80
        .size:           4
        .value_kind:     by_value
      - .actual_access:  write_only
        .address_space:  global
        .offset:         88
        .size:           8
        .value_kind:     global_buffer
      - .actual_access:  read_only
        .address_space:  global
        .offset:         96
        .size:           8
        .value_kind:     global_buffer
      - .actual_access:  write_only
        .address_space:  global
        .offset:         104
        .size:           8
        .value_kind:     global_buffer
    .group_segment_fixed_size: 1028
    .kernarg_segment_align: 8
    .kernarg_segment_size: 112
    .language:       OpenCL C
    .language_version:
      - 2
      - 0
    .max_flat_workgroup_size: 256
    .name:           _ZN9rocsparseL42csr2bsr_wavefront_per_row_multipass_kernelILj256ELj64ELj8EillEEv20rocsparse_direction_T4_S2_S2_S2_S2_21rocsparse_index_base_PKT2_PKT3_PKS2_S3_PS4_PS7_PS2_
    .private_segment_fixed_size: 0
    .sgpr_count:     38
    .sgpr_spill_count: 0
    .symbol:         _ZN9rocsparseL42csr2bsr_wavefront_per_row_multipass_kernelILj256ELj64ELj8EillEEv20rocsparse_direction_T4_S2_S2_S2_S2_21rocsparse_index_base_PKT2_PKT3_PKS2_S3_PS4_PS7_PS2_.kd
    .uniform_work_group_size: 1
    .uses_dynamic_stack: false
    .vgpr_count:     40
    .vgpr_spill_count: 0
    .wavefront_size: 64
  - .agpr_count:     0
    .args:
      - .offset:         0
        .size:           4
        .value_kind:     by_value
      - .offset:         8
        .size:           8
        .value_kind:     by_value
      - .offset:         16
        .size:           8
        .value_kind:     by_value
      - .offset:         24
        .size:           8
        .value_kind:     by_value
      - .offset:         32
        .size:           8
        .value_kind:     by_value
      - .offset:         40
        .size:           8
        .value_kind:     by_value
      - .offset:         48
        .size:           4
        .value_kind:     by_value
      - .actual_access:  read_only
        .address_space:  global
        .offset:         56
        .size:           8
        .value_kind:     global_buffer
      - .actual_access:  read_only
        .address_space:  global
        .offset:         64
        .size:           8
        .value_kind:     global_buffer
      - .actual_access:  read_only
        .address_space:  global
        .offset:         72
        .size:           8
        .value_kind:     global_buffer
      - .offset:         80
        .size:           4
        .value_kind:     by_value
      - .actual_access:  write_only
        .address_space:  global
        .offset:         88
        .size:           8
        .value_kind:     global_buffer
      - .actual_access:  read_only
        .address_space:  global
        .offset:         96
        .size:           8
        .value_kind:     global_buffer
      - .actual_access:  write_only
        .address_space:  global
        .offset:         104
        .size:           8
        .value_kind:     global_buffer
    .group_segment_fixed_size: 2056
    .kernarg_segment_align: 8
    .kernarg_segment_size: 112
    .language:       OpenCL C
    .language_version:
      - 2
      - 0
    .max_flat_workgroup_size: 256
    .name:           _ZN9rocsparseL42csr2bsr_wavefront_per_row_multipass_kernelILj256ELj32ELj8EillEEv20rocsparse_direction_T4_S2_S2_S2_S2_21rocsparse_index_base_PKT2_PKT3_PKS2_S3_PS4_PS7_PS2_
    .private_segment_fixed_size: 0
    .sgpr_count:     43
    .sgpr_spill_count: 0
    .symbol:         _ZN9rocsparseL42csr2bsr_wavefront_per_row_multipass_kernelILj256ELj32ELj8EillEEv20rocsparse_direction_T4_S2_S2_S2_S2_21rocsparse_index_base_PKT2_PKT3_PKS2_S3_PS4_PS7_PS2_.kd
    .uniform_work_group_size: 1
    .uses_dynamic_stack: false
    .vgpr_count:     46
    .vgpr_spill_count: 0
    .wavefront_size: 64
  - .agpr_count:     0
    .args:
      - .offset:         0
        .size:           4
        .value_kind:     by_value
      - .offset:         8
        .size:           8
        .value_kind:     by_value
      - .offset:         16
        .size:           8
        .value_kind:     by_value
      - .offset:         24
        .size:           8
        .value_kind:     by_value
      - .offset:         32
        .size:           8
        .value_kind:     by_value
      - .offset:         40
        .size:           8
        .value_kind:     by_value
      - .offset:         48
        .size:           4
        .value_kind:     by_value
      - .actual_access:  read_only
        .address_space:  global
        .offset:         56
        .size:           8
        .value_kind:     global_buffer
      - .actual_access:  read_only
        .address_space:  global
        .offset:         64
        .size:           8
        .value_kind:     global_buffer
      - .actual_access:  read_only
        .address_space:  global
        .offset:         72
        .size:           8
        .value_kind:     global_buffer
      - .offset:         80
        .size:           4
        .value_kind:     by_value
      - .actual_access:  write_only
        .address_space:  global
        .offset:         88
        .size:           8
        .value_kind:     global_buffer
      - .actual_access:  read_only
        .address_space:  global
        .offset:         96
        .size:           8
        .value_kind:     global_buffer
      - .actual_access:  write_only
        .address_space:  global
        .offset:         104
        .size:           8
        .value_kind:     global_buffer
    .group_segment_fixed_size: 4100
    .kernarg_segment_align: 8
    .kernarg_segment_size: 112
    .language:       OpenCL C
    .language_version:
      - 2
      - 0
    .max_flat_workgroup_size: 256
    .name:           _ZN9rocsparseL42csr2bsr_wavefront_per_row_multipass_kernelILj256ELj64ELj16EillEEv20rocsparse_direction_T4_S2_S2_S2_S2_21rocsparse_index_base_PKT2_PKT3_PKS2_S3_PS4_PS7_PS2_
    .private_segment_fixed_size: 0
    .sgpr_count:     47
    .sgpr_spill_count: 0
    .symbol:         _ZN9rocsparseL42csr2bsr_wavefront_per_row_multipass_kernelILj256ELj64ELj16EillEEv20rocsparse_direction_T4_S2_S2_S2_S2_21rocsparse_index_base_PKT2_PKT3_PKS2_S3_PS4_PS7_PS2_.kd
    .uniform_work_group_size: 1
    .uses_dynamic_stack: false
    .vgpr_count:     50
    .vgpr_spill_count: 0
    .wavefront_size: 64
  - .agpr_count:     0
    .args:
      - .offset:         0
        .size:           4
        .value_kind:     by_value
      - .offset:         8
        .size:           8
        .value_kind:     by_value
      - .offset:         16
        .size:           8
        .value_kind:     by_value
      - .offset:         24
        .size:           8
        .value_kind:     by_value
      - .offset:         32
        .size:           8
        .value_kind:     by_value
      - .offset:         40
        .size:           8
        .value_kind:     by_value
      - .offset:         48
        .size:           4
        .value_kind:     by_value
      - .actual_access:  read_only
        .address_space:  global
        .offset:         56
        .size:           8
        .value_kind:     global_buffer
      - .actual_access:  read_only
        .address_space:  global
        .offset:         64
        .size:           8
        .value_kind:     global_buffer
      - .actual_access:  read_only
        .address_space:  global
        .offset:         72
        .size:           8
        .value_kind:     global_buffer
      - .offset:         80
        .size:           4
        .value_kind:     by_value
      - .actual_access:  write_only
        .address_space:  global
        .offset:         88
        .size:           8
        .value_kind:     global_buffer
      - .actual_access:  read_only
        .address_space:  global
        .offset:         96
        .size:           8
        .value_kind:     global_buffer
      - .actual_access:  write_only
        .address_space:  global
        .offset:         104
        .size:           8
        .value_kind:     global_buffer
    .group_segment_fixed_size: 8200
    .kernarg_segment_align: 8
    .kernarg_segment_size: 112
    .language:       OpenCL C
    .language_version:
      - 2
      - 0
    .max_flat_workgroup_size: 256
    .name:           _ZN9rocsparseL42csr2bsr_wavefront_per_row_multipass_kernelILj256ELj32ELj16EillEEv20rocsparse_direction_T4_S2_S2_S2_S2_21rocsparse_index_base_PKT2_PKT3_PKS2_S3_PS4_PS7_PS2_
    .private_segment_fixed_size: 0
    .sgpr_count:     55
    .sgpr_spill_count: 0
    .symbol:         _ZN9rocsparseL42csr2bsr_wavefront_per_row_multipass_kernelILj256ELj32ELj16EillEEv20rocsparse_direction_T4_S2_S2_S2_S2_21rocsparse_index_base_PKT2_PKT3_PKS2_S3_PS4_PS7_PS2_.kd
    .uniform_work_group_size: 1
    .uses_dynamic_stack: false
    .vgpr_count:     58
    .vgpr_spill_count: 0
    .wavefront_size: 64
  - .agpr_count:     0
    .args:
      - .offset:         0
        .size:           4
        .value_kind:     by_value
      - .offset:         8
        .size:           8
        .value_kind:     by_value
      - .offset:         16
        .size:           8
        .value_kind:     by_value
      - .offset:         24
        .size:           8
        .value_kind:     by_value
      - .offset:         32
        .size:           8
        .value_kind:     by_value
      - .offset:         40
        .size:           8
        .value_kind:     by_value
      - .offset:         48
        .size:           4
        .value_kind:     by_value
      - .actual_access:  read_only
        .address_space:  global
        .offset:         56
        .size:           8
        .value_kind:     global_buffer
      - .actual_access:  read_only
        .address_space:  global
        .offset:         64
        .size:           8
        .value_kind:     global_buffer
      - .actual_access:  read_only
        .address_space:  global
        .offset:         72
        .size:           8
        .value_kind:     global_buffer
      - .offset:         80
        .size:           4
        .value_kind:     by_value
      - .actual_access:  write_only
        .address_space:  global
        .offset:         88
        .size:           8
        .value_kind:     global_buffer
      - .actual_access:  read_only
        .address_space:  global
        .offset:         96
        .size:           8
        .value_kind:     global_buffer
      - .actual_access:  write_only
        .address_space:  global
        .offset:         104
        .size:           8
        .value_kind:     global_buffer
    .group_segment_fixed_size: 4100
    .kernarg_segment_align: 8
    .kernarg_segment_size: 112
    .language:       OpenCL C
    .language_version:
      - 2
      - 0
    .max_flat_workgroup_size: 256
    .name:           _ZN9rocsparseL38csr2bsr_block_per_row_multipass_kernelILj256ELj32EillEEv20rocsparse_direction_T3_S2_S2_S2_S2_21rocsparse_index_base_PKT1_PKT2_PKS2_S3_PS4_PS7_PS2_
    .private_segment_fixed_size: 0
    .sgpr_count:     67
    .sgpr_spill_count: 0
    .symbol:         _ZN9rocsparseL38csr2bsr_block_per_row_multipass_kernelILj256ELj32EillEEv20rocsparse_direction_T3_S2_S2_S2_S2_21rocsparse_index_base_PKT1_PKT2_PKS2_S3_PS4_PS7_PS2_.kd
    .uniform_work_group_size: 1
    .uses_dynamic_stack: false
    .vgpr_count:     44
    .vgpr_spill_count: 0
    .wavefront_size: 64
  - .agpr_count:     0
    .args:
      - .offset:         0
        .size:           4
        .value_kind:     by_value
      - .offset:         8
        .size:           8
        .value_kind:     by_value
      - .offset:         16
        .size:           8
        .value_kind:     by_value
      - .offset:         24
        .size:           8
        .value_kind:     by_value
      - .offset:         32
        .size:           8
        .value_kind:     by_value
      - .offset:         40
        .size:           8
        .value_kind:     by_value
      - .offset:         48
        .size:           4
        .value_kind:     by_value
      - .actual_access:  read_only
        .address_space:  global
        .offset:         56
        .size:           8
        .value_kind:     global_buffer
      - .actual_access:  read_only
        .address_space:  global
        .offset:         64
        .size:           8
        .value_kind:     global_buffer
      - .actual_access:  read_only
        .address_space:  global
        .offset:         72
        .size:           8
        .value_kind:     global_buffer
      - .offset:         80
        .size:           4
        .value_kind:     by_value
      - .actual_access:  write_only
        .address_space:  global
        .offset:         88
        .size:           8
        .value_kind:     global_buffer
      - .actual_access:  read_only
        .address_space:  global
        .offset:         96
        .size:           8
        .value_kind:     global_buffer
      - .actual_access:  write_only
        .address_space:  global
        .offset:         104
        .size:           8
        .value_kind:     global_buffer
    .group_segment_fixed_size: 16388
    .kernarg_segment_align: 8
    .kernarg_segment_size: 112
    .language:       OpenCL C
    .language_version:
      - 2
      - 0
    .max_flat_workgroup_size: 256
    .name:           _ZN9rocsparseL38csr2bsr_block_per_row_multipass_kernelILj256ELj64EillEEv20rocsparse_direction_T3_S2_S2_S2_S2_21rocsparse_index_base_PKT1_PKT2_PKS2_S3_PS4_PS7_PS2_
    .private_segment_fixed_size: 0
    .sgpr_count:     106
    .sgpr_spill_count: 0
    .symbol:         _ZN9rocsparseL38csr2bsr_block_per_row_multipass_kernelILj256ELj64EillEEv20rocsparse_direction_T3_S2_S2_S2_S2_21rocsparse_index_base_PKT1_PKT2_PKS2_S3_PS4_PS7_PS2_.kd
    .uniform_work_group_size: 1
    .uses_dynamic_stack: false
    .vgpr_count:     68
    .vgpr_spill_count: 0
    .wavefront_size: 64
  - .agpr_count:     0
    .args:
      - .offset:         0
        .size:           4
        .value_kind:     by_value
      - .offset:         8
        .size:           8
        .value_kind:     by_value
      - .offset:         16
        .size:           8
        .value_kind:     by_value
      - .offset:         24
        .size:           8
        .value_kind:     by_value
      - .offset:         32
        .size:           8
        .value_kind:     by_value
      - .offset:         40
        .size:           8
        .value_kind:     by_value
      - .offset:         48
        .size:           8
        .value_kind:     by_value
      - .offset:         56
        .size:           4
        .value_kind:     by_value
      - .actual_access:  read_only
        .address_space:  global
        .offset:         64
        .size:           8
        .value_kind:     global_buffer
      - .actual_access:  read_only
        .address_space:  global
        .offset:         72
        .size:           8
        .value_kind:     global_buffer
      - .actual_access:  read_only
        .address_space:  global
        .offset:         80
        .size:           8
        .value_kind:     global_buffer
      - .offset:         88
        .size:           4
        .value_kind:     by_value
      - .actual_access:  write_only
        .address_space:  global
        .offset:         96
        .size:           8
        .value_kind:     global_buffer
      - .actual_access:  read_only
        .address_space:  global
        .offset:         104
        .size:           8
        .value_kind:     global_buffer
      - .actual_access:  write_only
        .address_space:  global
        .offset:         112
        .size:           8
        .value_kind:     global_buffer
      - .address_space:  global
        .offset:         120
        .size:           8
        .value_kind:     global_buffer
      - .address_space:  global
        .offset:         128
        .size:           8
        .value_kind:     global_buffer
      - .address_space:  global
        .offset:         136
        .size:           8
        .value_kind:     global_buffer
    .group_segment_fixed_size: 0
    .kernarg_segment_align: 8
    .kernarg_segment_size: 144
    .language:       OpenCL C
    .language_version:
      - 2
      - 0
    .max_flat_workgroup_size: 32
    .name:           _ZN9rocsparseL21csr2bsr_65_inf_kernelILj32EillEEv20rocsparse_direction_T2_S2_S2_S2_S2_S2_21rocsparse_index_base_PKT0_PKT1_PKS2_S3_PS4_PS7_PS2_SD_SE_SC_
    .private_segment_fixed_size: 0
    .sgpr_count:     58
    .sgpr_spill_count: 0
    .symbol:         _ZN9rocsparseL21csr2bsr_65_inf_kernelILj32EillEEv20rocsparse_direction_T2_S2_S2_S2_S2_S2_21rocsparse_index_base_PKT0_PKT1_PKS2_S3_PS4_PS7_PS2_SD_SE_SC_.kd
    .uniform_work_group_size: 1
    .uses_dynamic_stack: false
    .vgpr_count:     46
    .vgpr_spill_count: 0
    .wavefront_size: 64
  - .agpr_count:     0
    .args:
      - .offset:         0
        .size:           4
        .value_kind:     by_value
      - .offset:         4
        .size:           4
        .value_kind:     by_value
      - .offset:         8
        .size:           4
        .value_kind:     by_value
      - .offset:         12
        .size:           4
        .value_kind:     by_value
      - .offset:         16
        .size:           4
        .value_kind:     by_value
      - .address_space:  global
        .offset:         24
        .size:           8
        .value_kind:     global_buffer
      - .address_space:  global
        .offset:         32
        .size:           8
        .value_kind:     global_buffer
      - .address_space:  global
        .offset:         40
        .size:           8
        .value_kind:     global_buffer
      - .offset:         48
        .size:           4
        .value_kind:     by_value
      - .address_space:  global
        .offset:         56
        .size:           8
        .value_kind:     global_buffer
      - .address_space:  global
        .offset:         64
        .size:           8
        .value_kind:     global_buffer
      - .address_space:  global
        .offset:         72
        .size:           8
        .value_kind:     global_buffer
      - .offset:         80
        .size:           4
        .value_kind:     hidden_block_count_x
      - .offset:         84
        .size:           4
        .value_kind:     hidden_block_count_y
      - .offset:         88
        .size:           4
        .value_kind:     hidden_block_count_z
      - .offset:         92
        .size:           2
        .value_kind:     hidden_group_size_x
      - .offset:         94
        .size:           2
        .value_kind:     hidden_group_size_y
      - .offset:         96
        .size:           2
        .value_kind:     hidden_group_size_z
      - .offset:         98
        .size:           2
        .value_kind:     hidden_remainder_x
      - .offset:         100
        .size:           2
        .value_kind:     hidden_remainder_y
      - .offset:         102
        .size:           2
        .value_kind:     hidden_remainder_z
      - .offset:         120
        .size:           8
        .value_kind:     hidden_global_offset_x
      - .offset:         128
        .size:           8
        .value_kind:     hidden_global_offset_y
      - .offset:         136
        .size:           8
        .value_kind:     hidden_global_offset_z
      - .offset:         144
        .size:           2
        .value_kind:     hidden_grid_dims
    .group_segment_fixed_size: 0
    .kernarg_segment_align: 8
    .kernarg_segment_size: 336
    .language:       OpenCL C
    .language_version:
      - 2
      - 0
    .max_flat_workgroup_size: 256
    .name:           _ZN9rocsparseL35csr2bsr_block_dim_equals_one_kernelILj256EfiiEEvT2_S1_S1_S1_21rocsparse_index_base_PKT0_PKT1_PKS1_S2_PS3_PS6_PS1_
    .private_segment_fixed_size: 0
    .sgpr_count:     20
    .sgpr_spill_count: 0
    .symbol:         _ZN9rocsparseL35csr2bsr_block_dim_equals_one_kernelILj256EfiiEEvT2_S1_S1_S1_21rocsparse_index_base_PKT0_PKT1_PKS1_S2_PS3_PS6_PS1_.kd
    .uniform_work_group_size: 1
    .uses_dynamic_stack: false
    .vgpr_count:     7
    .vgpr_spill_count: 0
    .wavefront_size: 64
  - .agpr_count:     0
    .args:
      - .offset:         0
        .size:           4
        .value_kind:     by_value
      - .offset:         4
        .size:           4
        .value_kind:     by_value
      - .offset:         8
        .size:           4
        .value_kind:     by_value
      - .offset:         12
        .size:           4
        .value_kind:     by_value
      - .offset:         16
        .size:           4
        .value_kind:     by_value
      - .offset:         20
        .size:           4
        .value_kind:     by_value
      - .offset:         24
        .size:           4
        .value_kind:     by_value
      - .actual_access:  read_only
        .address_space:  global
        .offset:         32
        .size:           8
        .value_kind:     global_buffer
      - .actual_access:  read_only
        .address_space:  global
        .offset:         40
        .size:           8
        .value_kind:     global_buffer
      - .actual_access:  read_only
        .address_space:  global
        .offset:         48
        .size:           8
        .value_kind:     global_buffer
      - .offset:         56
        .size:           4
        .value_kind:     by_value
      - .actual_access:  write_only
        .address_space:  global
        .offset:         64
        .size:           8
        .value_kind:     global_buffer
      - .actual_access:  read_only
        .address_space:  global
        .offset:         72
        .size:           8
        .value_kind:     global_buffer
      - .actual_access:  write_only
        .address_space:  global
        .offset:         80
        .size:           8
        .value_kind:     global_buffer
    .group_segment_fixed_size: 1040
    .kernarg_segment_align: 8
    .kernarg_segment_size: 88
    .language:       OpenCL C
    .language_version:
      - 2
      - 0
    .max_flat_workgroup_size: 256
    .name:           _ZN9rocsparseL42csr2bsr_wavefront_per_row_multipass_kernelILj256ELj16ELj4EfiiEEv20rocsparse_direction_T4_S2_S2_S2_S2_21rocsparse_index_base_PKT2_PKT3_PKS2_S3_PS4_PS7_PS2_
    .private_segment_fixed_size: 0
    .sgpr_count:     32
    .sgpr_spill_count: 0
    .symbol:         _ZN9rocsparseL42csr2bsr_wavefront_per_row_multipass_kernelILj256ELj16ELj4EfiiEEv20rocsparse_direction_T4_S2_S2_S2_S2_21rocsparse_index_base_PKT2_PKT3_PKS2_S3_PS4_PS7_PS2_.kd
    .uniform_work_group_size: 1
    .uses_dynamic_stack: false
    .vgpr_count:     26
    .vgpr_spill_count: 0
    .wavefront_size: 64
  - .agpr_count:     0
    .args:
      - .offset:         0
        .size:           4
        .value_kind:     by_value
      - .offset:         4
        .size:           4
        .value_kind:     by_value
      - .offset:         8
        .size:           4
        .value_kind:     by_value
      - .offset:         12
        .size:           4
        .value_kind:     by_value
      - .offset:         16
        .size:           4
        .value_kind:     by_value
      - .offset:         20
        .size:           4
        .value_kind:     by_value
      - .offset:         24
        .size:           4
        .value_kind:     by_value
      - .actual_access:  read_only
        .address_space:  global
        .offset:         32
        .size:           8
        .value_kind:     global_buffer
      - .actual_access:  read_only
        .address_space:  global
        .offset:         40
        .size:           8
        .value_kind:     global_buffer
      - .actual_access:  read_only
        .address_space:  global
        .offset:         48
        .size:           8
        .value_kind:     global_buffer
      - .offset:         56
        .size:           4
        .value_kind:     by_value
      - .actual_access:  write_only
        .address_space:  global
        .offset:         64
        .size:           8
        .value_kind:     global_buffer
      - .actual_access:  read_only
        .address_space:  global
        .offset:         72
        .size:           8
        .value_kind:     global_buffer
      - .actual_access:  write_only
        .address_space:  global
        .offset:         80
        .size:           8
        .value_kind:     global_buffer
    .group_segment_fixed_size: 1028
    .kernarg_segment_align: 8
    .kernarg_segment_size: 88
    .language:       OpenCL C
    .language_version:
      - 2
      - 0
    .max_flat_workgroup_size: 256
    .name:           _ZN9rocsparseL42csr2bsr_wavefront_per_row_multipass_kernelILj256ELj64ELj8EfiiEEv20rocsparse_direction_T4_S2_S2_S2_S2_21rocsparse_index_base_PKT2_PKT3_PKS2_S3_PS4_PS7_PS2_
    .private_segment_fixed_size: 0
    .sgpr_count:     32
    .sgpr_spill_count: 0
    .symbol:         _ZN9rocsparseL42csr2bsr_wavefront_per_row_multipass_kernelILj256ELj64ELj8EfiiEEv20rocsparse_direction_T4_S2_S2_S2_S2_21rocsparse_index_base_PKT2_PKT3_PKS2_S3_PS4_PS7_PS2_.kd
    .uniform_work_group_size: 1
    .uses_dynamic_stack: false
    .vgpr_count:     26
    .vgpr_spill_count: 0
    .wavefront_size: 64
  - .agpr_count:     0
    .args:
      - .offset:         0
        .size:           4
        .value_kind:     by_value
      - .offset:         4
        .size:           4
        .value_kind:     by_value
      - .offset:         8
        .size:           4
        .value_kind:     by_value
      - .offset:         12
        .size:           4
        .value_kind:     by_value
      - .offset:         16
        .size:           4
        .value_kind:     by_value
      - .offset:         20
        .size:           4
        .value_kind:     by_value
      - .offset:         24
        .size:           4
        .value_kind:     by_value
      - .actual_access:  read_only
        .address_space:  global
        .offset:         32
        .size:           8
        .value_kind:     global_buffer
      - .actual_access:  read_only
        .address_space:  global
        .offset:         40
        .size:           8
        .value_kind:     global_buffer
      - .actual_access:  read_only
        .address_space:  global
        .offset:         48
        .size:           8
        .value_kind:     global_buffer
      - .offset:         56
        .size:           4
        .value_kind:     by_value
      - .actual_access:  write_only
        .address_space:  global
        .offset:         64
        .size:           8
        .value_kind:     global_buffer
      - .actual_access:  read_only
        .address_space:  global
        .offset:         72
        .size:           8
        .value_kind:     global_buffer
      - .actual_access:  write_only
        .address_space:  global
        .offset:         80
        .size:           8
        .value_kind:     global_buffer
    .group_segment_fixed_size: 2056
    .kernarg_segment_align: 8
    .kernarg_segment_size: 88
    .language:       OpenCL C
    .language_version:
      - 2
      - 0
    .max_flat_workgroup_size: 256
    .name:           _ZN9rocsparseL42csr2bsr_wavefront_per_row_multipass_kernelILj256ELj32ELj8EfiiEEv20rocsparse_direction_T4_S2_S2_S2_S2_21rocsparse_index_base_PKT2_PKT3_PKS2_S3_PS4_PS7_PS2_
    .private_segment_fixed_size: 0
    .sgpr_count:     38
    .sgpr_spill_count: 0
    .symbol:         _ZN9rocsparseL42csr2bsr_wavefront_per_row_multipass_kernelILj256ELj32ELj8EfiiEEv20rocsparse_direction_T4_S2_S2_S2_S2_21rocsparse_index_base_PKT2_PKT3_PKS2_S3_PS4_PS7_PS2_.kd
    .uniform_work_group_size: 1
    .uses_dynamic_stack: false
    .vgpr_count:     33
    .vgpr_spill_count: 0
    .wavefront_size: 64
  - .agpr_count:     0
    .args:
      - .offset:         0
        .size:           4
        .value_kind:     by_value
      - .offset:         4
        .size:           4
        .value_kind:     by_value
      - .offset:         8
        .size:           4
        .value_kind:     by_value
      - .offset:         12
        .size:           4
        .value_kind:     by_value
      - .offset:         16
        .size:           4
        .value_kind:     by_value
      - .offset:         20
        .size:           4
        .value_kind:     by_value
      - .offset:         24
        .size:           4
        .value_kind:     by_value
      - .actual_access:  read_only
        .address_space:  global
        .offset:         32
        .size:           8
        .value_kind:     global_buffer
      - .actual_access:  read_only
        .address_space:  global
        .offset:         40
        .size:           8
        .value_kind:     global_buffer
      - .actual_access:  read_only
        .address_space:  global
        .offset:         48
        .size:           8
        .value_kind:     global_buffer
      - .offset:         56
        .size:           4
        .value_kind:     by_value
      - .actual_access:  write_only
        .address_space:  global
        .offset:         64
        .size:           8
        .value_kind:     global_buffer
      - .actual_access:  read_only
        .address_space:  global
        .offset:         72
        .size:           8
        .value_kind:     global_buffer
      - .actual_access:  write_only
        .address_space:  global
        .offset:         80
        .size:           8
        .value_kind:     global_buffer
    .group_segment_fixed_size: 4100
    .kernarg_segment_align: 8
    .kernarg_segment_size: 88
    .language:       OpenCL C
    .language_version:
      - 2
      - 0
    .max_flat_workgroup_size: 256
    .name:           _ZN9rocsparseL42csr2bsr_wavefront_per_row_multipass_kernelILj256ELj64ELj16EfiiEEv20rocsparse_direction_T4_S2_S2_S2_S2_21rocsparse_index_base_PKT2_PKT3_PKS2_S3_PS4_PS7_PS2_
    .private_segment_fixed_size: 0
    .sgpr_count:     41
    .sgpr_spill_count: 0
    .symbol:         _ZN9rocsparseL42csr2bsr_wavefront_per_row_multipass_kernelILj256ELj64ELj16EfiiEEv20rocsparse_direction_T4_S2_S2_S2_S2_21rocsparse_index_base_PKT2_PKT3_PKS2_S3_PS4_PS7_PS2_.kd
    .uniform_work_group_size: 1
    .uses_dynamic_stack: false
    .vgpr_count:     36
    .vgpr_spill_count: 0
    .wavefront_size: 64
  - .agpr_count:     0
    .args:
      - .offset:         0
        .size:           4
        .value_kind:     by_value
      - .offset:         4
        .size:           4
        .value_kind:     by_value
      - .offset:         8
        .size:           4
        .value_kind:     by_value
      - .offset:         12
        .size:           4
        .value_kind:     by_value
      - .offset:         16
        .size:           4
        .value_kind:     by_value
      - .offset:         20
        .size:           4
        .value_kind:     by_value
      - .offset:         24
        .size:           4
        .value_kind:     by_value
      - .actual_access:  read_only
        .address_space:  global
        .offset:         32
        .size:           8
        .value_kind:     global_buffer
      - .actual_access:  read_only
        .address_space:  global
        .offset:         40
        .size:           8
        .value_kind:     global_buffer
      - .actual_access:  read_only
        .address_space:  global
        .offset:         48
        .size:           8
        .value_kind:     global_buffer
      - .offset:         56
        .size:           4
        .value_kind:     by_value
      - .actual_access:  write_only
        .address_space:  global
        .offset:         64
        .size:           8
        .value_kind:     global_buffer
      - .actual_access:  read_only
        .address_space:  global
        .offset:         72
        .size:           8
        .value_kind:     global_buffer
      - .actual_access:  write_only
        .address_space:  global
        .offset:         80
        .size:           8
        .value_kind:     global_buffer
    .group_segment_fixed_size: 8200
    .kernarg_segment_align: 8
    .kernarg_segment_size: 88
    .language:       OpenCL C
    .language_version:
      - 2
      - 0
    .max_flat_workgroup_size: 256
    .name:           _ZN9rocsparseL42csr2bsr_wavefront_per_row_multipass_kernelILj256ELj32ELj16EfiiEEv20rocsparse_direction_T4_S2_S2_S2_S2_21rocsparse_index_base_PKT2_PKT3_PKS2_S3_PS4_PS7_PS2_
    .private_segment_fixed_size: 0
    .sgpr_count:     49
    .sgpr_spill_count: 0
    .symbol:         _ZN9rocsparseL42csr2bsr_wavefront_per_row_multipass_kernelILj256ELj32ELj16EfiiEEv20rocsparse_direction_T4_S2_S2_S2_S2_21rocsparse_index_base_PKT2_PKT3_PKS2_S3_PS4_PS7_PS2_.kd
    .uniform_work_group_size: 1
    .uses_dynamic_stack: false
    .vgpr_count:     44
    .vgpr_spill_count: 0
    .wavefront_size: 64
  - .agpr_count:     0
    .args:
      - .offset:         0
        .size:           4
        .value_kind:     by_value
      - .offset:         4
        .size:           4
        .value_kind:     by_value
      - .offset:         8
        .size:           4
        .value_kind:     by_value
      - .offset:         12
        .size:           4
        .value_kind:     by_value
      - .offset:         16
        .size:           4
        .value_kind:     by_value
      - .offset:         20
        .size:           4
        .value_kind:     by_value
      - .offset:         24
        .size:           4
        .value_kind:     by_value
      - .actual_access:  read_only
        .address_space:  global
        .offset:         32
        .size:           8
        .value_kind:     global_buffer
      - .actual_access:  read_only
        .address_space:  global
        .offset:         40
        .size:           8
        .value_kind:     global_buffer
      - .actual_access:  read_only
        .address_space:  global
        .offset:         48
        .size:           8
        .value_kind:     global_buffer
      - .offset:         56
        .size:           4
        .value_kind:     by_value
      - .actual_access:  write_only
        .address_space:  global
        .offset:         64
        .size:           8
        .value_kind:     global_buffer
      - .actual_access:  read_only
        .address_space:  global
        .offset:         72
        .size:           8
        .value_kind:     global_buffer
      - .actual_access:  write_only
        .address_space:  global
        .offset:         80
        .size:           8
        .value_kind:     global_buffer
    .group_segment_fixed_size: 4100
    .kernarg_segment_align: 8
    .kernarg_segment_size: 88
    .language:       OpenCL C
    .language_version:
      - 2
      - 0
    .max_flat_workgroup_size: 256
    .name:           _ZN9rocsparseL38csr2bsr_block_per_row_multipass_kernelILj256ELj32EfiiEEv20rocsparse_direction_T3_S2_S2_S2_S2_21rocsparse_index_base_PKT1_PKT2_PKS2_S3_PS4_PS7_PS2_
    .private_segment_fixed_size: 0
    .sgpr_count:     60
    .sgpr_spill_count: 0
    .symbol:         _ZN9rocsparseL38csr2bsr_block_per_row_multipass_kernelILj256ELj32EfiiEEv20rocsparse_direction_T3_S2_S2_S2_S2_21rocsparse_index_base_PKT1_PKT2_PKS2_S3_PS4_PS7_PS2_.kd
    .uniform_work_group_size: 1
    .uses_dynamic_stack: false
    .vgpr_count:     33
    .vgpr_spill_count: 0
    .wavefront_size: 64
  - .agpr_count:     0
    .args:
      - .offset:         0
        .size:           4
        .value_kind:     by_value
      - .offset:         4
        .size:           4
        .value_kind:     by_value
      - .offset:         8
        .size:           4
        .value_kind:     by_value
      - .offset:         12
        .size:           4
        .value_kind:     by_value
      - .offset:         16
        .size:           4
        .value_kind:     by_value
      - .offset:         20
        .size:           4
        .value_kind:     by_value
      - .offset:         24
        .size:           4
        .value_kind:     by_value
      - .actual_access:  read_only
        .address_space:  global
        .offset:         32
        .size:           8
        .value_kind:     global_buffer
      - .actual_access:  read_only
        .address_space:  global
        .offset:         40
        .size:           8
        .value_kind:     global_buffer
      - .actual_access:  read_only
        .address_space:  global
        .offset:         48
        .size:           8
        .value_kind:     global_buffer
      - .offset:         56
        .size:           4
        .value_kind:     by_value
      - .actual_access:  write_only
        .address_space:  global
        .offset:         64
        .size:           8
        .value_kind:     global_buffer
      - .actual_access:  read_only
        .address_space:  global
        .offset:         72
        .size:           8
        .value_kind:     global_buffer
      - .actual_access:  write_only
        .address_space:  global
        .offset:         80
        .size:           8
        .value_kind:     global_buffer
    .group_segment_fixed_size: 16388
    .kernarg_segment_align: 8
    .kernarg_segment_size: 88
    .language:       OpenCL C
    .language_version:
      - 2
      - 0
    .max_flat_workgroup_size: 256
    .name:           _ZN9rocsparseL38csr2bsr_block_per_row_multipass_kernelILj256ELj64EfiiEEv20rocsparse_direction_T3_S2_S2_S2_S2_21rocsparse_index_base_PKT1_PKT2_PKS2_S3_PS4_PS7_PS2_
    .private_segment_fixed_size: 0
    .sgpr_count:     104
    .sgpr_spill_count: 0
    .symbol:         _ZN9rocsparseL38csr2bsr_block_per_row_multipass_kernelILj256ELj64EfiiEEv20rocsparse_direction_T3_S2_S2_S2_S2_21rocsparse_index_base_PKT1_PKT2_PKS2_S3_PS4_PS7_PS2_.kd
    .uniform_work_group_size: 1
    .uses_dynamic_stack: false
    .vgpr_count:     57
    .vgpr_spill_count: 0
    .wavefront_size: 64
  - .agpr_count:     0
    .args:
      - .offset:         0
        .size:           4
        .value_kind:     by_value
      - .offset:         4
        .size:           4
        .value_kind:     by_value
      - .offset:         8
        .size:           4
        .value_kind:     by_value
      - .offset:         12
        .size:           4
        .value_kind:     by_value
      - .offset:         16
        .size:           4
        .value_kind:     by_value
      - .offset:         20
        .size:           4
        .value_kind:     by_value
      - .offset:         24
        .size:           4
        .value_kind:     by_value
      - .offset:         28
        .size:           4
        .value_kind:     by_value
      - .actual_access:  read_only
        .address_space:  global
        .offset:         32
        .size:           8
        .value_kind:     global_buffer
      - .actual_access:  read_only
        .address_space:  global
        .offset:         40
        .size:           8
        .value_kind:     global_buffer
      - .actual_access:  read_only
        .address_space:  global
        .offset:         48
        .size:           8
        .value_kind:     global_buffer
      - .offset:         56
        .size:           4
        .value_kind:     by_value
      - .actual_access:  write_only
        .address_space:  global
        .offset:         64
        .size:           8
        .value_kind:     global_buffer
      - .actual_access:  read_only
        .address_space:  global
        .offset:         72
        .size:           8
        .value_kind:     global_buffer
      - .actual_access:  write_only
        .address_space:  global
        .offset:         80
        .size:           8
        .value_kind:     global_buffer
      - .address_space:  global
        .offset:         88
        .size:           8
        .value_kind:     global_buffer
      - .address_space:  global
        .offset:         96
        .size:           8
        .value_kind:     global_buffer
      - .address_space:  global
        .offset:         104
        .size:           8
        .value_kind:     global_buffer
    .group_segment_fixed_size: 0
    .kernarg_segment_align: 8
    .kernarg_segment_size: 112
    .language:       OpenCL C
    .language_version:
      - 2
      - 0
    .max_flat_workgroup_size: 32
    .name:           _ZN9rocsparseL21csr2bsr_65_inf_kernelILj32EfiiEEv20rocsparse_direction_T2_S2_S2_S2_S2_S2_21rocsparse_index_base_PKT0_PKT1_PKS2_S3_PS4_PS7_PS2_SD_SE_SC_
    .private_segment_fixed_size: 0
    .sgpr_count:     52
    .sgpr_spill_count: 0
    .symbol:         _ZN9rocsparseL21csr2bsr_65_inf_kernelILj32EfiiEEv20rocsparse_direction_T2_S2_S2_S2_S2_S2_21rocsparse_index_base_PKT0_PKT1_PKS2_S3_PS4_PS7_PS2_SD_SE_SC_.kd
    .uniform_work_group_size: 1
    .uses_dynamic_stack: false
    .vgpr_count:     34
    .vgpr_spill_count: 0
    .wavefront_size: 64
  - .agpr_count:     0
    .args:
      - .offset:         0
        .size:           4
        .value_kind:     by_value
      - .offset:         4
        .size:           4
        .value_kind:     by_value
      - .offset:         8
        .size:           4
        .value_kind:     by_value
      - .offset:         12
        .size:           4
        .value_kind:     by_value
      - .offset:         16
        .size:           4
        .value_kind:     by_value
      - .address_space:  global
        .offset:         24
        .size:           8
        .value_kind:     global_buffer
      - .address_space:  global
        .offset:         32
        .size:           8
        .value_kind:     global_buffer
      - .address_space:  global
        .offset:         40
        .size:           8
        .value_kind:     global_buffer
      - .offset:         48
        .size:           4
        .value_kind:     by_value
      - .address_space:  global
        .offset:         56
        .size:           8
        .value_kind:     global_buffer
      - .address_space:  global
        .offset:         64
        .size:           8
        .value_kind:     global_buffer
      - .address_space:  global
        .offset:         72
        .size:           8
        .value_kind:     global_buffer
      - .offset:         80
        .size:           4
        .value_kind:     hidden_block_count_x
      - .offset:         84
        .size:           4
        .value_kind:     hidden_block_count_y
      - .offset:         88
        .size:           4
        .value_kind:     hidden_block_count_z
      - .offset:         92
        .size:           2
        .value_kind:     hidden_group_size_x
      - .offset:         94
        .size:           2
        .value_kind:     hidden_group_size_y
      - .offset:         96
        .size:           2
        .value_kind:     hidden_group_size_z
      - .offset:         98
        .size:           2
        .value_kind:     hidden_remainder_x
      - .offset:         100
        .size:           2
        .value_kind:     hidden_remainder_y
      - .offset:         102
        .size:           2
        .value_kind:     hidden_remainder_z
      - .offset:         120
        .size:           8
        .value_kind:     hidden_global_offset_x
      - .offset:         128
        .size:           8
        .value_kind:     hidden_global_offset_y
      - .offset:         136
        .size:           8
        .value_kind:     hidden_global_offset_z
      - .offset:         144
        .size:           2
        .value_kind:     hidden_grid_dims
    .group_segment_fixed_size: 0
    .kernarg_segment_align: 8
    .kernarg_segment_size: 336
    .language:       OpenCL C
    .language_version:
      - 2
      - 0
    .max_flat_workgroup_size: 256
    .name:           _ZN9rocsparseL35csr2bsr_block_dim_equals_one_kernelILj256EfliEEvT2_S1_S1_S1_21rocsparse_index_base_PKT0_PKT1_PKS1_S2_PS3_PS6_PS1_
    .private_segment_fixed_size: 0
    .sgpr_count:     23
    .sgpr_spill_count: 0
    .symbol:         _ZN9rocsparseL35csr2bsr_block_dim_equals_one_kernelILj256EfliEEvT2_S1_S1_S1_21rocsparse_index_base_PKT0_PKT1_PKS1_S2_PS3_PS6_PS1_.kd
    .uniform_work_group_size: 1
    .uses_dynamic_stack: false
    .vgpr_count:     10
    .vgpr_spill_count: 0
    .wavefront_size: 64
  - .agpr_count:     0
    .args:
      - .offset:         0
        .size:           4
        .value_kind:     by_value
      - .offset:         4
        .size:           4
        .value_kind:     by_value
      - .offset:         8
        .size:           4
        .value_kind:     by_value
      - .offset:         12
        .size:           4
        .value_kind:     by_value
      - .offset:         16
        .size:           4
        .value_kind:     by_value
      - .offset:         20
        .size:           4
        .value_kind:     by_value
      - .offset:         24
        .size:           4
        .value_kind:     by_value
      - .actual_access:  read_only
        .address_space:  global
        .offset:         32
        .size:           8
        .value_kind:     global_buffer
      - .actual_access:  read_only
        .address_space:  global
        .offset:         40
        .size:           8
        .value_kind:     global_buffer
      - .actual_access:  read_only
        .address_space:  global
        .offset:         48
        .size:           8
        .value_kind:     global_buffer
      - .offset:         56
        .size:           4
        .value_kind:     by_value
      - .actual_access:  write_only
        .address_space:  global
        .offset:         64
        .size:           8
        .value_kind:     global_buffer
      - .actual_access:  read_only
        .address_space:  global
        .offset:         72
        .size:           8
        .value_kind:     global_buffer
      - .actual_access:  write_only
        .address_space:  global
        .offset:         80
        .size:           8
        .value_kind:     global_buffer
    .group_segment_fixed_size: 1040
    .kernarg_segment_align: 8
    .kernarg_segment_size: 88
    .language:       OpenCL C
    .language_version:
      - 2
      - 0
    .max_flat_workgroup_size: 256
    .name:           _ZN9rocsparseL42csr2bsr_wavefront_per_row_multipass_kernelILj256ELj16ELj4EfliEEv20rocsparse_direction_T4_S2_S2_S2_S2_21rocsparse_index_base_PKT2_PKT3_PKS2_S3_PS4_PS7_PS2_
    .private_segment_fixed_size: 0
    .sgpr_count:     32
    .sgpr_spill_count: 0
    .symbol:         _ZN9rocsparseL42csr2bsr_wavefront_per_row_multipass_kernelILj256ELj16ELj4EfliEEv20rocsparse_direction_T4_S2_S2_S2_S2_21rocsparse_index_base_PKT2_PKT3_PKS2_S3_PS4_PS7_PS2_.kd
    .uniform_work_group_size: 1
    .uses_dynamic_stack: false
    .vgpr_count:     32
    .vgpr_spill_count: 0
    .wavefront_size: 64
  - .agpr_count:     0
    .args:
      - .offset:         0
        .size:           4
        .value_kind:     by_value
      - .offset:         4
        .size:           4
        .value_kind:     by_value
      - .offset:         8
        .size:           4
        .value_kind:     by_value
      - .offset:         12
        .size:           4
        .value_kind:     by_value
      - .offset:         16
        .size:           4
        .value_kind:     by_value
      - .offset:         20
        .size:           4
        .value_kind:     by_value
      - .offset:         24
        .size:           4
        .value_kind:     by_value
      - .actual_access:  read_only
        .address_space:  global
        .offset:         32
        .size:           8
        .value_kind:     global_buffer
      - .actual_access:  read_only
        .address_space:  global
        .offset:         40
        .size:           8
        .value_kind:     global_buffer
      - .actual_access:  read_only
        .address_space:  global
        .offset:         48
        .size:           8
        .value_kind:     global_buffer
      - .offset:         56
        .size:           4
        .value_kind:     by_value
      - .actual_access:  write_only
        .address_space:  global
        .offset:         64
        .size:           8
        .value_kind:     global_buffer
      - .actual_access:  read_only
        .address_space:  global
        .offset:         72
        .size:           8
        .value_kind:     global_buffer
      - .actual_access:  write_only
        .address_space:  global
        .offset:         80
        .size:           8
        .value_kind:     global_buffer
    .group_segment_fixed_size: 1028
    .kernarg_segment_align: 8
    .kernarg_segment_size: 88
    .language:       OpenCL C
    .language_version:
      - 2
      - 0
    .max_flat_workgroup_size: 256
    .name:           _ZN9rocsparseL42csr2bsr_wavefront_per_row_multipass_kernelILj256ELj64ELj8EfliEEv20rocsparse_direction_T4_S2_S2_S2_S2_21rocsparse_index_base_PKT2_PKT3_PKS2_S3_PS4_PS7_PS2_
    .private_segment_fixed_size: 0
    .sgpr_count:     32
    .sgpr_spill_count: 0
    .symbol:         _ZN9rocsparseL42csr2bsr_wavefront_per_row_multipass_kernelILj256ELj64ELj8EfliEEv20rocsparse_direction_T4_S2_S2_S2_S2_21rocsparse_index_base_PKT2_PKT3_PKS2_S3_PS4_PS7_PS2_.kd
    .uniform_work_group_size: 1
    .uses_dynamic_stack: false
    .vgpr_count:     32
    .vgpr_spill_count: 0
    .wavefront_size: 64
  - .agpr_count:     0
    .args:
      - .offset:         0
        .size:           4
        .value_kind:     by_value
      - .offset:         4
        .size:           4
        .value_kind:     by_value
      - .offset:         8
        .size:           4
        .value_kind:     by_value
      - .offset:         12
        .size:           4
        .value_kind:     by_value
      - .offset:         16
        .size:           4
        .value_kind:     by_value
      - .offset:         20
        .size:           4
        .value_kind:     by_value
      - .offset:         24
        .size:           4
        .value_kind:     by_value
      - .actual_access:  read_only
        .address_space:  global
        .offset:         32
        .size:           8
        .value_kind:     global_buffer
      - .actual_access:  read_only
        .address_space:  global
        .offset:         40
        .size:           8
        .value_kind:     global_buffer
      - .actual_access:  read_only
        .address_space:  global
        .offset:         48
        .size:           8
        .value_kind:     global_buffer
      - .offset:         56
        .size:           4
        .value_kind:     by_value
      - .actual_access:  write_only
        .address_space:  global
        .offset:         64
        .size:           8
        .value_kind:     global_buffer
      - .actual_access:  read_only
        .address_space:  global
        .offset:         72
        .size:           8
        .value_kind:     global_buffer
      - .actual_access:  write_only
        .address_space:  global
        .offset:         80
        .size:           8
        .value_kind:     global_buffer
    .group_segment_fixed_size: 2056
    .kernarg_segment_align: 8
    .kernarg_segment_size: 88
    .language:       OpenCL C
    .language_version:
      - 2
      - 0
    .max_flat_workgroup_size: 256
    .name:           _ZN9rocsparseL42csr2bsr_wavefront_per_row_multipass_kernelILj256ELj32ELj8EfliEEv20rocsparse_direction_T4_S2_S2_S2_S2_21rocsparse_index_base_PKT2_PKT3_PKS2_S3_PS4_PS7_PS2_
    .private_segment_fixed_size: 0
    .sgpr_count:     36
    .sgpr_spill_count: 0
    .symbol:         _ZN9rocsparseL42csr2bsr_wavefront_per_row_multipass_kernelILj256ELj32ELj8EfliEEv20rocsparse_direction_T4_S2_S2_S2_S2_21rocsparse_index_base_PKT2_PKT3_PKS2_S3_PS4_PS7_PS2_.kd
    .uniform_work_group_size: 1
    .uses_dynamic_stack: false
    .vgpr_count:     39
    .vgpr_spill_count: 0
    .wavefront_size: 64
  - .agpr_count:     0
    .args:
      - .offset:         0
        .size:           4
        .value_kind:     by_value
      - .offset:         4
        .size:           4
        .value_kind:     by_value
      - .offset:         8
        .size:           4
        .value_kind:     by_value
      - .offset:         12
        .size:           4
        .value_kind:     by_value
      - .offset:         16
        .size:           4
        .value_kind:     by_value
      - .offset:         20
        .size:           4
        .value_kind:     by_value
      - .offset:         24
        .size:           4
        .value_kind:     by_value
      - .actual_access:  read_only
        .address_space:  global
        .offset:         32
        .size:           8
        .value_kind:     global_buffer
      - .actual_access:  read_only
        .address_space:  global
        .offset:         40
        .size:           8
        .value_kind:     global_buffer
      - .actual_access:  read_only
        .address_space:  global
        .offset:         48
        .size:           8
        .value_kind:     global_buffer
      - .offset:         56
        .size:           4
        .value_kind:     by_value
      - .actual_access:  write_only
        .address_space:  global
        .offset:         64
        .size:           8
        .value_kind:     global_buffer
      - .actual_access:  read_only
        .address_space:  global
        .offset:         72
        .size:           8
        .value_kind:     global_buffer
      - .actual_access:  write_only
        .address_space:  global
        .offset:         80
        .size:           8
        .value_kind:     global_buffer
    .group_segment_fixed_size: 4100
    .kernarg_segment_align: 8
    .kernarg_segment_size: 88
    .language:       OpenCL C
    .language_version:
      - 2
      - 0
    .max_flat_workgroup_size: 256
    .name:           _ZN9rocsparseL42csr2bsr_wavefront_per_row_multipass_kernelILj256ELj64ELj16EfliEEv20rocsparse_direction_T4_S2_S2_S2_S2_21rocsparse_index_base_PKT2_PKT3_PKS2_S3_PS4_PS7_PS2_
    .private_segment_fixed_size: 0
    .sgpr_count:     41
    .sgpr_spill_count: 0
    .symbol:         _ZN9rocsparseL42csr2bsr_wavefront_per_row_multipass_kernelILj256ELj64ELj16EfliEEv20rocsparse_direction_T4_S2_S2_S2_S2_21rocsparse_index_base_PKT2_PKT3_PKS2_S3_PS4_PS7_PS2_.kd
    .uniform_work_group_size: 1
    .uses_dynamic_stack: false
    .vgpr_count:     43
    .vgpr_spill_count: 0
    .wavefront_size: 64
  - .agpr_count:     0
    .args:
      - .offset:         0
        .size:           4
        .value_kind:     by_value
      - .offset:         4
        .size:           4
        .value_kind:     by_value
      - .offset:         8
        .size:           4
        .value_kind:     by_value
      - .offset:         12
        .size:           4
        .value_kind:     by_value
      - .offset:         16
        .size:           4
        .value_kind:     by_value
      - .offset:         20
        .size:           4
        .value_kind:     by_value
      - .offset:         24
        .size:           4
        .value_kind:     by_value
      - .actual_access:  read_only
        .address_space:  global
        .offset:         32
        .size:           8
        .value_kind:     global_buffer
      - .actual_access:  read_only
        .address_space:  global
        .offset:         40
        .size:           8
        .value_kind:     global_buffer
      - .actual_access:  read_only
        .address_space:  global
        .offset:         48
        .size:           8
        .value_kind:     global_buffer
      - .offset:         56
        .size:           4
        .value_kind:     by_value
      - .actual_access:  write_only
        .address_space:  global
        .offset:         64
        .size:           8
        .value_kind:     global_buffer
      - .actual_access:  read_only
        .address_space:  global
        .offset:         72
        .size:           8
        .value_kind:     global_buffer
      - .actual_access:  write_only
        .address_space:  global
        .offset:         80
        .size:           8
        .value_kind:     global_buffer
    .group_segment_fixed_size: 8200
    .kernarg_segment_align: 8
    .kernarg_segment_size: 88
    .language:       OpenCL C
    .language_version:
      - 2
      - 0
    .max_flat_workgroup_size: 256
    .name:           _ZN9rocsparseL42csr2bsr_wavefront_per_row_multipass_kernelILj256ELj32ELj16EfliEEv20rocsparse_direction_T4_S2_S2_S2_S2_21rocsparse_index_base_PKT2_PKT3_PKS2_S3_PS4_PS7_PS2_
    .private_segment_fixed_size: 0
    .sgpr_count:     49
    .sgpr_spill_count: 0
    .symbol:         _ZN9rocsparseL42csr2bsr_wavefront_per_row_multipass_kernelILj256ELj32ELj16EfliEEv20rocsparse_direction_T4_S2_S2_S2_S2_21rocsparse_index_base_PKT2_PKT3_PKS2_S3_PS4_PS7_PS2_.kd
    .uniform_work_group_size: 1
    .uses_dynamic_stack: false
    .vgpr_count:     51
    .vgpr_spill_count: 0
    .wavefront_size: 64
  - .agpr_count:     0
    .args:
      - .offset:         0
        .size:           4
        .value_kind:     by_value
      - .offset:         4
        .size:           4
        .value_kind:     by_value
      - .offset:         8
        .size:           4
        .value_kind:     by_value
      - .offset:         12
        .size:           4
        .value_kind:     by_value
      - .offset:         16
        .size:           4
        .value_kind:     by_value
      - .offset:         20
        .size:           4
        .value_kind:     by_value
      - .offset:         24
        .size:           4
        .value_kind:     by_value
      - .actual_access:  read_only
        .address_space:  global
        .offset:         32
        .size:           8
        .value_kind:     global_buffer
      - .actual_access:  read_only
        .address_space:  global
        .offset:         40
        .size:           8
        .value_kind:     global_buffer
      - .actual_access:  read_only
        .address_space:  global
        .offset:         48
        .size:           8
        .value_kind:     global_buffer
      - .offset:         56
        .size:           4
        .value_kind:     by_value
      - .actual_access:  write_only
        .address_space:  global
        .offset:         64
        .size:           8
        .value_kind:     global_buffer
      - .actual_access:  read_only
        .address_space:  global
        .offset:         72
        .size:           8
        .value_kind:     global_buffer
      - .actual_access:  write_only
        .address_space:  global
        .offset:         80
        .size:           8
        .value_kind:     global_buffer
    .group_segment_fixed_size: 4100
    .kernarg_segment_align: 8
    .kernarg_segment_size: 88
    .language:       OpenCL C
    .language_version:
      - 2
      - 0
    .max_flat_workgroup_size: 256
    .name:           _ZN9rocsparseL38csr2bsr_block_per_row_multipass_kernelILj256ELj32EfliEEv20rocsparse_direction_T3_S2_S2_S2_S2_21rocsparse_index_base_PKT1_PKT2_PKS2_S3_PS4_PS7_PS2_
    .private_segment_fixed_size: 0
    .sgpr_count:     60
    .sgpr_spill_count: 0
    .symbol:         _ZN9rocsparseL38csr2bsr_block_per_row_multipass_kernelILj256ELj32EfliEEv20rocsparse_direction_T3_S2_S2_S2_S2_21rocsparse_index_base_PKT1_PKT2_PKS2_S3_PS4_PS7_PS2_.kd
    .uniform_work_group_size: 1
    .uses_dynamic_stack: false
    .vgpr_count:     39
    .vgpr_spill_count: 0
    .wavefront_size: 64
  - .agpr_count:     0
    .args:
      - .offset:         0
        .size:           4
        .value_kind:     by_value
      - .offset:         4
        .size:           4
        .value_kind:     by_value
      - .offset:         8
        .size:           4
        .value_kind:     by_value
      - .offset:         12
        .size:           4
        .value_kind:     by_value
      - .offset:         16
        .size:           4
        .value_kind:     by_value
      - .offset:         20
        .size:           4
        .value_kind:     by_value
      - .offset:         24
        .size:           4
        .value_kind:     by_value
      - .actual_access:  read_only
        .address_space:  global
        .offset:         32
        .size:           8
        .value_kind:     global_buffer
      - .actual_access:  read_only
        .address_space:  global
        .offset:         40
        .size:           8
        .value_kind:     global_buffer
      - .actual_access:  read_only
        .address_space:  global
        .offset:         48
        .size:           8
        .value_kind:     global_buffer
      - .offset:         56
        .size:           4
        .value_kind:     by_value
      - .actual_access:  write_only
        .address_space:  global
        .offset:         64
        .size:           8
        .value_kind:     global_buffer
      - .actual_access:  read_only
        .address_space:  global
        .offset:         72
        .size:           8
        .value_kind:     global_buffer
      - .actual_access:  write_only
        .address_space:  global
        .offset:         80
        .size:           8
        .value_kind:     global_buffer
    .group_segment_fixed_size: 16388
    .kernarg_segment_align: 8
    .kernarg_segment_size: 88
    .language:       OpenCL C
    .language_version:
      - 2
      - 0
    .max_flat_workgroup_size: 256
    .name:           _ZN9rocsparseL38csr2bsr_block_per_row_multipass_kernelILj256ELj64EfliEEv20rocsparse_direction_T3_S2_S2_S2_S2_21rocsparse_index_base_PKT1_PKT2_PKS2_S3_PS4_PS7_PS2_
    .private_segment_fixed_size: 0
    .sgpr_count:     104
    .sgpr_spill_count: 0
    .symbol:         _ZN9rocsparseL38csr2bsr_block_per_row_multipass_kernelILj256ELj64EfliEEv20rocsparse_direction_T3_S2_S2_S2_S2_21rocsparse_index_base_PKT1_PKT2_PKS2_S3_PS4_PS7_PS2_.kd
    .uniform_work_group_size: 1
    .uses_dynamic_stack: false
    .vgpr_count:     63
    .vgpr_spill_count: 0
    .wavefront_size: 64
  - .agpr_count:     0
    .args:
      - .offset:         0
        .size:           4
        .value_kind:     by_value
      - .offset:         4
        .size:           4
        .value_kind:     by_value
      - .offset:         8
        .size:           4
        .value_kind:     by_value
      - .offset:         12
        .size:           4
        .value_kind:     by_value
      - .offset:         16
        .size:           4
        .value_kind:     by_value
      - .offset:         20
        .size:           4
        .value_kind:     by_value
      - .offset:         24
        .size:           4
        .value_kind:     by_value
      - .offset:         28
        .size:           4
        .value_kind:     by_value
      - .actual_access:  read_only
        .address_space:  global
        .offset:         32
        .size:           8
        .value_kind:     global_buffer
      - .actual_access:  read_only
        .address_space:  global
        .offset:         40
        .size:           8
        .value_kind:     global_buffer
      - .actual_access:  read_only
        .address_space:  global
        .offset:         48
        .size:           8
        .value_kind:     global_buffer
      - .offset:         56
        .size:           4
        .value_kind:     by_value
      - .actual_access:  write_only
        .address_space:  global
        .offset:         64
        .size:           8
        .value_kind:     global_buffer
      - .actual_access:  read_only
        .address_space:  global
        .offset:         72
        .size:           8
        .value_kind:     global_buffer
      - .actual_access:  write_only
        .address_space:  global
        .offset:         80
        .size:           8
        .value_kind:     global_buffer
      - .address_space:  global
        .offset:         88
        .size:           8
        .value_kind:     global_buffer
      - .address_space:  global
        .offset:         96
        .size:           8
        .value_kind:     global_buffer
      - .address_space:  global
        .offset:         104
        .size:           8
        .value_kind:     global_buffer
    .group_segment_fixed_size: 0
    .kernarg_segment_align: 8
    .kernarg_segment_size: 112
    .language:       OpenCL C
    .language_version:
      - 2
      - 0
    .max_flat_workgroup_size: 32
    .name:           _ZN9rocsparseL21csr2bsr_65_inf_kernelILj32EfliEEv20rocsparse_direction_T2_S2_S2_S2_S2_S2_21rocsparse_index_base_PKT0_PKT1_PKS2_S3_PS4_PS7_PS2_SD_SE_SC_
    .private_segment_fixed_size: 0
    .sgpr_count:     52
    .sgpr_spill_count: 0
    .symbol:         _ZN9rocsparseL21csr2bsr_65_inf_kernelILj32EfliEEv20rocsparse_direction_T2_S2_S2_S2_S2_S2_21rocsparse_index_base_PKT0_PKT1_PKS2_S3_PS4_PS7_PS2_SD_SE_SC_.kd
    .uniform_work_group_size: 1
    .uses_dynamic_stack: false
    .vgpr_count:     34
    .vgpr_spill_count: 0
    .wavefront_size: 64
  - .agpr_count:     0
    .args:
      - .offset:         0
        .size:           8
        .value_kind:     by_value
      - .offset:         8
        .size:           8
        .value_kind:     by_value
      - .offset:         16
        .size:           8
        .value_kind:     by_value
      - .offset:         24
        .size:           8
        .value_kind:     by_value
      - .offset:         32
        .size:           4
        .value_kind:     by_value
      - .address_space:  global
        .offset:         40
        .size:           8
        .value_kind:     global_buffer
      - .address_space:  global
        .offset:         48
        .size:           8
        .value_kind:     global_buffer
      - .address_space:  global
        .offset:         56
        .size:           8
        .value_kind:     global_buffer
      - .offset:         64
        .size:           4
        .value_kind:     by_value
      - .address_space:  global
        .offset:         72
        .size:           8
        .value_kind:     global_buffer
      - .address_space:  global
        .offset:         80
        .size:           8
        .value_kind:     global_buffer
      - .address_space:  global
        .offset:         88
        .size:           8
        .value_kind:     global_buffer
      - .offset:         96
        .size:           4
        .value_kind:     hidden_block_count_x
      - .offset:         100
        .size:           4
        .value_kind:     hidden_block_count_y
      - .offset:         104
        .size:           4
        .value_kind:     hidden_block_count_z
      - .offset:         108
        .size:           2
        .value_kind:     hidden_group_size_x
      - .offset:         110
        .size:           2
        .value_kind:     hidden_group_size_y
      - .offset:         112
        .size:           2
        .value_kind:     hidden_group_size_z
      - .offset:         114
        .size:           2
        .value_kind:     hidden_remainder_x
      - .offset:         116
        .size:           2
        .value_kind:     hidden_remainder_y
      - .offset:         118
        .size:           2
        .value_kind:     hidden_remainder_z
      - .offset:         136
        .size:           8
        .value_kind:     hidden_global_offset_x
      - .offset:         144
        .size:           8
        .value_kind:     hidden_global_offset_y
      - .offset:         152
        .size:           8
        .value_kind:     hidden_global_offset_z
      - .offset:         160
        .size:           2
        .value_kind:     hidden_grid_dims
    .group_segment_fixed_size: 0
    .kernarg_segment_align: 8
    .kernarg_segment_size: 352
    .language:       OpenCL C
    .language_version:
      - 2
      - 0
    .max_flat_workgroup_size: 256
    .name:           _ZN9rocsparseL35csr2bsr_block_dim_equals_one_kernelILj256EfilEEvT2_S1_S1_S1_21rocsparse_index_base_PKT0_PKT1_PKS1_S2_PS3_PS6_PS1_
    .private_segment_fixed_size: 0
    .sgpr_count:     20
    .sgpr_spill_count: 0
    .symbol:         _ZN9rocsparseL35csr2bsr_block_dim_equals_one_kernelILj256EfilEEvT2_S1_S1_S1_21rocsparse_index_base_PKT0_PKT1_PKS1_S2_PS3_PS6_PS1_.kd
    .uniform_work_group_size: 1
    .uses_dynamic_stack: false
    .vgpr_count:     10
    .vgpr_spill_count: 0
    .wavefront_size: 64
  - .agpr_count:     0
    .args:
      - .offset:         0
        .size:           4
        .value_kind:     by_value
      - .offset:         8
        .size:           8
        .value_kind:     by_value
      - .offset:         16
        .size:           8
        .value_kind:     by_value
      - .offset:         24
        .size:           8
        .value_kind:     by_value
      - .offset:         32
        .size:           8
        .value_kind:     by_value
      - .offset:         40
        .size:           8
        .value_kind:     by_value
      - .offset:         48
        .size:           4
        .value_kind:     by_value
      - .actual_access:  read_only
        .address_space:  global
        .offset:         56
        .size:           8
        .value_kind:     global_buffer
      - .actual_access:  read_only
        .address_space:  global
        .offset:         64
        .size:           8
        .value_kind:     global_buffer
      - .actual_access:  read_only
        .address_space:  global
        .offset:         72
        .size:           8
        .value_kind:     global_buffer
      - .offset:         80
        .size:           4
        .value_kind:     by_value
      - .actual_access:  write_only
        .address_space:  global
        .offset:         88
        .size:           8
        .value_kind:     global_buffer
      - .actual_access:  read_only
        .address_space:  global
        .offset:         96
        .size:           8
        .value_kind:     global_buffer
      - .actual_access:  write_only
        .address_space:  global
        .offset:         104
        .size:           8
        .value_kind:     global_buffer
    .group_segment_fixed_size: 1040
    .kernarg_segment_align: 8
    .kernarg_segment_size: 112
    .language:       OpenCL C
    .language_version:
      - 2
      - 0
    .max_flat_workgroup_size: 256
    .name:           _ZN9rocsparseL42csr2bsr_wavefront_per_row_multipass_kernelILj256ELj16ELj4EfilEEv20rocsparse_direction_T4_S2_S2_S2_S2_21rocsparse_index_base_PKT2_PKT3_PKS2_S3_PS4_PS7_PS2_
    .private_segment_fixed_size: 0
    .sgpr_count:     37
    .sgpr_spill_count: 0
    .symbol:         _ZN9rocsparseL42csr2bsr_wavefront_per_row_multipass_kernelILj256ELj16ELj4EfilEEv20rocsparse_direction_T4_S2_S2_S2_S2_21rocsparse_index_base_PKT2_PKT3_PKS2_S3_PS4_PS7_PS2_.kd
    .uniform_work_group_size: 1
    .uses_dynamic_stack: false
    .vgpr_count:     33
    .vgpr_spill_count: 0
    .wavefront_size: 64
  - .agpr_count:     0
    .args:
      - .offset:         0
        .size:           4
        .value_kind:     by_value
      - .offset:         8
        .size:           8
        .value_kind:     by_value
      - .offset:         16
        .size:           8
        .value_kind:     by_value
      - .offset:         24
        .size:           8
        .value_kind:     by_value
      - .offset:         32
        .size:           8
        .value_kind:     by_value
      - .offset:         40
        .size:           8
        .value_kind:     by_value
      - .offset:         48
        .size:           4
        .value_kind:     by_value
      - .actual_access:  read_only
        .address_space:  global
        .offset:         56
        .size:           8
        .value_kind:     global_buffer
      - .actual_access:  read_only
        .address_space:  global
        .offset:         64
        .size:           8
        .value_kind:     global_buffer
      - .actual_access:  read_only
        .address_space:  global
        .offset:         72
        .size:           8
        .value_kind:     global_buffer
      - .offset:         80
        .size:           4
        .value_kind:     by_value
      - .actual_access:  write_only
        .address_space:  global
        .offset:         88
        .size:           8
        .value_kind:     global_buffer
      - .actual_access:  read_only
        .address_space:  global
        .offset:         96
        .size:           8
        .value_kind:     global_buffer
      - .actual_access:  write_only
        .address_space:  global
        .offset:         104
        .size:           8
        .value_kind:     global_buffer
    .group_segment_fixed_size: 1028
    .kernarg_segment_align: 8
    .kernarg_segment_size: 112
    .language:       OpenCL C
    .language_version:
      - 2
      - 0
    .max_flat_workgroup_size: 256
    .name:           _ZN9rocsparseL42csr2bsr_wavefront_per_row_multipass_kernelILj256ELj64ELj8EfilEEv20rocsparse_direction_T4_S2_S2_S2_S2_21rocsparse_index_base_PKT2_PKT3_PKS2_S3_PS4_PS7_PS2_
    .private_segment_fixed_size: 0
    .sgpr_count:     37
    .sgpr_spill_count: 0
    .symbol:         _ZN9rocsparseL42csr2bsr_wavefront_per_row_multipass_kernelILj256ELj64ELj8EfilEEv20rocsparse_direction_T4_S2_S2_S2_S2_21rocsparse_index_base_PKT2_PKT3_PKS2_S3_PS4_PS7_PS2_.kd
    .uniform_work_group_size: 1
    .uses_dynamic_stack: false
    .vgpr_count:     33
    .vgpr_spill_count: 0
    .wavefront_size: 64
  - .agpr_count:     0
    .args:
      - .offset:         0
        .size:           4
        .value_kind:     by_value
      - .offset:         8
        .size:           8
        .value_kind:     by_value
      - .offset:         16
        .size:           8
        .value_kind:     by_value
      - .offset:         24
        .size:           8
        .value_kind:     by_value
      - .offset:         32
        .size:           8
        .value_kind:     by_value
      - .offset:         40
        .size:           8
        .value_kind:     by_value
      - .offset:         48
        .size:           4
        .value_kind:     by_value
      - .actual_access:  read_only
        .address_space:  global
        .offset:         56
        .size:           8
        .value_kind:     global_buffer
      - .actual_access:  read_only
        .address_space:  global
        .offset:         64
        .size:           8
        .value_kind:     global_buffer
      - .actual_access:  read_only
        .address_space:  global
        .offset:         72
        .size:           8
        .value_kind:     global_buffer
      - .offset:         80
        .size:           4
        .value_kind:     by_value
      - .actual_access:  write_only
        .address_space:  global
        .offset:         88
        .size:           8
        .value_kind:     global_buffer
      - .actual_access:  read_only
        .address_space:  global
        .offset:         96
        .size:           8
        .value_kind:     global_buffer
      - .actual_access:  write_only
        .address_space:  global
        .offset:         104
        .size:           8
        .value_kind:     global_buffer
    .group_segment_fixed_size: 2056
    .kernarg_segment_align: 8
    .kernarg_segment_size: 112
    .language:       OpenCL C
    .language_version:
      - 2
      - 0
    .max_flat_workgroup_size: 256
    .name:           _ZN9rocsparseL42csr2bsr_wavefront_per_row_multipass_kernelILj256ELj32ELj8EfilEEv20rocsparse_direction_T4_S2_S2_S2_S2_21rocsparse_index_base_PKT2_PKT3_PKS2_S3_PS4_PS7_PS2_
    .private_segment_fixed_size: 0
    .sgpr_count:     42
    .sgpr_spill_count: 0
    .symbol:         _ZN9rocsparseL42csr2bsr_wavefront_per_row_multipass_kernelILj256ELj32ELj8EfilEEv20rocsparse_direction_T4_S2_S2_S2_S2_21rocsparse_index_base_PKT2_PKT3_PKS2_S3_PS4_PS7_PS2_.kd
    .uniform_work_group_size: 1
    .uses_dynamic_stack: false
    .vgpr_count:     39
    .vgpr_spill_count: 0
    .wavefront_size: 64
  - .agpr_count:     0
    .args:
      - .offset:         0
        .size:           4
        .value_kind:     by_value
      - .offset:         8
        .size:           8
        .value_kind:     by_value
      - .offset:         16
        .size:           8
        .value_kind:     by_value
      - .offset:         24
        .size:           8
        .value_kind:     by_value
      - .offset:         32
        .size:           8
        .value_kind:     by_value
      - .offset:         40
        .size:           8
        .value_kind:     by_value
      - .offset:         48
        .size:           4
        .value_kind:     by_value
      - .actual_access:  read_only
        .address_space:  global
        .offset:         56
        .size:           8
        .value_kind:     global_buffer
      - .actual_access:  read_only
        .address_space:  global
        .offset:         64
        .size:           8
        .value_kind:     global_buffer
      - .actual_access:  read_only
        .address_space:  global
        .offset:         72
        .size:           8
        .value_kind:     global_buffer
      - .offset:         80
        .size:           4
        .value_kind:     by_value
      - .actual_access:  write_only
        .address_space:  global
        .offset:         88
        .size:           8
        .value_kind:     global_buffer
      - .actual_access:  read_only
        .address_space:  global
        .offset:         96
        .size:           8
        .value_kind:     global_buffer
      - .actual_access:  write_only
        .address_space:  global
        .offset:         104
        .size:           8
        .value_kind:     global_buffer
    .group_segment_fixed_size: 4100
    .kernarg_segment_align: 8
    .kernarg_segment_size: 112
    .language:       OpenCL C
    .language_version:
      - 2
      - 0
    .max_flat_workgroup_size: 256
    .name:           _ZN9rocsparseL42csr2bsr_wavefront_per_row_multipass_kernelILj256ELj64ELj16EfilEEv20rocsparse_direction_T4_S2_S2_S2_S2_21rocsparse_index_base_PKT2_PKT3_PKS2_S3_PS4_PS7_PS2_
    .private_segment_fixed_size: 0
    .sgpr_count:     46
    .sgpr_spill_count: 0
    .symbol:         _ZN9rocsparseL42csr2bsr_wavefront_per_row_multipass_kernelILj256ELj64ELj16EfilEEv20rocsparse_direction_T4_S2_S2_S2_S2_21rocsparse_index_base_PKT2_PKT3_PKS2_S3_PS4_PS7_PS2_.kd
    .uniform_work_group_size: 1
    .uses_dynamic_stack: false
    .vgpr_count:     43
    .vgpr_spill_count: 0
    .wavefront_size: 64
  - .agpr_count:     0
    .args:
      - .offset:         0
        .size:           4
        .value_kind:     by_value
      - .offset:         8
        .size:           8
        .value_kind:     by_value
      - .offset:         16
        .size:           8
        .value_kind:     by_value
      - .offset:         24
        .size:           8
        .value_kind:     by_value
      - .offset:         32
        .size:           8
        .value_kind:     by_value
      - .offset:         40
        .size:           8
        .value_kind:     by_value
      - .offset:         48
        .size:           4
        .value_kind:     by_value
      - .actual_access:  read_only
        .address_space:  global
        .offset:         56
        .size:           8
        .value_kind:     global_buffer
      - .actual_access:  read_only
        .address_space:  global
        .offset:         64
        .size:           8
        .value_kind:     global_buffer
      - .actual_access:  read_only
        .address_space:  global
        .offset:         72
        .size:           8
        .value_kind:     global_buffer
      - .offset:         80
        .size:           4
        .value_kind:     by_value
      - .actual_access:  write_only
        .address_space:  global
        .offset:         88
        .size:           8
        .value_kind:     global_buffer
      - .actual_access:  read_only
        .address_space:  global
        .offset:         96
        .size:           8
        .value_kind:     global_buffer
      - .actual_access:  write_only
        .address_space:  global
        .offset:         104
        .size:           8
        .value_kind:     global_buffer
    .group_segment_fixed_size: 8200
    .kernarg_segment_align: 8
    .kernarg_segment_size: 112
    .language:       OpenCL C
    .language_version:
      - 2
      - 0
    .max_flat_workgroup_size: 256
    .name:           _ZN9rocsparseL42csr2bsr_wavefront_per_row_multipass_kernelILj256ELj32ELj16EfilEEv20rocsparse_direction_T4_S2_S2_S2_S2_21rocsparse_index_base_PKT2_PKT3_PKS2_S3_PS4_PS7_PS2_
    .private_segment_fixed_size: 0
    .sgpr_count:     54
    .sgpr_spill_count: 0
    .symbol:         _ZN9rocsparseL42csr2bsr_wavefront_per_row_multipass_kernelILj256ELj32ELj16EfilEEv20rocsparse_direction_T4_S2_S2_S2_S2_21rocsparse_index_base_PKT2_PKT3_PKS2_S3_PS4_PS7_PS2_.kd
    .uniform_work_group_size: 1
    .uses_dynamic_stack: false
    .vgpr_count:     51
    .vgpr_spill_count: 0
    .wavefront_size: 64
  - .agpr_count:     0
    .args:
      - .offset:         0
        .size:           4
        .value_kind:     by_value
      - .offset:         8
        .size:           8
        .value_kind:     by_value
      - .offset:         16
        .size:           8
        .value_kind:     by_value
      - .offset:         24
        .size:           8
        .value_kind:     by_value
      - .offset:         32
        .size:           8
        .value_kind:     by_value
      - .offset:         40
        .size:           8
        .value_kind:     by_value
      - .offset:         48
        .size:           4
        .value_kind:     by_value
      - .actual_access:  read_only
        .address_space:  global
        .offset:         56
        .size:           8
        .value_kind:     global_buffer
      - .actual_access:  read_only
        .address_space:  global
        .offset:         64
        .size:           8
        .value_kind:     global_buffer
      - .actual_access:  read_only
        .address_space:  global
        .offset:         72
        .size:           8
        .value_kind:     global_buffer
      - .offset:         80
        .size:           4
        .value_kind:     by_value
      - .actual_access:  write_only
        .address_space:  global
        .offset:         88
        .size:           8
        .value_kind:     global_buffer
      - .actual_access:  read_only
        .address_space:  global
        .offset:         96
        .size:           8
        .value_kind:     global_buffer
      - .actual_access:  write_only
        .address_space:  global
        .offset:         104
        .size:           8
        .value_kind:     global_buffer
    .group_segment_fixed_size: 4100
    .kernarg_segment_align: 8
    .kernarg_segment_size: 112
    .language:       OpenCL C
    .language_version:
      - 2
      - 0
    .max_flat_workgroup_size: 256
    .name:           _ZN9rocsparseL38csr2bsr_block_per_row_multipass_kernelILj256ELj32EfilEEv20rocsparse_direction_T3_S2_S2_S2_S2_21rocsparse_index_base_PKT1_PKT2_PKS2_S3_PS4_PS7_PS2_
    .private_segment_fixed_size: 0
    .sgpr_count:     66
    .sgpr_spill_count: 0
    .symbol:         _ZN9rocsparseL38csr2bsr_block_per_row_multipass_kernelILj256ELj32EfilEEv20rocsparse_direction_T3_S2_S2_S2_S2_21rocsparse_index_base_PKT1_PKT2_PKS2_S3_PS4_PS7_PS2_.kd
    .uniform_work_group_size: 1
    .uses_dynamic_stack: false
    .vgpr_count:     38
    .vgpr_spill_count: 0
    .wavefront_size: 64
  - .agpr_count:     0
    .args:
      - .offset:         0
        .size:           4
        .value_kind:     by_value
      - .offset:         8
        .size:           8
        .value_kind:     by_value
      - .offset:         16
        .size:           8
        .value_kind:     by_value
      - .offset:         24
        .size:           8
        .value_kind:     by_value
      - .offset:         32
        .size:           8
        .value_kind:     by_value
      - .offset:         40
        .size:           8
        .value_kind:     by_value
      - .offset:         48
        .size:           4
        .value_kind:     by_value
      - .actual_access:  read_only
        .address_space:  global
        .offset:         56
        .size:           8
        .value_kind:     global_buffer
      - .actual_access:  read_only
        .address_space:  global
        .offset:         64
        .size:           8
        .value_kind:     global_buffer
      - .actual_access:  read_only
        .address_space:  global
        .offset:         72
        .size:           8
        .value_kind:     global_buffer
      - .offset:         80
        .size:           4
        .value_kind:     by_value
      - .actual_access:  write_only
        .address_space:  global
        .offset:         88
        .size:           8
        .value_kind:     global_buffer
      - .actual_access:  read_only
        .address_space:  global
        .offset:         96
        .size:           8
        .value_kind:     global_buffer
      - .actual_access:  write_only
        .address_space:  global
        .offset:         104
        .size:           8
        .value_kind:     global_buffer
    .group_segment_fixed_size: 16388
    .kernarg_segment_align: 8
    .kernarg_segment_size: 112
    .language:       OpenCL C
    .language_version:
      - 2
      - 0
    .max_flat_workgroup_size: 256
    .name:           _ZN9rocsparseL38csr2bsr_block_per_row_multipass_kernelILj256ELj64EfilEEv20rocsparse_direction_T3_S2_S2_S2_S2_21rocsparse_index_base_PKT1_PKT2_PKS2_S3_PS4_PS7_PS2_
    .private_segment_fixed_size: 0
    .sgpr_count:     106
    .sgpr_spill_count: 0
    .symbol:         _ZN9rocsparseL38csr2bsr_block_per_row_multipass_kernelILj256ELj64EfilEEv20rocsparse_direction_T3_S2_S2_S2_S2_21rocsparse_index_base_PKT1_PKT2_PKS2_S3_PS4_PS7_PS2_.kd
    .uniform_work_group_size: 1
    .uses_dynamic_stack: false
    .vgpr_count:     62
    .vgpr_spill_count: 0
    .wavefront_size: 64
  - .agpr_count:     0
    .args:
      - .offset:         0
        .size:           4
        .value_kind:     by_value
      - .offset:         8
        .size:           8
        .value_kind:     by_value
      - .offset:         16
        .size:           8
        .value_kind:     by_value
      - .offset:         24
        .size:           8
        .value_kind:     by_value
      - .offset:         32
        .size:           8
        .value_kind:     by_value
      - .offset:         40
        .size:           8
        .value_kind:     by_value
      - .offset:         48
        .size:           8
        .value_kind:     by_value
      - .offset:         56
        .size:           4
        .value_kind:     by_value
      - .actual_access:  read_only
        .address_space:  global
        .offset:         64
        .size:           8
        .value_kind:     global_buffer
      - .actual_access:  read_only
        .address_space:  global
        .offset:         72
        .size:           8
        .value_kind:     global_buffer
      - .actual_access:  read_only
        .address_space:  global
        .offset:         80
        .size:           8
        .value_kind:     global_buffer
      - .offset:         88
        .size:           4
        .value_kind:     by_value
      - .actual_access:  write_only
        .address_space:  global
        .offset:         96
        .size:           8
        .value_kind:     global_buffer
      - .actual_access:  read_only
        .address_space:  global
        .offset:         104
        .size:           8
        .value_kind:     global_buffer
      - .actual_access:  write_only
        .address_space:  global
        .offset:         112
        .size:           8
        .value_kind:     global_buffer
      - .address_space:  global
        .offset:         120
        .size:           8
        .value_kind:     global_buffer
      - .address_space:  global
        .offset:         128
        .size:           8
        .value_kind:     global_buffer
      - .address_space:  global
        .offset:         136
        .size:           8
        .value_kind:     global_buffer
    .group_segment_fixed_size: 0
    .kernarg_segment_align: 8
    .kernarg_segment_size: 144
    .language:       OpenCL C
    .language_version:
      - 2
      - 0
    .max_flat_workgroup_size: 32
    .name:           _ZN9rocsparseL21csr2bsr_65_inf_kernelILj32EfilEEv20rocsparse_direction_T2_S2_S2_S2_S2_S2_21rocsparse_index_base_PKT0_PKT1_PKS2_S3_PS4_PS7_PS2_SD_SE_SC_
    .private_segment_fixed_size: 0
    .sgpr_count:     58
    .sgpr_spill_count: 0
    .symbol:         _ZN9rocsparseL21csr2bsr_65_inf_kernelILj32EfilEEv20rocsparse_direction_T2_S2_S2_S2_S2_S2_21rocsparse_index_base_PKT0_PKT1_PKS2_S3_PS4_PS7_PS2_SD_SE_SC_.kd
    .uniform_work_group_size: 1
    .uses_dynamic_stack: false
    .vgpr_count:     46
    .vgpr_spill_count: 0
    .wavefront_size: 64
  - .agpr_count:     0
    .args:
      - .offset:         0
        .size:           8
        .value_kind:     by_value
      - .offset:         8
        .size:           8
        .value_kind:     by_value
      - .offset:         16
        .size:           8
        .value_kind:     by_value
      - .offset:         24
        .size:           8
        .value_kind:     by_value
      - .offset:         32
        .size:           4
        .value_kind:     by_value
      - .address_space:  global
        .offset:         40
        .size:           8
        .value_kind:     global_buffer
      - .address_space:  global
        .offset:         48
        .size:           8
        .value_kind:     global_buffer
      - .address_space:  global
        .offset:         56
        .size:           8
        .value_kind:     global_buffer
      - .offset:         64
        .size:           4
        .value_kind:     by_value
      - .address_space:  global
        .offset:         72
        .size:           8
        .value_kind:     global_buffer
      - .address_space:  global
        .offset:         80
        .size:           8
        .value_kind:     global_buffer
      - .address_space:  global
        .offset:         88
        .size:           8
        .value_kind:     global_buffer
      - .offset:         96
        .size:           4
        .value_kind:     hidden_block_count_x
      - .offset:         100
        .size:           4
        .value_kind:     hidden_block_count_y
      - .offset:         104
        .size:           4
        .value_kind:     hidden_block_count_z
      - .offset:         108
        .size:           2
        .value_kind:     hidden_group_size_x
      - .offset:         110
        .size:           2
        .value_kind:     hidden_group_size_y
      - .offset:         112
        .size:           2
        .value_kind:     hidden_group_size_z
      - .offset:         114
        .size:           2
        .value_kind:     hidden_remainder_x
      - .offset:         116
        .size:           2
        .value_kind:     hidden_remainder_y
      - .offset:         118
        .size:           2
        .value_kind:     hidden_remainder_z
      - .offset:         136
        .size:           8
        .value_kind:     hidden_global_offset_x
      - .offset:         144
        .size:           8
        .value_kind:     hidden_global_offset_y
      - .offset:         152
        .size:           8
        .value_kind:     hidden_global_offset_z
      - .offset:         160
        .size:           2
        .value_kind:     hidden_grid_dims
    .group_segment_fixed_size: 0
    .kernarg_segment_align: 8
    .kernarg_segment_size: 352
    .language:       OpenCL C
    .language_version:
      - 2
      - 0
    .max_flat_workgroup_size: 256
    .name:           _ZN9rocsparseL35csr2bsr_block_dim_equals_one_kernelILj256EfllEEvT2_S1_S1_S1_21rocsparse_index_base_PKT0_PKT1_PKS1_S2_PS3_PS6_PS1_
    .private_segment_fixed_size: 0
    .sgpr_count:     26
    .sgpr_spill_count: 0
    .symbol:         _ZN9rocsparseL35csr2bsr_block_dim_equals_one_kernelILj256EfllEEvT2_S1_S1_S1_21rocsparse_index_base_PKT0_PKT1_PKS1_S2_PS3_PS6_PS1_.kd
    .uniform_work_group_size: 1
    .uses_dynamic_stack: false
    .vgpr_count:     13
    .vgpr_spill_count: 0
    .wavefront_size: 64
  - .agpr_count:     0
    .args:
      - .offset:         0
        .size:           4
        .value_kind:     by_value
      - .offset:         8
        .size:           8
        .value_kind:     by_value
      - .offset:         16
        .size:           8
        .value_kind:     by_value
      - .offset:         24
        .size:           8
        .value_kind:     by_value
      - .offset:         32
        .size:           8
        .value_kind:     by_value
      - .offset:         40
        .size:           8
        .value_kind:     by_value
      - .offset:         48
        .size:           4
        .value_kind:     by_value
      - .actual_access:  read_only
        .address_space:  global
        .offset:         56
        .size:           8
        .value_kind:     global_buffer
      - .actual_access:  read_only
        .address_space:  global
        .offset:         64
        .size:           8
        .value_kind:     global_buffer
      - .actual_access:  read_only
        .address_space:  global
        .offset:         72
        .size:           8
        .value_kind:     global_buffer
      - .offset:         80
        .size:           4
        .value_kind:     by_value
      - .actual_access:  write_only
        .address_space:  global
        .offset:         88
        .size:           8
        .value_kind:     global_buffer
      - .actual_access:  read_only
        .address_space:  global
        .offset:         96
        .size:           8
        .value_kind:     global_buffer
      - .actual_access:  write_only
        .address_space:  global
        .offset:         104
        .size:           8
        .value_kind:     global_buffer
    .group_segment_fixed_size: 1040
    .kernarg_segment_align: 8
    .kernarg_segment_size: 112
    .language:       OpenCL C
    .language_version:
      - 2
      - 0
    .max_flat_workgroup_size: 256
    .name:           _ZN9rocsparseL42csr2bsr_wavefront_per_row_multipass_kernelILj256ELj16ELj4EfllEEv20rocsparse_direction_T4_S2_S2_S2_S2_21rocsparse_index_base_PKT2_PKT3_PKS2_S3_PS4_PS7_PS2_
    .private_segment_fixed_size: 0
    .sgpr_count:     38
    .sgpr_spill_count: 0
    .symbol:         _ZN9rocsparseL42csr2bsr_wavefront_per_row_multipass_kernelILj256ELj16ELj4EfllEEv20rocsparse_direction_T4_S2_S2_S2_S2_21rocsparse_index_base_PKT2_PKT3_PKS2_S3_PS4_PS7_PS2_.kd
    .uniform_work_group_size: 1
    .uses_dynamic_stack: false
    .vgpr_count:     40
    .vgpr_spill_count: 0
    .wavefront_size: 64
  - .agpr_count:     0
    .args:
      - .offset:         0
        .size:           4
        .value_kind:     by_value
      - .offset:         8
        .size:           8
        .value_kind:     by_value
      - .offset:         16
        .size:           8
        .value_kind:     by_value
      - .offset:         24
        .size:           8
        .value_kind:     by_value
      - .offset:         32
        .size:           8
        .value_kind:     by_value
      - .offset:         40
        .size:           8
        .value_kind:     by_value
      - .offset:         48
        .size:           4
        .value_kind:     by_value
      - .actual_access:  read_only
        .address_space:  global
        .offset:         56
        .size:           8
        .value_kind:     global_buffer
      - .actual_access:  read_only
        .address_space:  global
        .offset:         64
        .size:           8
        .value_kind:     global_buffer
      - .actual_access:  read_only
        .address_space:  global
        .offset:         72
        .size:           8
        .value_kind:     global_buffer
      - .offset:         80
        .size:           4
        .value_kind:     by_value
      - .actual_access:  write_only
        .address_space:  global
        .offset:         88
        .size:           8
        .value_kind:     global_buffer
      - .actual_access:  read_only
        .address_space:  global
        .offset:         96
        .size:           8
        .value_kind:     global_buffer
      - .actual_access:  write_only
        .address_space:  global
        .offset:         104
        .size:           8
        .value_kind:     global_buffer
    .group_segment_fixed_size: 1028
    .kernarg_segment_align: 8
    .kernarg_segment_size: 112
    .language:       OpenCL C
    .language_version:
      - 2
      - 0
    .max_flat_workgroup_size: 256
    .name:           _ZN9rocsparseL42csr2bsr_wavefront_per_row_multipass_kernelILj256ELj64ELj8EfllEEv20rocsparse_direction_T4_S2_S2_S2_S2_21rocsparse_index_base_PKT2_PKT3_PKS2_S3_PS4_PS7_PS2_
    .private_segment_fixed_size: 0
    .sgpr_count:     38
    .sgpr_spill_count: 0
    .symbol:         _ZN9rocsparseL42csr2bsr_wavefront_per_row_multipass_kernelILj256ELj64ELj8EfllEEv20rocsparse_direction_T4_S2_S2_S2_S2_21rocsparse_index_base_PKT2_PKT3_PKS2_S3_PS4_PS7_PS2_.kd
    .uniform_work_group_size: 1
    .uses_dynamic_stack: false
    .vgpr_count:     40
    .vgpr_spill_count: 0
    .wavefront_size: 64
  - .agpr_count:     0
    .args:
      - .offset:         0
        .size:           4
        .value_kind:     by_value
      - .offset:         8
        .size:           8
        .value_kind:     by_value
      - .offset:         16
        .size:           8
        .value_kind:     by_value
      - .offset:         24
        .size:           8
        .value_kind:     by_value
      - .offset:         32
        .size:           8
        .value_kind:     by_value
      - .offset:         40
        .size:           8
        .value_kind:     by_value
      - .offset:         48
        .size:           4
        .value_kind:     by_value
      - .actual_access:  read_only
        .address_space:  global
        .offset:         56
        .size:           8
        .value_kind:     global_buffer
      - .actual_access:  read_only
        .address_space:  global
        .offset:         64
        .size:           8
        .value_kind:     global_buffer
      - .actual_access:  read_only
        .address_space:  global
        .offset:         72
        .size:           8
        .value_kind:     global_buffer
      - .offset:         80
        .size:           4
        .value_kind:     by_value
      - .actual_access:  write_only
        .address_space:  global
        .offset:         88
        .size:           8
        .value_kind:     global_buffer
      - .actual_access:  read_only
        .address_space:  global
        .offset:         96
        .size:           8
        .value_kind:     global_buffer
      - .actual_access:  write_only
        .address_space:  global
        .offset:         104
        .size:           8
        .value_kind:     global_buffer
    .group_segment_fixed_size: 2056
    .kernarg_segment_align: 8
    .kernarg_segment_size: 112
    .language:       OpenCL C
    .language_version:
      - 2
      - 0
    .max_flat_workgroup_size: 256
    .name:           _ZN9rocsparseL42csr2bsr_wavefront_per_row_multipass_kernelILj256ELj32ELj8EfllEEv20rocsparse_direction_T4_S2_S2_S2_S2_21rocsparse_index_base_PKT2_PKT3_PKS2_S3_PS4_PS7_PS2_
    .private_segment_fixed_size: 0
    .sgpr_count:     43
    .sgpr_spill_count: 0
    .symbol:         _ZN9rocsparseL42csr2bsr_wavefront_per_row_multipass_kernelILj256ELj32ELj8EfllEEv20rocsparse_direction_T4_S2_S2_S2_S2_21rocsparse_index_base_PKT2_PKT3_PKS2_S3_PS4_PS7_PS2_.kd
    .uniform_work_group_size: 1
    .uses_dynamic_stack: false
    .vgpr_count:     46
    .vgpr_spill_count: 0
    .wavefront_size: 64
  - .agpr_count:     0
    .args:
      - .offset:         0
        .size:           4
        .value_kind:     by_value
      - .offset:         8
        .size:           8
        .value_kind:     by_value
      - .offset:         16
        .size:           8
        .value_kind:     by_value
      - .offset:         24
        .size:           8
        .value_kind:     by_value
      - .offset:         32
        .size:           8
        .value_kind:     by_value
      - .offset:         40
        .size:           8
        .value_kind:     by_value
      - .offset:         48
        .size:           4
        .value_kind:     by_value
      - .actual_access:  read_only
        .address_space:  global
        .offset:         56
        .size:           8
        .value_kind:     global_buffer
      - .actual_access:  read_only
        .address_space:  global
        .offset:         64
        .size:           8
        .value_kind:     global_buffer
      - .actual_access:  read_only
        .address_space:  global
        .offset:         72
        .size:           8
        .value_kind:     global_buffer
      - .offset:         80
        .size:           4
        .value_kind:     by_value
      - .actual_access:  write_only
        .address_space:  global
        .offset:         88
        .size:           8
        .value_kind:     global_buffer
      - .actual_access:  read_only
        .address_space:  global
        .offset:         96
        .size:           8
        .value_kind:     global_buffer
      - .actual_access:  write_only
        .address_space:  global
        .offset:         104
        .size:           8
        .value_kind:     global_buffer
    .group_segment_fixed_size: 4100
    .kernarg_segment_align: 8
    .kernarg_segment_size: 112
    .language:       OpenCL C
    .language_version:
      - 2
      - 0
    .max_flat_workgroup_size: 256
    .name:           _ZN9rocsparseL42csr2bsr_wavefront_per_row_multipass_kernelILj256ELj64ELj16EfllEEv20rocsparse_direction_T4_S2_S2_S2_S2_21rocsparse_index_base_PKT2_PKT3_PKS2_S3_PS4_PS7_PS2_
    .private_segment_fixed_size: 0
    .sgpr_count:     47
    .sgpr_spill_count: 0
    .symbol:         _ZN9rocsparseL42csr2bsr_wavefront_per_row_multipass_kernelILj256ELj64ELj16EfllEEv20rocsparse_direction_T4_S2_S2_S2_S2_21rocsparse_index_base_PKT2_PKT3_PKS2_S3_PS4_PS7_PS2_.kd
    .uniform_work_group_size: 1
    .uses_dynamic_stack: false
    .vgpr_count:     50
    .vgpr_spill_count: 0
    .wavefront_size: 64
  - .agpr_count:     0
    .args:
      - .offset:         0
        .size:           4
        .value_kind:     by_value
      - .offset:         8
        .size:           8
        .value_kind:     by_value
      - .offset:         16
        .size:           8
        .value_kind:     by_value
      - .offset:         24
        .size:           8
        .value_kind:     by_value
      - .offset:         32
        .size:           8
        .value_kind:     by_value
      - .offset:         40
        .size:           8
        .value_kind:     by_value
      - .offset:         48
        .size:           4
        .value_kind:     by_value
      - .actual_access:  read_only
        .address_space:  global
        .offset:         56
        .size:           8
        .value_kind:     global_buffer
      - .actual_access:  read_only
        .address_space:  global
        .offset:         64
        .size:           8
        .value_kind:     global_buffer
      - .actual_access:  read_only
        .address_space:  global
        .offset:         72
        .size:           8
        .value_kind:     global_buffer
      - .offset:         80
        .size:           4
        .value_kind:     by_value
      - .actual_access:  write_only
        .address_space:  global
        .offset:         88
        .size:           8
        .value_kind:     global_buffer
      - .actual_access:  read_only
        .address_space:  global
        .offset:         96
        .size:           8
        .value_kind:     global_buffer
      - .actual_access:  write_only
        .address_space:  global
        .offset:         104
        .size:           8
        .value_kind:     global_buffer
    .group_segment_fixed_size: 8200
    .kernarg_segment_align: 8
    .kernarg_segment_size: 112
    .language:       OpenCL C
    .language_version:
      - 2
      - 0
    .max_flat_workgroup_size: 256
    .name:           _ZN9rocsparseL42csr2bsr_wavefront_per_row_multipass_kernelILj256ELj32ELj16EfllEEv20rocsparse_direction_T4_S2_S2_S2_S2_21rocsparse_index_base_PKT2_PKT3_PKS2_S3_PS4_PS7_PS2_
    .private_segment_fixed_size: 0
    .sgpr_count:     55
    .sgpr_spill_count: 0
    .symbol:         _ZN9rocsparseL42csr2bsr_wavefront_per_row_multipass_kernelILj256ELj32ELj16EfllEEv20rocsparse_direction_T4_S2_S2_S2_S2_21rocsparse_index_base_PKT2_PKT3_PKS2_S3_PS4_PS7_PS2_.kd
    .uniform_work_group_size: 1
    .uses_dynamic_stack: false
    .vgpr_count:     58
    .vgpr_spill_count: 0
    .wavefront_size: 64
  - .agpr_count:     0
    .args:
      - .offset:         0
        .size:           4
        .value_kind:     by_value
      - .offset:         8
        .size:           8
        .value_kind:     by_value
      - .offset:         16
        .size:           8
        .value_kind:     by_value
      - .offset:         24
        .size:           8
        .value_kind:     by_value
      - .offset:         32
        .size:           8
        .value_kind:     by_value
      - .offset:         40
        .size:           8
        .value_kind:     by_value
      - .offset:         48
        .size:           4
        .value_kind:     by_value
      - .actual_access:  read_only
        .address_space:  global
        .offset:         56
        .size:           8
        .value_kind:     global_buffer
      - .actual_access:  read_only
        .address_space:  global
        .offset:         64
        .size:           8
        .value_kind:     global_buffer
      - .actual_access:  read_only
        .address_space:  global
        .offset:         72
        .size:           8
        .value_kind:     global_buffer
      - .offset:         80
        .size:           4
        .value_kind:     by_value
      - .actual_access:  write_only
        .address_space:  global
        .offset:         88
        .size:           8
        .value_kind:     global_buffer
      - .actual_access:  read_only
        .address_space:  global
        .offset:         96
        .size:           8
        .value_kind:     global_buffer
      - .actual_access:  write_only
        .address_space:  global
        .offset:         104
        .size:           8
        .value_kind:     global_buffer
    .group_segment_fixed_size: 4100
    .kernarg_segment_align: 8
    .kernarg_segment_size: 112
    .language:       OpenCL C
    .language_version:
      - 2
      - 0
    .max_flat_workgroup_size: 256
    .name:           _ZN9rocsparseL38csr2bsr_block_per_row_multipass_kernelILj256ELj32EfllEEv20rocsparse_direction_T3_S2_S2_S2_S2_21rocsparse_index_base_PKT1_PKT2_PKS2_S3_PS4_PS7_PS2_
    .private_segment_fixed_size: 0
    .sgpr_count:     67
    .sgpr_spill_count: 0
    .symbol:         _ZN9rocsparseL38csr2bsr_block_per_row_multipass_kernelILj256ELj32EfllEEv20rocsparse_direction_T3_S2_S2_S2_S2_21rocsparse_index_base_PKT1_PKT2_PKS2_S3_PS4_PS7_PS2_.kd
    .uniform_work_group_size: 1
    .uses_dynamic_stack: false
    .vgpr_count:     44
    .vgpr_spill_count: 0
    .wavefront_size: 64
  - .agpr_count:     0
    .args:
      - .offset:         0
        .size:           4
        .value_kind:     by_value
      - .offset:         8
        .size:           8
        .value_kind:     by_value
      - .offset:         16
        .size:           8
        .value_kind:     by_value
      - .offset:         24
        .size:           8
        .value_kind:     by_value
      - .offset:         32
        .size:           8
        .value_kind:     by_value
      - .offset:         40
        .size:           8
        .value_kind:     by_value
      - .offset:         48
        .size:           4
        .value_kind:     by_value
      - .actual_access:  read_only
        .address_space:  global
        .offset:         56
        .size:           8
        .value_kind:     global_buffer
      - .actual_access:  read_only
        .address_space:  global
        .offset:         64
        .size:           8
        .value_kind:     global_buffer
      - .actual_access:  read_only
        .address_space:  global
        .offset:         72
        .size:           8
        .value_kind:     global_buffer
      - .offset:         80
        .size:           4
        .value_kind:     by_value
      - .actual_access:  write_only
        .address_space:  global
        .offset:         88
        .size:           8
        .value_kind:     global_buffer
      - .actual_access:  read_only
        .address_space:  global
        .offset:         96
        .size:           8
        .value_kind:     global_buffer
      - .actual_access:  write_only
        .address_space:  global
        .offset:         104
        .size:           8
        .value_kind:     global_buffer
    .group_segment_fixed_size: 16388
    .kernarg_segment_align: 8
    .kernarg_segment_size: 112
    .language:       OpenCL C
    .language_version:
      - 2
      - 0
    .max_flat_workgroup_size: 256
    .name:           _ZN9rocsparseL38csr2bsr_block_per_row_multipass_kernelILj256ELj64EfllEEv20rocsparse_direction_T3_S2_S2_S2_S2_21rocsparse_index_base_PKT1_PKT2_PKS2_S3_PS4_PS7_PS2_
    .private_segment_fixed_size: 0
    .sgpr_count:     106
    .sgpr_spill_count: 0
    .symbol:         _ZN9rocsparseL38csr2bsr_block_per_row_multipass_kernelILj256ELj64EfllEEv20rocsparse_direction_T3_S2_S2_S2_S2_21rocsparse_index_base_PKT1_PKT2_PKS2_S3_PS4_PS7_PS2_.kd
    .uniform_work_group_size: 1
    .uses_dynamic_stack: false
    .vgpr_count:     68
    .vgpr_spill_count: 0
    .wavefront_size: 64
  - .agpr_count:     0
    .args:
      - .offset:         0
        .size:           4
        .value_kind:     by_value
      - .offset:         8
        .size:           8
        .value_kind:     by_value
      - .offset:         16
        .size:           8
        .value_kind:     by_value
      - .offset:         24
        .size:           8
        .value_kind:     by_value
      - .offset:         32
        .size:           8
        .value_kind:     by_value
      - .offset:         40
        .size:           8
        .value_kind:     by_value
      - .offset:         48
        .size:           8
        .value_kind:     by_value
      - .offset:         56
        .size:           4
        .value_kind:     by_value
      - .actual_access:  read_only
        .address_space:  global
        .offset:         64
        .size:           8
        .value_kind:     global_buffer
      - .actual_access:  read_only
        .address_space:  global
        .offset:         72
        .size:           8
        .value_kind:     global_buffer
      - .actual_access:  read_only
        .address_space:  global
        .offset:         80
        .size:           8
        .value_kind:     global_buffer
      - .offset:         88
        .size:           4
        .value_kind:     by_value
      - .actual_access:  write_only
        .address_space:  global
        .offset:         96
        .size:           8
        .value_kind:     global_buffer
      - .actual_access:  read_only
        .address_space:  global
        .offset:         104
        .size:           8
        .value_kind:     global_buffer
      - .actual_access:  write_only
        .address_space:  global
        .offset:         112
        .size:           8
        .value_kind:     global_buffer
      - .address_space:  global
        .offset:         120
        .size:           8
        .value_kind:     global_buffer
      - .address_space:  global
        .offset:         128
        .size:           8
        .value_kind:     global_buffer
      - .address_space:  global
        .offset:         136
        .size:           8
        .value_kind:     global_buffer
    .group_segment_fixed_size: 0
    .kernarg_segment_align: 8
    .kernarg_segment_size: 144
    .language:       OpenCL C
    .language_version:
      - 2
      - 0
    .max_flat_workgroup_size: 32
    .name:           _ZN9rocsparseL21csr2bsr_65_inf_kernelILj32EfllEEv20rocsparse_direction_T2_S2_S2_S2_S2_S2_21rocsparse_index_base_PKT0_PKT1_PKS2_S3_PS4_PS7_PS2_SD_SE_SC_
    .private_segment_fixed_size: 0
    .sgpr_count:     58
    .sgpr_spill_count: 0
    .symbol:         _ZN9rocsparseL21csr2bsr_65_inf_kernelILj32EfllEEv20rocsparse_direction_T2_S2_S2_S2_S2_S2_21rocsparse_index_base_PKT0_PKT1_PKS2_S3_PS4_PS7_PS2_SD_SE_SC_.kd
    .uniform_work_group_size: 1
    .uses_dynamic_stack: false
    .vgpr_count:     46
    .vgpr_spill_count: 0
    .wavefront_size: 64
  - .agpr_count:     0
    .args:
      - .offset:         0
        .size:           4
        .value_kind:     by_value
      - .offset:         4
        .size:           4
        .value_kind:     by_value
      - .offset:         8
        .size:           4
        .value_kind:     by_value
      - .offset:         12
        .size:           4
        .value_kind:     by_value
      - .offset:         16
        .size:           4
        .value_kind:     by_value
      - .address_space:  global
        .offset:         24
        .size:           8
        .value_kind:     global_buffer
      - .address_space:  global
        .offset:         32
        .size:           8
        .value_kind:     global_buffer
      - .address_space:  global
        .offset:         40
        .size:           8
        .value_kind:     global_buffer
      - .offset:         48
        .size:           4
        .value_kind:     by_value
      - .address_space:  global
        .offset:         56
        .size:           8
        .value_kind:     global_buffer
      - .address_space:  global
        .offset:         64
        .size:           8
        .value_kind:     global_buffer
      - .address_space:  global
        .offset:         72
        .size:           8
        .value_kind:     global_buffer
      - .offset:         80
        .size:           4
        .value_kind:     hidden_block_count_x
      - .offset:         84
        .size:           4
        .value_kind:     hidden_block_count_y
      - .offset:         88
        .size:           4
        .value_kind:     hidden_block_count_z
      - .offset:         92
        .size:           2
        .value_kind:     hidden_group_size_x
      - .offset:         94
        .size:           2
        .value_kind:     hidden_group_size_y
      - .offset:         96
        .size:           2
        .value_kind:     hidden_group_size_z
      - .offset:         98
        .size:           2
        .value_kind:     hidden_remainder_x
      - .offset:         100
        .size:           2
        .value_kind:     hidden_remainder_y
      - .offset:         102
        .size:           2
        .value_kind:     hidden_remainder_z
      - .offset:         120
        .size:           8
        .value_kind:     hidden_global_offset_x
      - .offset:         128
        .size:           8
        .value_kind:     hidden_global_offset_y
      - .offset:         136
        .size:           8
        .value_kind:     hidden_global_offset_z
      - .offset:         144
        .size:           2
        .value_kind:     hidden_grid_dims
    .group_segment_fixed_size: 0
    .kernarg_segment_align: 8
    .kernarg_segment_size: 336
    .language:       OpenCL C
    .language_version:
      - 2
      - 0
    .max_flat_workgroup_size: 256
    .name:           _ZN9rocsparseL35csr2bsr_block_dim_equals_one_kernelILj256E21rocsparse_complex_numIfEiiEEvT2_S3_S3_S3_21rocsparse_index_base_PKT0_PKT1_PKS3_S4_PS5_PS8_PS3_
    .private_segment_fixed_size: 0
    .sgpr_count:     20
    .sgpr_spill_count: 0
    .symbol:         _ZN9rocsparseL35csr2bsr_block_dim_equals_one_kernelILj256E21rocsparse_complex_numIfEiiEEvT2_S3_S3_S3_21rocsparse_index_base_PKT0_PKT1_PKS3_S4_PS5_PS8_PS3_.kd
    .uniform_work_group_size: 1
    .uses_dynamic_stack: false
    .vgpr_count:     7
    .vgpr_spill_count: 0
    .wavefront_size: 64
  - .agpr_count:     0
    .args:
      - .offset:         0
        .size:           4
        .value_kind:     by_value
      - .offset:         4
        .size:           4
        .value_kind:     by_value
      - .offset:         8
        .size:           4
        .value_kind:     by_value
      - .offset:         12
        .size:           4
        .value_kind:     by_value
      - .offset:         16
        .size:           4
        .value_kind:     by_value
      - .offset:         20
        .size:           4
        .value_kind:     by_value
      - .offset:         24
        .size:           4
        .value_kind:     by_value
      - .actual_access:  read_only
        .address_space:  global
        .offset:         32
        .size:           8
        .value_kind:     global_buffer
      - .actual_access:  read_only
        .address_space:  global
        .offset:         40
        .size:           8
        .value_kind:     global_buffer
      - .actual_access:  read_only
        .address_space:  global
        .offset:         48
        .size:           8
        .value_kind:     global_buffer
      - .offset:         56
        .size:           4
        .value_kind:     by_value
      - .actual_access:  write_only
        .address_space:  global
        .offset:         64
        .size:           8
        .value_kind:     global_buffer
      - .actual_access:  read_only
        .address_space:  global
        .offset:         72
        .size:           8
        .value_kind:     global_buffer
      - .actual_access:  write_only
        .address_space:  global
        .offset:         80
        .size:           8
        .value_kind:     global_buffer
    .group_segment_fixed_size: 2064
    .kernarg_segment_align: 8
    .kernarg_segment_size: 88
    .language:       OpenCL C
    .language_version:
      - 2
      - 0
    .max_flat_workgroup_size: 256
    .name:           _ZN9rocsparseL42csr2bsr_wavefront_per_row_multipass_kernelILj256ELj16ELj4E21rocsparse_complex_numIfEiiEEv20rocsparse_direction_T4_S4_S4_S4_S4_21rocsparse_index_base_PKT2_PKT3_PKS4_S5_PS6_PS9_PS4_
    .private_segment_fixed_size: 0
    .sgpr_count:     32
    .sgpr_spill_count: 0
    .symbol:         _ZN9rocsparseL42csr2bsr_wavefront_per_row_multipass_kernelILj256ELj16ELj4E21rocsparse_complex_numIfEiiEEv20rocsparse_direction_T4_S4_S4_S4_S4_21rocsparse_index_base_PKT2_PKT3_PKS4_S5_PS6_PS9_PS4_.kd
    .uniform_work_group_size: 1
    .uses_dynamic_stack: false
    .vgpr_count:     26
    .vgpr_spill_count: 0
    .wavefront_size: 64
  - .agpr_count:     0
    .args:
      - .offset:         0
        .size:           4
        .value_kind:     by_value
      - .offset:         4
        .size:           4
        .value_kind:     by_value
      - .offset:         8
        .size:           4
        .value_kind:     by_value
      - .offset:         12
        .size:           4
        .value_kind:     by_value
      - .offset:         16
        .size:           4
        .value_kind:     by_value
      - .offset:         20
        .size:           4
        .value_kind:     by_value
      - .offset:         24
        .size:           4
        .value_kind:     by_value
      - .actual_access:  read_only
        .address_space:  global
        .offset:         32
        .size:           8
        .value_kind:     global_buffer
      - .actual_access:  read_only
        .address_space:  global
        .offset:         40
        .size:           8
        .value_kind:     global_buffer
      - .actual_access:  read_only
        .address_space:  global
        .offset:         48
        .size:           8
        .value_kind:     global_buffer
      - .offset:         56
        .size:           4
        .value_kind:     by_value
      - .actual_access:  write_only
        .address_space:  global
        .offset:         64
        .size:           8
        .value_kind:     global_buffer
      - .actual_access:  read_only
        .address_space:  global
        .offset:         72
        .size:           8
        .value_kind:     global_buffer
      - .actual_access:  write_only
        .address_space:  global
        .offset:         80
        .size:           8
        .value_kind:     global_buffer
    .group_segment_fixed_size: 2052
    .kernarg_segment_align: 8
    .kernarg_segment_size: 88
    .language:       OpenCL C
    .language_version:
      - 2
      - 0
    .max_flat_workgroup_size: 256
    .name:           _ZN9rocsparseL42csr2bsr_wavefront_per_row_multipass_kernelILj256ELj64ELj8E21rocsparse_complex_numIfEiiEEv20rocsparse_direction_T4_S4_S4_S4_S4_21rocsparse_index_base_PKT2_PKT3_PKS4_S5_PS6_PS9_PS4_
    .private_segment_fixed_size: 0
    .sgpr_count:     32
    .sgpr_spill_count: 0
    .symbol:         _ZN9rocsparseL42csr2bsr_wavefront_per_row_multipass_kernelILj256ELj64ELj8E21rocsparse_complex_numIfEiiEEv20rocsparse_direction_T4_S4_S4_S4_S4_21rocsparse_index_base_PKT2_PKT3_PKS4_S5_PS6_PS9_PS4_.kd
    .uniform_work_group_size: 1
    .uses_dynamic_stack: false
    .vgpr_count:     26
    .vgpr_spill_count: 0
    .wavefront_size: 64
  - .agpr_count:     0
    .args:
      - .offset:         0
        .size:           4
        .value_kind:     by_value
      - .offset:         4
        .size:           4
        .value_kind:     by_value
      - .offset:         8
        .size:           4
        .value_kind:     by_value
      - .offset:         12
        .size:           4
        .value_kind:     by_value
      - .offset:         16
        .size:           4
        .value_kind:     by_value
      - .offset:         20
        .size:           4
        .value_kind:     by_value
      - .offset:         24
        .size:           4
        .value_kind:     by_value
      - .actual_access:  read_only
        .address_space:  global
        .offset:         32
        .size:           8
        .value_kind:     global_buffer
      - .actual_access:  read_only
        .address_space:  global
        .offset:         40
        .size:           8
        .value_kind:     global_buffer
      - .actual_access:  read_only
        .address_space:  global
        .offset:         48
        .size:           8
        .value_kind:     global_buffer
      - .offset:         56
        .size:           4
        .value_kind:     by_value
      - .actual_access:  write_only
        .address_space:  global
        .offset:         64
        .size:           8
        .value_kind:     global_buffer
      - .actual_access:  read_only
        .address_space:  global
        .offset:         72
        .size:           8
        .value_kind:     global_buffer
      - .actual_access:  write_only
        .address_space:  global
        .offset:         80
        .size:           8
        .value_kind:     global_buffer
    .group_segment_fixed_size: 4104
    .kernarg_segment_align: 8
    .kernarg_segment_size: 88
    .language:       OpenCL C
    .language_version:
      - 2
      - 0
    .max_flat_workgroup_size: 256
    .name:           _ZN9rocsparseL42csr2bsr_wavefront_per_row_multipass_kernelILj256ELj32ELj8E21rocsparse_complex_numIfEiiEEv20rocsparse_direction_T4_S4_S4_S4_S4_21rocsparse_index_base_PKT2_PKT3_PKS4_S5_PS6_PS9_PS4_
    .private_segment_fixed_size: 0
    .sgpr_count:     36
    .sgpr_spill_count: 0
    .symbol:         _ZN9rocsparseL42csr2bsr_wavefront_per_row_multipass_kernelILj256ELj32ELj8E21rocsparse_complex_numIfEiiEEv20rocsparse_direction_T4_S4_S4_S4_S4_21rocsparse_index_base_PKT2_PKT3_PKS4_S5_PS6_PS9_PS4_.kd
    .uniform_work_group_size: 1
    .uses_dynamic_stack: false
    .vgpr_count:     36
    .vgpr_spill_count: 0
    .wavefront_size: 64
  - .agpr_count:     0
    .args:
      - .offset:         0
        .size:           4
        .value_kind:     by_value
      - .offset:         4
        .size:           4
        .value_kind:     by_value
      - .offset:         8
        .size:           4
        .value_kind:     by_value
      - .offset:         12
        .size:           4
        .value_kind:     by_value
      - .offset:         16
        .size:           4
        .value_kind:     by_value
      - .offset:         20
        .size:           4
        .value_kind:     by_value
      - .offset:         24
        .size:           4
        .value_kind:     by_value
      - .actual_access:  read_only
        .address_space:  global
        .offset:         32
        .size:           8
        .value_kind:     global_buffer
      - .actual_access:  read_only
        .address_space:  global
        .offset:         40
        .size:           8
        .value_kind:     global_buffer
      - .actual_access:  read_only
        .address_space:  global
        .offset:         48
        .size:           8
        .value_kind:     global_buffer
      - .offset:         56
        .size:           4
        .value_kind:     by_value
      - .actual_access:  write_only
        .address_space:  global
        .offset:         64
        .size:           8
        .value_kind:     global_buffer
      - .actual_access:  read_only
        .address_space:  global
        .offset:         72
        .size:           8
        .value_kind:     global_buffer
      - .actual_access:  write_only
        .address_space:  global
        .offset:         80
        .size:           8
        .value_kind:     global_buffer
    .group_segment_fixed_size: 8196
    .kernarg_segment_align: 8
    .kernarg_segment_size: 88
    .language:       OpenCL C
    .language_version:
      - 2
      - 0
    .max_flat_workgroup_size: 256
    .name:           _ZN9rocsparseL42csr2bsr_wavefront_per_row_multipass_kernelILj256ELj64ELj16E21rocsparse_complex_numIfEiiEEv20rocsparse_direction_T4_S4_S4_S4_S4_21rocsparse_index_base_PKT2_PKT3_PKS4_S5_PS6_PS9_PS4_
    .private_segment_fixed_size: 0
    .sgpr_count:     44
    .sgpr_spill_count: 0
    .symbol:         _ZN9rocsparseL42csr2bsr_wavefront_per_row_multipass_kernelILj256ELj64ELj16E21rocsparse_complex_numIfEiiEEv20rocsparse_direction_T4_S4_S4_S4_S4_21rocsparse_index_base_PKT2_PKT3_PKS4_S5_PS6_PS9_PS4_.kd
    .uniform_work_group_size: 1
    .uses_dynamic_stack: false
    .vgpr_count:     40
    .vgpr_spill_count: 0
    .wavefront_size: 64
  - .agpr_count:     0
    .args:
      - .offset:         0
        .size:           4
        .value_kind:     by_value
      - .offset:         4
        .size:           4
        .value_kind:     by_value
      - .offset:         8
        .size:           4
        .value_kind:     by_value
      - .offset:         12
        .size:           4
        .value_kind:     by_value
      - .offset:         16
        .size:           4
        .value_kind:     by_value
      - .offset:         20
        .size:           4
        .value_kind:     by_value
      - .offset:         24
        .size:           4
        .value_kind:     by_value
      - .actual_access:  read_only
        .address_space:  global
        .offset:         32
        .size:           8
        .value_kind:     global_buffer
      - .actual_access:  read_only
        .address_space:  global
        .offset:         40
        .size:           8
        .value_kind:     global_buffer
      - .actual_access:  read_only
        .address_space:  global
        .offset:         48
        .size:           8
        .value_kind:     global_buffer
      - .offset:         56
        .size:           4
        .value_kind:     by_value
      - .actual_access:  write_only
        .address_space:  global
        .offset:         64
        .size:           8
        .value_kind:     global_buffer
      - .actual_access:  read_only
        .address_space:  global
        .offset:         72
        .size:           8
        .value_kind:     global_buffer
      - .actual_access:  write_only
        .address_space:  global
        .offset:         80
        .size:           8
        .value_kind:     global_buffer
    .group_segment_fixed_size: 16392
    .kernarg_segment_align: 8
    .kernarg_segment_size: 88
    .language:       OpenCL C
    .language_version:
      - 2
      - 0
    .max_flat_workgroup_size: 256
    .name:           _ZN9rocsparseL42csr2bsr_wavefront_per_row_multipass_kernelILj256ELj32ELj16E21rocsparse_complex_numIfEiiEEv20rocsparse_direction_T4_S4_S4_S4_S4_21rocsparse_index_base_PKT2_PKT3_PKS4_S5_PS6_PS9_PS4_
    .private_segment_fixed_size: 0
    .sgpr_count:     56
    .sgpr_spill_count: 0
    .symbol:         _ZN9rocsparseL42csr2bsr_wavefront_per_row_multipass_kernelILj256ELj32ELj16E21rocsparse_complex_numIfEiiEEv20rocsparse_direction_T4_S4_S4_S4_S4_21rocsparse_index_base_PKT2_PKT3_PKS4_S5_PS6_PS9_PS4_.kd
    .uniform_work_group_size: 1
    .uses_dynamic_stack: false
    .vgpr_count:     48
    .vgpr_spill_count: 0
    .wavefront_size: 64
  - .agpr_count:     0
    .args:
      - .offset:         0
        .size:           4
        .value_kind:     by_value
      - .offset:         4
        .size:           4
        .value_kind:     by_value
      - .offset:         8
        .size:           4
        .value_kind:     by_value
      - .offset:         12
        .size:           4
        .value_kind:     by_value
      - .offset:         16
        .size:           4
        .value_kind:     by_value
      - .offset:         20
        .size:           4
        .value_kind:     by_value
      - .offset:         24
        .size:           4
        .value_kind:     by_value
      - .actual_access:  read_only
        .address_space:  global
        .offset:         32
        .size:           8
        .value_kind:     global_buffer
      - .actual_access:  read_only
        .address_space:  global
        .offset:         40
        .size:           8
        .value_kind:     global_buffer
      - .actual_access:  read_only
        .address_space:  global
        .offset:         48
        .size:           8
        .value_kind:     global_buffer
      - .offset:         56
        .size:           4
        .value_kind:     by_value
      - .actual_access:  write_only
        .address_space:  global
        .offset:         64
        .size:           8
        .value_kind:     global_buffer
      - .actual_access:  read_only
        .address_space:  global
        .offset:         72
        .size:           8
        .value_kind:     global_buffer
      - .actual_access:  write_only
        .address_space:  global
        .offset:         80
        .size:           8
        .value_kind:     global_buffer
    .group_segment_fixed_size: 8196
    .kernarg_segment_align: 8
    .kernarg_segment_size: 88
    .language:       OpenCL C
    .language_version:
      - 2
      - 0
    .max_flat_workgroup_size: 256
    .name:           _ZN9rocsparseL38csr2bsr_block_per_row_multipass_kernelILj256ELj32E21rocsparse_complex_numIfEiiEEv20rocsparse_direction_T3_S4_S4_S4_S4_21rocsparse_index_base_PKT1_PKT2_PKS4_S5_PS6_PS9_PS4_
    .private_segment_fixed_size: 0
    .sgpr_count:     62
    .sgpr_spill_count: 0
    .symbol:         _ZN9rocsparseL38csr2bsr_block_per_row_multipass_kernelILj256ELj32E21rocsparse_complex_numIfEiiEEv20rocsparse_direction_T3_S4_S4_S4_S4_21rocsparse_index_base_PKT1_PKT2_PKS4_S5_PS6_PS9_PS4_.kd
    .uniform_work_group_size: 1
    .uses_dynamic_stack: false
    .vgpr_count:     36
    .vgpr_spill_count: 0
    .wavefront_size: 64
  - .agpr_count:     0
    .args:
      - .offset:         0
        .size:           4
        .value_kind:     by_value
      - .offset:         4
        .size:           4
        .value_kind:     by_value
      - .offset:         8
        .size:           4
        .value_kind:     by_value
      - .offset:         12
        .size:           4
        .value_kind:     by_value
      - .offset:         16
        .size:           4
        .value_kind:     by_value
      - .offset:         20
        .size:           4
        .value_kind:     by_value
      - .offset:         24
        .size:           4
        .value_kind:     by_value
      - .actual_access:  read_only
        .address_space:  global
        .offset:         32
        .size:           8
        .value_kind:     global_buffer
      - .actual_access:  read_only
        .address_space:  global
        .offset:         40
        .size:           8
        .value_kind:     global_buffer
      - .actual_access:  read_only
        .address_space:  global
        .offset:         48
        .size:           8
        .value_kind:     global_buffer
      - .offset:         56
        .size:           4
        .value_kind:     by_value
      - .actual_access:  write_only
        .address_space:  global
        .offset:         64
        .size:           8
        .value_kind:     global_buffer
      - .actual_access:  read_only
        .address_space:  global
        .offset:         72
        .size:           8
        .value_kind:     global_buffer
      - .actual_access:  write_only
        .address_space:  global
        .offset:         80
        .size:           8
        .value_kind:     global_buffer
    .group_segment_fixed_size: 32772
    .kernarg_segment_align: 8
    .kernarg_segment_size: 88
    .language:       OpenCL C
    .language_version:
      - 2
      - 0
    .max_flat_workgroup_size: 256
    .name:           _ZN9rocsparseL38csr2bsr_block_per_row_multipass_kernelILj256ELj64E21rocsparse_complex_numIfEiiEEv20rocsparse_direction_T3_S4_S4_S4_S4_21rocsparse_index_base_PKT1_PKT2_PKS4_S5_PS6_PS9_PS4_
    .private_segment_fixed_size: 0
    .sgpr_count:     105
    .sgpr_spill_count: 0
    .symbol:         _ZN9rocsparseL38csr2bsr_block_per_row_multipass_kernelILj256ELj64E21rocsparse_complex_numIfEiiEEv20rocsparse_direction_T3_S4_S4_S4_S4_21rocsparse_index_base_PKT1_PKT2_PKS4_S5_PS6_PS9_PS4_.kd
    .uniform_work_group_size: 1
    .uses_dynamic_stack: false
    .vgpr_count:     60
    .vgpr_spill_count: 0
    .wavefront_size: 64
  - .agpr_count:     0
    .args:
      - .offset:         0
        .size:           4
        .value_kind:     by_value
      - .offset:         4
        .size:           4
        .value_kind:     by_value
      - .offset:         8
        .size:           4
        .value_kind:     by_value
      - .offset:         12
        .size:           4
        .value_kind:     by_value
      - .offset:         16
        .size:           4
        .value_kind:     by_value
      - .offset:         20
        .size:           4
        .value_kind:     by_value
      - .offset:         24
        .size:           4
        .value_kind:     by_value
      - .offset:         28
        .size:           4
        .value_kind:     by_value
      - .actual_access:  read_only
        .address_space:  global
        .offset:         32
        .size:           8
        .value_kind:     global_buffer
      - .actual_access:  read_only
        .address_space:  global
        .offset:         40
        .size:           8
        .value_kind:     global_buffer
      - .actual_access:  read_only
        .address_space:  global
        .offset:         48
        .size:           8
        .value_kind:     global_buffer
      - .offset:         56
        .size:           4
        .value_kind:     by_value
      - .actual_access:  write_only
        .address_space:  global
        .offset:         64
        .size:           8
        .value_kind:     global_buffer
      - .actual_access:  read_only
        .address_space:  global
        .offset:         72
        .size:           8
        .value_kind:     global_buffer
      - .actual_access:  write_only
        .address_space:  global
        .offset:         80
        .size:           8
        .value_kind:     global_buffer
      - .address_space:  global
        .offset:         88
        .size:           8
        .value_kind:     global_buffer
      - .address_space:  global
        .offset:         96
        .size:           8
        .value_kind:     global_buffer
      - .address_space:  global
        .offset:         104
        .size:           8
        .value_kind:     global_buffer
    .group_segment_fixed_size: 0
    .kernarg_segment_align: 8
    .kernarg_segment_size: 112
    .language:       OpenCL C
    .language_version:
      - 2
      - 0
    .max_flat_workgroup_size: 32
    .name:           _ZN9rocsparseL21csr2bsr_65_inf_kernelILj32E21rocsparse_complex_numIfEiiEEv20rocsparse_direction_T2_S4_S4_S4_S4_S4_21rocsparse_index_base_PKT0_PKT1_PKS4_S5_PS6_PS9_PS4_SF_SG_SE_
    .private_segment_fixed_size: 0
    .sgpr_count:     52
    .sgpr_spill_count: 0
    .symbol:         _ZN9rocsparseL21csr2bsr_65_inf_kernelILj32E21rocsparse_complex_numIfEiiEEv20rocsparse_direction_T2_S4_S4_S4_S4_S4_21rocsparse_index_base_PKT0_PKT1_PKS4_S5_PS6_PS9_PS4_SF_SG_SE_.kd
    .uniform_work_group_size: 1
    .uses_dynamic_stack: false
    .vgpr_count:     36
    .vgpr_spill_count: 0
    .wavefront_size: 64
  - .agpr_count:     0
    .args:
      - .offset:         0
        .size:           4
        .value_kind:     by_value
      - .offset:         4
        .size:           4
        .value_kind:     by_value
      - .offset:         8
        .size:           4
        .value_kind:     by_value
      - .offset:         12
        .size:           4
        .value_kind:     by_value
      - .offset:         16
        .size:           4
        .value_kind:     by_value
      - .address_space:  global
        .offset:         24
        .size:           8
        .value_kind:     global_buffer
      - .address_space:  global
        .offset:         32
        .size:           8
        .value_kind:     global_buffer
      - .address_space:  global
        .offset:         40
        .size:           8
        .value_kind:     global_buffer
      - .offset:         48
        .size:           4
        .value_kind:     by_value
      - .address_space:  global
        .offset:         56
        .size:           8
        .value_kind:     global_buffer
      - .address_space:  global
        .offset:         64
        .size:           8
        .value_kind:     global_buffer
      - .address_space:  global
        .offset:         72
        .size:           8
        .value_kind:     global_buffer
      - .offset:         80
        .size:           4
        .value_kind:     hidden_block_count_x
      - .offset:         84
        .size:           4
        .value_kind:     hidden_block_count_y
      - .offset:         88
        .size:           4
        .value_kind:     hidden_block_count_z
      - .offset:         92
        .size:           2
        .value_kind:     hidden_group_size_x
      - .offset:         94
        .size:           2
        .value_kind:     hidden_group_size_y
      - .offset:         96
        .size:           2
        .value_kind:     hidden_group_size_z
      - .offset:         98
        .size:           2
        .value_kind:     hidden_remainder_x
      - .offset:         100
        .size:           2
        .value_kind:     hidden_remainder_y
      - .offset:         102
        .size:           2
        .value_kind:     hidden_remainder_z
      - .offset:         120
        .size:           8
        .value_kind:     hidden_global_offset_x
      - .offset:         128
        .size:           8
        .value_kind:     hidden_global_offset_y
      - .offset:         136
        .size:           8
        .value_kind:     hidden_global_offset_z
      - .offset:         144
        .size:           2
        .value_kind:     hidden_grid_dims
    .group_segment_fixed_size: 0
    .kernarg_segment_align: 8
    .kernarg_segment_size: 336
    .language:       OpenCL C
    .language_version:
      - 2
      - 0
    .max_flat_workgroup_size: 256
    .name:           _ZN9rocsparseL35csr2bsr_block_dim_equals_one_kernelILj256E21rocsparse_complex_numIfEliEEvT2_S3_S3_S3_21rocsparse_index_base_PKT0_PKT1_PKS3_S4_PS5_PS8_PS3_
    .private_segment_fixed_size: 0
    .sgpr_count:     25
    .sgpr_spill_count: 0
    .symbol:         _ZN9rocsparseL35csr2bsr_block_dim_equals_one_kernelILj256E21rocsparse_complex_numIfEliEEvT2_S3_S3_S3_21rocsparse_index_base_PKT0_PKT1_PKS3_S4_PS5_PS8_PS3_.kd
    .uniform_work_group_size: 1
    .uses_dynamic_stack: false
    .vgpr_count:     11
    .vgpr_spill_count: 0
    .wavefront_size: 64
  - .agpr_count:     0
    .args:
      - .offset:         0
        .size:           4
        .value_kind:     by_value
      - .offset:         4
        .size:           4
        .value_kind:     by_value
      - .offset:         8
        .size:           4
        .value_kind:     by_value
      - .offset:         12
        .size:           4
        .value_kind:     by_value
      - .offset:         16
        .size:           4
        .value_kind:     by_value
      - .offset:         20
        .size:           4
        .value_kind:     by_value
      - .offset:         24
        .size:           4
        .value_kind:     by_value
      - .actual_access:  read_only
        .address_space:  global
        .offset:         32
        .size:           8
        .value_kind:     global_buffer
      - .actual_access:  read_only
        .address_space:  global
        .offset:         40
        .size:           8
        .value_kind:     global_buffer
      - .actual_access:  read_only
        .address_space:  global
        .offset:         48
        .size:           8
        .value_kind:     global_buffer
      - .offset:         56
        .size:           4
        .value_kind:     by_value
      - .actual_access:  write_only
        .address_space:  global
        .offset:         64
        .size:           8
        .value_kind:     global_buffer
      - .actual_access:  read_only
        .address_space:  global
        .offset:         72
        .size:           8
        .value_kind:     global_buffer
      - .actual_access:  write_only
        .address_space:  global
        .offset:         80
        .size:           8
        .value_kind:     global_buffer
    .group_segment_fixed_size: 2064
    .kernarg_segment_align: 8
    .kernarg_segment_size: 88
    .language:       OpenCL C
    .language_version:
      - 2
      - 0
    .max_flat_workgroup_size: 256
    .name:           _ZN9rocsparseL42csr2bsr_wavefront_per_row_multipass_kernelILj256ELj16ELj4E21rocsparse_complex_numIfEliEEv20rocsparse_direction_T4_S4_S4_S4_S4_21rocsparse_index_base_PKT2_PKT3_PKS4_S5_PS6_PS9_PS4_
    .private_segment_fixed_size: 0
    .sgpr_count:     32
    .sgpr_spill_count: 0
    .symbol:         _ZN9rocsparseL42csr2bsr_wavefront_per_row_multipass_kernelILj256ELj16ELj4E21rocsparse_complex_numIfEliEEv20rocsparse_direction_T4_S4_S4_S4_S4_21rocsparse_index_base_PKT2_PKT3_PKS4_S5_PS6_PS9_PS4_.kd
    .uniform_work_group_size: 1
    .uses_dynamic_stack: false
    .vgpr_count:     34
    .vgpr_spill_count: 0
    .wavefront_size: 64
  - .agpr_count:     0
    .args:
      - .offset:         0
        .size:           4
        .value_kind:     by_value
      - .offset:         4
        .size:           4
        .value_kind:     by_value
      - .offset:         8
        .size:           4
        .value_kind:     by_value
      - .offset:         12
        .size:           4
        .value_kind:     by_value
      - .offset:         16
        .size:           4
        .value_kind:     by_value
      - .offset:         20
        .size:           4
        .value_kind:     by_value
      - .offset:         24
        .size:           4
        .value_kind:     by_value
      - .actual_access:  read_only
        .address_space:  global
        .offset:         32
        .size:           8
        .value_kind:     global_buffer
      - .actual_access:  read_only
        .address_space:  global
        .offset:         40
        .size:           8
        .value_kind:     global_buffer
      - .actual_access:  read_only
        .address_space:  global
        .offset:         48
        .size:           8
        .value_kind:     global_buffer
      - .offset:         56
        .size:           4
        .value_kind:     by_value
      - .actual_access:  write_only
        .address_space:  global
        .offset:         64
        .size:           8
        .value_kind:     global_buffer
      - .actual_access:  read_only
        .address_space:  global
        .offset:         72
        .size:           8
        .value_kind:     global_buffer
      - .actual_access:  write_only
        .address_space:  global
        .offset:         80
        .size:           8
        .value_kind:     global_buffer
    .group_segment_fixed_size: 2052
    .kernarg_segment_align: 8
    .kernarg_segment_size: 88
    .language:       OpenCL C
    .language_version:
      - 2
      - 0
    .max_flat_workgroup_size: 256
    .name:           _ZN9rocsparseL42csr2bsr_wavefront_per_row_multipass_kernelILj256ELj64ELj8E21rocsparse_complex_numIfEliEEv20rocsparse_direction_T4_S4_S4_S4_S4_21rocsparse_index_base_PKT2_PKT3_PKS4_S5_PS6_PS9_PS4_
    .private_segment_fixed_size: 0
    .sgpr_count:     32
    .sgpr_spill_count: 0
    .symbol:         _ZN9rocsparseL42csr2bsr_wavefront_per_row_multipass_kernelILj256ELj64ELj8E21rocsparse_complex_numIfEliEEv20rocsparse_direction_T4_S4_S4_S4_S4_21rocsparse_index_base_PKT2_PKT3_PKS4_S5_PS6_PS9_PS4_.kd
    .uniform_work_group_size: 1
    .uses_dynamic_stack: false
    .vgpr_count:     34
    .vgpr_spill_count: 0
    .wavefront_size: 64
  - .agpr_count:     0
    .args:
      - .offset:         0
        .size:           4
        .value_kind:     by_value
      - .offset:         4
        .size:           4
        .value_kind:     by_value
      - .offset:         8
        .size:           4
        .value_kind:     by_value
      - .offset:         12
        .size:           4
        .value_kind:     by_value
      - .offset:         16
        .size:           4
        .value_kind:     by_value
      - .offset:         20
        .size:           4
        .value_kind:     by_value
      - .offset:         24
        .size:           4
        .value_kind:     by_value
      - .actual_access:  read_only
        .address_space:  global
        .offset:         32
        .size:           8
        .value_kind:     global_buffer
      - .actual_access:  read_only
        .address_space:  global
        .offset:         40
        .size:           8
        .value_kind:     global_buffer
      - .actual_access:  read_only
        .address_space:  global
        .offset:         48
        .size:           8
        .value_kind:     global_buffer
      - .offset:         56
        .size:           4
        .value_kind:     by_value
      - .actual_access:  write_only
        .address_space:  global
        .offset:         64
        .size:           8
        .value_kind:     global_buffer
      - .actual_access:  read_only
        .address_space:  global
        .offset:         72
        .size:           8
        .value_kind:     global_buffer
      - .actual_access:  write_only
        .address_space:  global
        .offset:         80
        .size:           8
        .value_kind:     global_buffer
    .group_segment_fixed_size: 4104
    .kernarg_segment_align: 8
    .kernarg_segment_size: 88
    .language:       OpenCL C
    .language_version:
      - 2
      - 0
    .max_flat_workgroup_size: 256
    .name:           _ZN9rocsparseL42csr2bsr_wavefront_per_row_multipass_kernelILj256ELj32ELj8E21rocsparse_complex_numIfEliEEv20rocsparse_direction_T4_S4_S4_S4_S4_21rocsparse_index_base_PKT2_PKT3_PKS4_S5_PS6_PS9_PS4_
    .private_segment_fixed_size: 0
    .sgpr_count:     36
    .sgpr_spill_count: 0
    .symbol:         _ZN9rocsparseL42csr2bsr_wavefront_per_row_multipass_kernelILj256ELj32ELj8E21rocsparse_complex_numIfEliEEv20rocsparse_direction_T4_S4_S4_S4_S4_21rocsparse_index_base_PKT2_PKT3_PKS4_S5_PS6_PS9_PS4_.kd
    .uniform_work_group_size: 1
    .uses_dynamic_stack: false
    .vgpr_count:     41
    .vgpr_spill_count: 0
    .wavefront_size: 64
  - .agpr_count:     0
    .args:
      - .offset:         0
        .size:           4
        .value_kind:     by_value
      - .offset:         4
        .size:           4
        .value_kind:     by_value
      - .offset:         8
        .size:           4
        .value_kind:     by_value
      - .offset:         12
        .size:           4
        .value_kind:     by_value
      - .offset:         16
        .size:           4
        .value_kind:     by_value
      - .offset:         20
        .size:           4
        .value_kind:     by_value
      - .offset:         24
        .size:           4
        .value_kind:     by_value
      - .actual_access:  read_only
        .address_space:  global
        .offset:         32
        .size:           8
        .value_kind:     global_buffer
      - .actual_access:  read_only
        .address_space:  global
        .offset:         40
        .size:           8
        .value_kind:     global_buffer
      - .actual_access:  read_only
        .address_space:  global
        .offset:         48
        .size:           8
        .value_kind:     global_buffer
      - .offset:         56
        .size:           4
        .value_kind:     by_value
      - .actual_access:  write_only
        .address_space:  global
        .offset:         64
        .size:           8
        .value_kind:     global_buffer
      - .actual_access:  read_only
        .address_space:  global
        .offset:         72
        .size:           8
        .value_kind:     global_buffer
      - .actual_access:  write_only
        .address_space:  global
        .offset:         80
        .size:           8
        .value_kind:     global_buffer
    .group_segment_fixed_size: 8196
    .kernarg_segment_align: 8
    .kernarg_segment_size: 88
    .language:       OpenCL C
    .language_version:
      - 2
      - 0
    .max_flat_workgroup_size: 256
    .name:           _ZN9rocsparseL42csr2bsr_wavefront_per_row_multipass_kernelILj256ELj64ELj16E21rocsparse_complex_numIfEliEEv20rocsparse_direction_T4_S4_S4_S4_S4_21rocsparse_index_base_PKT2_PKT3_PKS4_S5_PS6_PS9_PS4_
    .private_segment_fixed_size: 0
    .sgpr_count:     44
    .sgpr_spill_count: 0
    .symbol:         _ZN9rocsparseL42csr2bsr_wavefront_per_row_multipass_kernelILj256ELj64ELj16E21rocsparse_complex_numIfEliEEv20rocsparse_direction_T4_S4_S4_S4_S4_21rocsparse_index_base_PKT2_PKT3_PKS4_S5_PS6_PS9_PS4_.kd
    .uniform_work_group_size: 1
    .uses_dynamic_stack: false
    .vgpr_count:     45
    .vgpr_spill_count: 0
    .wavefront_size: 64
  - .agpr_count:     0
    .args:
      - .offset:         0
        .size:           4
        .value_kind:     by_value
      - .offset:         4
        .size:           4
        .value_kind:     by_value
      - .offset:         8
        .size:           4
        .value_kind:     by_value
      - .offset:         12
        .size:           4
        .value_kind:     by_value
      - .offset:         16
        .size:           4
        .value_kind:     by_value
      - .offset:         20
        .size:           4
        .value_kind:     by_value
      - .offset:         24
        .size:           4
        .value_kind:     by_value
      - .actual_access:  read_only
        .address_space:  global
        .offset:         32
        .size:           8
        .value_kind:     global_buffer
      - .actual_access:  read_only
        .address_space:  global
        .offset:         40
        .size:           8
        .value_kind:     global_buffer
      - .actual_access:  read_only
        .address_space:  global
        .offset:         48
        .size:           8
        .value_kind:     global_buffer
      - .offset:         56
        .size:           4
        .value_kind:     by_value
      - .actual_access:  write_only
        .address_space:  global
        .offset:         64
        .size:           8
        .value_kind:     global_buffer
      - .actual_access:  read_only
        .address_space:  global
        .offset:         72
        .size:           8
        .value_kind:     global_buffer
      - .actual_access:  write_only
        .address_space:  global
        .offset:         80
        .size:           8
        .value_kind:     global_buffer
    .group_segment_fixed_size: 16392
    .kernarg_segment_align: 8
    .kernarg_segment_size: 88
    .language:       OpenCL C
    .language_version:
      - 2
      - 0
    .max_flat_workgroup_size: 256
    .name:           _ZN9rocsparseL42csr2bsr_wavefront_per_row_multipass_kernelILj256ELj32ELj16E21rocsparse_complex_numIfEliEEv20rocsparse_direction_T4_S4_S4_S4_S4_21rocsparse_index_base_PKT2_PKT3_PKS4_S5_PS6_PS9_PS4_
    .private_segment_fixed_size: 0
    .sgpr_count:     56
    .sgpr_spill_count: 0
    .symbol:         _ZN9rocsparseL42csr2bsr_wavefront_per_row_multipass_kernelILj256ELj32ELj16E21rocsparse_complex_numIfEliEEv20rocsparse_direction_T4_S4_S4_S4_S4_21rocsparse_index_base_PKT2_PKT3_PKS4_S5_PS6_PS9_PS4_.kd
    .uniform_work_group_size: 1
    .uses_dynamic_stack: false
    .vgpr_count:     54
    .vgpr_spill_count: 0
    .wavefront_size: 64
  - .agpr_count:     0
    .args:
      - .offset:         0
        .size:           4
        .value_kind:     by_value
      - .offset:         4
        .size:           4
        .value_kind:     by_value
      - .offset:         8
        .size:           4
        .value_kind:     by_value
      - .offset:         12
        .size:           4
        .value_kind:     by_value
      - .offset:         16
        .size:           4
        .value_kind:     by_value
      - .offset:         20
        .size:           4
        .value_kind:     by_value
      - .offset:         24
        .size:           4
        .value_kind:     by_value
      - .actual_access:  read_only
        .address_space:  global
        .offset:         32
        .size:           8
        .value_kind:     global_buffer
      - .actual_access:  read_only
        .address_space:  global
        .offset:         40
        .size:           8
        .value_kind:     global_buffer
      - .actual_access:  read_only
        .address_space:  global
        .offset:         48
        .size:           8
        .value_kind:     global_buffer
      - .offset:         56
        .size:           4
        .value_kind:     by_value
      - .actual_access:  write_only
        .address_space:  global
        .offset:         64
        .size:           8
        .value_kind:     global_buffer
      - .actual_access:  read_only
        .address_space:  global
        .offset:         72
        .size:           8
        .value_kind:     global_buffer
      - .actual_access:  write_only
        .address_space:  global
        .offset:         80
        .size:           8
        .value_kind:     global_buffer
    .group_segment_fixed_size: 8196
    .kernarg_segment_align: 8
    .kernarg_segment_size: 88
    .language:       OpenCL C
    .language_version:
      - 2
      - 0
    .max_flat_workgroup_size: 256
    .name:           _ZN9rocsparseL38csr2bsr_block_per_row_multipass_kernelILj256ELj32E21rocsparse_complex_numIfEliEEv20rocsparse_direction_T3_S4_S4_S4_S4_21rocsparse_index_base_PKT1_PKT2_PKS4_S5_PS6_PS9_PS4_
    .private_segment_fixed_size: 0
    .sgpr_count:     62
    .sgpr_spill_count: 0
    .symbol:         _ZN9rocsparseL38csr2bsr_block_per_row_multipass_kernelILj256ELj32E21rocsparse_complex_numIfEliEEv20rocsparse_direction_T3_S4_S4_S4_S4_21rocsparse_index_base_PKT1_PKT2_PKS4_S5_PS6_PS9_PS4_.kd
    .uniform_work_group_size: 1
    .uses_dynamic_stack: false
    .vgpr_count:     41
    .vgpr_spill_count: 0
    .wavefront_size: 64
  - .agpr_count:     0
    .args:
      - .offset:         0
        .size:           4
        .value_kind:     by_value
      - .offset:         4
        .size:           4
        .value_kind:     by_value
      - .offset:         8
        .size:           4
        .value_kind:     by_value
      - .offset:         12
        .size:           4
        .value_kind:     by_value
      - .offset:         16
        .size:           4
        .value_kind:     by_value
      - .offset:         20
        .size:           4
        .value_kind:     by_value
      - .offset:         24
        .size:           4
        .value_kind:     by_value
      - .actual_access:  read_only
        .address_space:  global
        .offset:         32
        .size:           8
        .value_kind:     global_buffer
      - .actual_access:  read_only
        .address_space:  global
        .offset:         40
        .size:           8
        .value_kind:     global_buffer
      - .actual_access:  read_only
        .address_space:  global
        .offset:         48
        .size:           8
        .value_kind:     global_buffer
      - .offset:         56
        .size:           4
        .value_kind:     by_value
      - .actual_access:  write_only
        .address_space:  global
        .offset:         64
        .size:           8
        .value_kind:     global_buffer
      - .actual_access:  read_only
        .address_space:  global
        .offset:         72
        .size:           8
        .value_kind:     global_buffer
      - .actual_access:  write_only
        .address_space:  global
        .offset:         80
        .size:           8
        .value_kind:     global_buffer
    .group_segment_fixed_size: 32772
    .kernarg_segment_align: 8
    .kernarg_segment_size: 88
    .language:       OpenCL C
    .language_version:
      - 2
      - 0
    .max_flat_workgroup_size: 256
    .name:           _ZN9rocsparseL38csr2bsr_block_per_row_multipass_kernelILj256ELj64E21rocsparse_complex_numIfEliEEv20rocsparse_direction_T3_S4_S4_S4_S4_21rocsparse_index_base_PKT1_PKT2_PKS4_S5_PS6_PS9_PS4_
    .private_segment_fixed_size: 0
    .sgpr_count:     105
    .sgpr_spill_count: 0
    .symbol:         _ZN9rocsparseL38csr2bsr_block_per_row_multipass_kernelILj256ELj64E21rocsparse_complex_numIfEliEEv20rocsparse_direction_T3_S4_S4_S4_S4_21rocsparse_index_base_PKT1_PKT2_PKS4_S5_PS6_PS9_PS4_.kd
    .uniform_work_group_size: 1
    .uses_dynamic_stack: false
    .vgpr_count:     65
    .vgpr_spill_count: 0
    .wavefront_size: 64
  - .agpr_count:     0
    .args:
      - .offset:         0
        .size:           4
        .value_kind:     by_value
      - .offset:         4
        .size:           4
        .value_kind:     by_value
      - .offset:         8
        .size:           4
        .value_kind:     by_value
      - .offset:         12
        .size:           4
        .value_kind:     by_value
      - .offset:         16
        .size:           4
        .value_kind:     by_value
      - .offset:         20
        .size:           4
        .value_kind:     by_value
      - .offset:         24
        .size:           4
        .value_kind:     by_value
      - .offset:         28
        .size:           4
        .value_kind:     by_value
      - .actual_access:  read_only
        .address_space:  global
        .offset:         32
        .size:           8
        .value_kind:     global_buffer
      - .actual_access:  read_only
        .address_space:  global
        .offset:         40
        .size:           8
        .value_kind:     global_buffer
      - .actual_access:  read_only
        .address_space:  global
        .offset:         48
        .size:           8
        .value_kind:     global_buffer
      - .offset:         56
        .size:           4
        .value_kind:     by_value
      - .actual_access:  write_only
        .address_space:  global
        .offset:         64
        .size:           8
        .value_kind:     global_buffer
      - .actual_access:  read_only
        .address_space:  global
        .offset:         72
        .size:           8
        .value_kind:     global_buffer
      - .actual_access:  write_only
        .address_space:  global
        .offset:         80
        .size:           8
        .value_kind:     global_buffer
      - .address_space:  global
        .offset:         88
        .size:           8
        .value_kind:     global_buffer
      - .address_space:  global
        .offset:         96
        .size:           8
        .value_kind:     global_buffer
      - .address_space:  global
        .offset:         104
        .size:           8
        .value_kind:     global_buffer
    .group_segment_fixed_size: 0
    .kernarg_segment_align: 8
    .kernarg_segment_size: 112
    .language:       OpenCL C
    .language_version:
      - 2
      - 0
    .max_flat_workgroup_size: 32
    .name:           _ZN9rocsparseL21csr2bsr_65_inf_kernelILj32E21rocsparse_complex_numIfEliEEv20rocsparse_direction_T2_S4_S4_S4_S4_S4_21rocsparse_index_base_PKT0_PKT1_PKS4_S5_PS6_PS9_PS4_SF_SG_SE_
    .private_segment_fixed_size: 0
    .sgpr_count:     52
    .sgpr_spill_count: 0
    .symbol:         _ZN9rocsparseL21csr2bsr_65_inf_kernelILj32E21rocsparse_complex_numIfEliEEv20rocsparse_direction_T2_S4_S4_S4_S4_S4_21rocsparse_index_base_PKT0_PKT1_PKS4_S5_PS6_PS9_PS4_SF_SG_SE_.kd
    .uniform_work_group_size: 1
    .uses_dynamic_stack: false
    .vgpr_count:     36
    .vgpr_spill_count: 0
    .wavefront_size: 64
  - .agpr_count:     0
    .args:
      - .offset:         0
        .size:           8
        .value_kind:     by_value
      - .offset:         8
        .size:           8
        .value_kind:     by_value
      - .offset:         16
        .size:           8
        .value_kind:     by_value
      - .offset:         24
        .size:           8
        .value_kind:     by_value
      - .offset:         32
        .size:           4
        .value_kind:     by_value
      - .address_space:  global
        .offset:         40
        .size:           8
        .value_kind:     global_buffer
      - .address_space:  global
        .offset:         48
        .size:           8
        .value_kind:     global_buffer
      - .address_space:  global
        .offset:         56
        .size:           8
        .value_kind:     global_buffer
      - .offset:         64
        .size:           4
        .value_kind:     by_value
      - .address_space:  global
        .offset:         72
        .size:           8
        .value_kind:     global_buffer
      - .address_space:  global
        .offset:         80
        .size:           8
        .value_kind:     global_buffer
      - .address_space:  global
        .offset:         88
        .size:           8
        .value_kind:     global_buffer
      - .offset:         96
        .size:           4
        .value_kind:     hidden_block_count_x
      - .offset:         100
        .size:           4
        .value_kind:     hidden_block_count_y
      - .offset:         104
        .size:           4
        .value_kind:     hidden_block_count_z
      - .offset:         108
        .size:           2
        .value_kind:     hidden_group_size_x
      - .offset:         110
        .size:           2
        .value_kind:     hidden_group_size_y
      - .offset:         112
        .size:           2
        .value_kind:     hidden_group_size_z
      - .offset:         114
        .size:           2
        .value_kind:     hidden_remainder_x
      - .offset:         116
        .size:           2
        .value_kind:     hidden_remainder_y
      - .offset:         118
        .size:           2
        .value_kind:     hidden_remainder_z
      - .offset:         136
        .size:           8
        .value_kind:     hidden_global_offset_x
      - .offset:         144
        .size:           8
        .value_kind:     hidden_global_offset_y
      - .offset:         152
        .size:           8
        .value_kind:     hidden_global_offset_z
      - .offset:         160
        .size:           2
        .value_kind:     hidden_grid_dims
    .group_segment_fixed_size: 0
    .kernarg_segment_align: 8
    .kernarg_segment_size: 352
    .language:       OpenCL C
    .language_version:
      - 2
      - 0
    .max_flat_workgroup_size: 256
    .name:           _ZN9rocsparseL35csr2bsr_block_dim_equals_one_kernelILj256E21rocsparse_complex_numIfEilEEvT2_S3_S3_S3_21rocsparse_index_base_PKT0_PKT1_PKS3_S4_PS5_PS8_PS3_
    .private_segment_fixed_size: 0
    .sgpr_count:     20
    .sgpr_spill_count: 0
    .symbol:         _ZN9rocsparseL35csr2bsr_block_dim_equals_one_kernelILj256E21rocsparse_complex_numIfEilEEvT2_S3_S3_S3_21rocsparse_index_base_PKT0_PKT1_PKS3_S4_PS5_PS8_PS3_.kd
    .uniform_work_group_size: 1
    .uses_dynamic_stack: false
    .vgpr_count:     8
    .vgpr_spill_count: 0
    .wavefront_size: 64
  - .agpr_count:     0
    .args:
      - .offset:         0
        .size:           4
        .value_kind:     by_value
      - .offset:         8
        .size:           8
        .value_kind:     by_value
      - .offset:         16
        .size:           8
        .value_kind:     by_value
      - .offset:         24
        .size:           8
        .value_kind:     by_value
      - .offset:         32
        .size:           8
        .value_kind:     by_value
      - .offset:         40
        .size:           8
        .value_kind:     by_value
      - .offset:         48
        .size:           4
        .value_kind:     by_value
      - .actual_access:  read_only
        .address_space:  global
        .offset:         56
        .size:           8
        .value_kind:     global_buffer
      - .actual_access:  read_only
        .address_space:  global
        .offset:         64
        .size:           8
        .value_kind:     global_buffer
      - .actual_access:  read_only
        .address_space:  global
        .offset:         72
        .size:           8
        .value_kind:     global_buffer
      - .offset:         80
        .size:           4
        .value_kind:     by_value
      - .actual_access:  write_only
        .address_space:  global
        .offset:         88
        .size:           8
        .value_kind:     global_buffer
      - .actual_access:  read_only
        .address_space:  global
        .offset:         96
        .size:           8
        .value_kind:     global_buffer
      - .actual_access:  write_only
        .address_space:  global
        .offset:         104
        .size:           8
        .value_kind:     global_buffer
    .group_segment_fixed_size: 2064
    .kernarg_segment_align: 8
    .kernarg_segment_size: 112
    .language:       OpenCL C
    .language_version:
      - 2
      - 0
    .max_flat_workgroup_size: 256
    .name:           _ZN9rocsparseL42csr2bsr_wavefront_per_row_multipass_kernelILj256ELj16ELj4E21rocsparse_complex_numIfEilEEv20rocsparse_direction_T4_S4_S4_S4_S4_21rocsparse_index_base_PKT2_PKT3_PKS4_S5_PS6_PS9_PS4_
    .private_segment_fixed_size: 0
    .sgpr_count:     37
    .sgpr_spill_count: 0
    .symbol:         _ZN9rocsparseL42csr2bsr_wavefront_per_row_multipass_kernelILj256ELj16ELj4E21rocsparse_complex_numIfEilEEv20rocsparse_direction_T4_S4_S4_S4_S4_21rocsparse_index_base_PKT2_PKT3_PKS4_S5_PS6_PS9_PS4_.kd
    .uniform_work_group_size: 1
    .uses_dynamic_stack: false
    .vgpr_count:     35
    .vgpr_spill_count: 0
    .wavefront_size: 64
  - .agpr_count:     0
    .args:
      - .offset:         0
        .size:           4
        .value_kind:     by_value
      - .offset:         8
        .size:           8
        .value_kind:     by_value
      - .offset:         16
        .size:           8
        .value_kind:     by_value
      - .offset:         24
        .size:           8
        .value_kind:     by_value
      - .offset:         32
        .size:           8
        .value_kind:     by_value
      - .offset:         40
        .size:           8
        .value_kind:     by_value
      - .offset:         48
        .size:           4
        .value_kind:     by_value
      - .actual_access:  read_only
        .address_space:  global
        .offset:         56
        .size:           8
        .value_kind:     global_buffer
      - .actual_access:  read_only
        .address_space:  global
        .offset:         64
        .size:           8
        .value_kind:     global_buffer
      - .actual_access:  read_only
        .address_space:  global
        .offset:         72
        .size:           8
        .value_kind:     global_buffer
      - .offset:         80
        .size:           4
        .value_kind:     by_value
      - .actual_access:  write_only
        .address_space:  global
        .offset:         88
        .size:           8
        .value_kind:     global_buffer
      - .actual_access:  read_only
        .address_space:  global
        .offset:         96
        .size:           8
        .value_kind:     global_buffer
      - .actual_access:  write_only
        .address_space:  global
        .offset:         104
        .size:           8
        .value_kind:     global_buffer
    .group_segment_fixed_size: 2052
    .kernarg_segment_align: 8
    .kernarg_segment_size: 112
    .language:       OpenCL C
    .language_version:
      - 2
      - 0
    .max_flat_workgroup_size: 256
    .name:           _ZN9rocsparseL42csr2bsr_wavefront_per_row_multipass_kernelILj256ELj64ELj8E21rocsparse_complex_numIfEilEEv20rocsparse_direction_T4_S4_S4_S4_S4_21rocsparse_index_base_PKT2_PKT3_PKS4_S5_PS6_PS9_PS4_
    .private_segment_fixed_size: 0
    .sgpr_count:     37
    .sgpr_spill_count: 0
    .symbol:         _ZN9rocsparseL42csr2bsr_wavefront_per_row_multipass_kernelILj256ELj64ELj8E21rocsparse_complex_numIfEilEEv20rocsparse_direction_T4_S4_S4_S4_S4_21rocsparse_index_base_PKT2_PKT3_PKS4_S5_PS6_PS9_PS4_.kd
    .uniform_work_group_size: 1
    .uses_dynamic_stack: false
    .vgpr_count:     35
    .vgpr_spill_count: 0
    .wavefront_size: 64
  - .agpr_count:     0
    .args:
      - .offset:         0
        .size:           4
        .value_kind:     by_value
      - .offset:         8
        .size:           8
        .value_kind:     by_value
      - .offset:         16
        .size:           8
        .value_kind:     by_value
      - .offset:         24
        .size:           8
        .value_kind:     by_value
      - .offset:         32
        .size:           8
        .value_kind:     by_value
      - .offset:         40
        .size:           8
        .value_kind:     by_value
      - .offset:         48
        .size:           4
        .value_kind:     by_value
      - .actual_access:  read_only
        .address_space:  global
        .offset:         56
        .size:           8
        .value_kind:     global_buffer
      - .actual_access:  read_only
        .address_space:  global
        .offset:         64
        .size:           8
        .value_kind:     global_buffer
      - .actual_access:  read_only
        .address_space:  global
        .offset:         72
        .size:           8
        .value_kind:     global_buffer
      - .offset:         80
        .size:           4
        .value_kind:     by_value
      - .actual_access:  write_only
        .address_space:  global
        .offset:         88
        .size:           8
        .value_kind:     global_buffer
      - .actual_access:  read_only
        .address_space:  global
        .offset:         96
        .size:           8
        .value_kind:     global_buffer
      - .actual_access:  write_only
        .address_space:  global
        .offset:         104
        .size:           8
        .value_kind:     global_buffer
    .group_segment_fixed_size: 4104
    .kernarg_segment_align: 8
    .kernarg_segment_size: 112
    .language:       OpenCL C
    .language_version:
      - 2
      - 0
    .max_flat_workgroup_size: 256
    .name:           _ZN9rocsparseL42csr2bsr_wavefront_per_row_multipass_kernelILj256ELj32ELj8E21rocsparse_complex_numIfEilEEv20rocsparse_direction_T4_S4_S4_S4_S4_21rocsparse_index_base_PKT2_PKT3_PKS4_S5_PS6_PS9_PS4_
    .private_segment_fixed_size: 0
    .sgpr_count:     42
    .sgpr_spill_count: 0
    .symbol:         _ZN9rocsparseL42csr2bsr_wavefront_per_row_multipass_kernelILj256ELj32ELj8E21rocsparse_complex_numIfEilEEv20rocsparse_direction_T4_S4_S4_S4_S4_21rocsparse_index_base_PKT2_PKT3_PKS4_S5_PS6_PS9_PS4_.kd
    .uniform_work_group_size: 1
    .uses_dynamic_stack: false
    .vgpr_count:     41
    .vgpr_spill_count: 0
    .wavefront_size: 64
  - .agpr_count:     0
    .args:
      - .offset:         0
        .size:           4
        .value_kind:     by_value
      - .offset:         8
        .size:           8
        .value_kind:     by_value
      - .offset:         16
        .size:           8
        .value_kind:     by_value
      - .offset:         24
        .size:           8
        .value_kind:     by_value
      - .offset:         32
        .size:           8
        .value_kind:     by_value
      - .offset:         40
        .size:           8
        .value_kind:     by_value
      - .offset:         48
        .size:           4
        .value_kind:     by_value
      - .actual_access:  read_only
        .address_space:  global
        .offset:         56
        .size:           8
        .value_kind:     global_buffer
      - .actual_access:  read_only
        .address_space:  global
        .offset:         64
        .size:           8
        .value_kind:     global_buffer
      - .actual_access:  read_only
        .address_space:  global
        .offset:         72
        .size:           8
        .value_kind:     global_buffer
      - .offset:         80
        .size:           4
        .value_kind:     by_value
      - .actual_access:  write_only
        .address_space:  global
        .offset:         88
        .size:           8
        .value_kind:     global_buffer
      - .actual_access:  read_only
        .address_space:  global
        .offset:         96
        .size:           8
        .value_kind:     global_buffer
      - .actual_access:  write_only
        .address_space:  global
        .offset:         104
        .size:           8
        .value_kind:     global_buffer
    .group_segment_fixed_size: 8196
    .kernarg_segment_align: 8
    .kernarg_segment_size: 112
    .language:       OpenCL C
    .language_version:
      - 2
      - 0
    .max_flat_workgroup_size: 256
    .name:           _ZN9rocsparseL42csr2bsr_wavefront_per_row_multipass_kernelILj256ELj64ELj16E21rocsparse_complex_numIfEilEEv20rocsparse_direction_T4_S4_S4_S4_S4_21rocsparse_index_base_PKT2_PKT3_PKS4_S5_PS6_PS9_PS4_
    .private_segment_fixed_size: 0
    .sgpr_count:     48
    .sgpr_spill_count: 0
    .symbol:         _ZN9rocsparseL42csr2bsr_wavefront_per_row_multipass_kernelILj256ELj64ELj16E21rocsparse_complex_numIfEilEEv20rocsparse_direction_T4_S4_S4_S4_S4_21rocsparse_index_base_PKT2_PKT3_PKS4_S5_PS6_PS9_PS4_.kd
    .uniform_work_group_size: 1
    .uses_dynamic_stack: false
    .vgpr_count:     45
    .vgpr_spill_count: 0
    .wavefront_size: 64
  - .agpr_count:     0
    .args:
      - .offset:         0
        .size:           4
        .value_kind:     by_value
      - .offset:         8
        .size:           8
        .value_kind:     by_value
      - .offset:         16
        .size:           8
        .value_kind:     by_value
      - .offset:         24
        .size:           8
        .value_kind:     by_value
      - .offset:         32
        .size:           8
        .value_kind:     by_value
      - .offset:         40
        .size:           8
        .value_kind:     by_value
      - .offset:         48
        .size:           4
        .value_kind:     by_value
      - .actual_access:  read_only
        .address_space:  global
        .offset:         56
        .size:           8
        .value_kind:     global_buffer
      - .actual_access:  read_only
        .address_space:  global
        .offset:         64
        .size:           8
        .value_kind:     global_buffer
      - .actual_access:  read_only
        .address_space:  global
        .offset:         72
        .size:           8
        .value_kind:     global_buffer
      - .offset:         80
        .size:           4
        .value_kind:     by_value
      - .actual_access:  write_only
        .address_space:  global
        .offset:         88
        .size:           8
        .value_kind:     global_buffer
      - .actual_access:  read_only
        .address_space:  global
        .offset:         96
        .size:           8
        .value_kind:     global_buffer
      - .actual_access:  write_only
        .address_space:  global
        .offset:         104
        .size:           8
        .value_kind:     global_buffer
    .group_segment_fixed_size: 16392
    .kernarg_segment_align: 8
    .kernarg_segment_size: 112
    .language:       OpenCL C
    .language_version:
      - 2
      - 0
    .max_flat_workgroup_size: 256
    .name:           _ZN9rocsparseL42csr2bsr_wavefront_per_row_multipass_kernelILj256ELj32ELj16E21rocsparse_complex_numIfEilEEv20rocsparse_direction_T4_S4_S4_S4_S4_21rocsparse_index_base_PKT2_PKT3_PKS4_S5_PS6_PS9_PS4_
    .private_segment_fixed_size: 0
    .sgpr_count:     60
    .sgpr_spill_count: 0
    .symbol:         _ZN9rocsparseL42csr2bsr_wavefront_per_row_multipass_kernelILj256ELj32ELj16E21rocsparse_complex_numIfEilEEv20rocsparse_direction_T4_S4_S4_S4_S4_21rocsparse_index_base_PKT2_PKT3_PKS4_S5_PS6_PS9_PS4_.kd
    .uniform_work_group_size: 1
    .uses_dynamic_stack: false
    .vgpr_count:     53
    .vgpr_spill_count: 0
    .wavefront_size: 64
  - .agpr_count:     0
    .args:
      - .offset:         0
        .size:           4
        .value_kind:     by_value
      - .offset:         8
        .size:           8
        .value_kind:     by_value
      - .offset:         16
        .size:           8
        .value_kind:     by_value
      - .offset:         24
        .size:           8
        .value_kind:     by_value
      - .offset:         32
        .size:           8
        .value_kind:     by_value
      - .offset:         40
        .size:           8
        .value_kind:     by_value
      - .offset:         48
        .size:           4
        .value_kind:     by_value
      - .actual_access:  read_only
        .address_space:  global
        .offset:         56
        .size:           8
        .value_kind:     global_buffer
      - .actual_access:  read_only
        .address_space:  global
        .offset:         64
        .size:           8
        .value_kind:     global_buffer
      - .actual_access:  read_only
        .address_space:  global
        .offset:         72
        .size:           8
        .value_kind:     global_buffer
      - .offset:         80
        .size:           4
        .value_kind:     by_value
      - .actual_access:  write_only
        .address_space:  global
        .offset:         88
        .size:           8
        .value_kind:     global_buffer
      - .actual_access:  read_only
        .address_space:  global
        .offset:         96
        .size:           8
        .value_kind:     global_buffer
      - .actual_access:  write_only
        .address_space:  global
        .offset:         104
        .size:           8
        .value_kind:     global_buffer
    .group_segment_fixed_size: 8196
    .kernarg_segment_align: 8
    .kernarg_segment_size: 112
    .language:       OpenCL C
    .language_version:
      - 2
      - 0
    .max_flat_workgroup_size: 256
    .name:           _ZN9rocsparseL38csr2bsr_block_per_row_multipass_kernelILj256ELj32E21rocsparse_complex_numIfEilEEv20rocsparse_direction_T3_S4_S4_S4_S4_21rocsparse_index_base_PKT1_PKT2_PKS4_S5_PS6_PS9_PS4_
    .private_segment_fixed_size: 0
    .sgpr_count:     68
    .sgpr_spill_count: 0
    .symbol:         _ZN9rocsparseL38csr2bsr_block_per_row_multipass_kernelILj256ELj32E21rocsparse_complex_numIfEilEEv20rocsparse_direction_T3_S4_S4_S4_S4_21rocsparse_index_base_PKT1_PKT2_PKS4_S5_PS6_PS9_PS4_.kd
    .uniform_work_group_size: 1
    .uses_dynamic_stack: false
    .vgpr_count:     40
    .vgpr_spill_count: 0
    .wavefront_size: 64
  - .agpr_count:     0
    .args:
      - .offset:         0
        .size:           4
        .value_kind:     by_value
      - .offset:         8
        .size:           8
        .value_kind:     by_value
      - .offset:         16
        .size:           8
        .value_kind:     by_value
      - .offset:         24
        .size:           8
        .value_kind:     by_value
      - .offset:         32
        .size:           8
        .value_kind:     by_value
      - .offset:         40
        .size:           8
        .value_kind:     by_value
      - .offset:         48
        .size:           4
        .value_kind:     by_value
      - .actual_access:  read_only
        .address_space:  global
        .offset:         56
        .size:           8
        .value_kind:     global_buffer
      - .actual_access:  read_only
        .address_space:  global
        .offset:         64
        .size:           8
        .value_kind:     global_buffer
      - .actual_access:  read_only
        .address_space:  global
        .offset:         72
        .size:           8
        .value_kind:     global_buffer
      - .offset:         80
        .size:           4
        .value_kind:     by_value
      - .actual_access:  write_only
        .address_space:  global
        .offset:         88
        .size:           8
        .value_kind:     global_buffer
      - .actual_access:  read_only
        .address_space:  global
        .offset:         96
        .size:           8
        .value_kind:     global_buffer
      - .actual_access:  write_only
        .address_space:  global
        .offset:         104
        .size:           8
        .value_kind:     global_buffer
    .group_segment_fixed_size: 32772
    .kernarg_segment_align: 8
    .kernarg_segment_size: 112
    .language:       OpenCL C
    .language_version:
      - 2
      - 0
    .max_flat_workgroup_size: 256
    .name:           _ZN9rocsparseL38csr2bsr_block_per_row_multipass_kernelILj256ELj64E21rocsparse_complex_numIfEilEEv20rocsparse_direction_T3_S4_S4_S4_S4_21rocsparse_index_base_PKT1_PKT2_PKS4_S5_PS6_PS9_PS4_
    .private_segment_fixed_size: 0
    .sgpr_count:     106
    .sgpr_spill_count: 0
    .symbol:         _ZN9rocsparseL38csr2bsr_block_per_row_multipass_kernelILj256ELj64E21rocsparse_complex_numIfEilEEv20rocsparse_direction_T3_S4_S4_S4_S4_21rocsparse_index_base_PKT1_PKT2_PKS4_S5_PS6_PS9_PS4_.kd
    .uniform_work_group_size: 1
    .uses_dynamic_stack: false
    .vgpr_count:     67
    .vgpr_spill_count: 0
    .wavefront_size: 64
  - .agpr_count:     0
    .args:
      - .offset:         0
        .size:           4
        .value_kind:     by_value
      - .offset:         8
        .size:           8
        .value_kind:     by_value
      - .offset:         16
        .size:           8
        .value_kind:     by_value
      - .offset:         24
        .size:           8
        .value_kind:     by_value
      - .offset:         32
        .size:           8
        .value_kind:     by_value
      - .offset:         40
        .size:           8
        .value_kind:     by_value
      - .offset:         48
        .size:           8
        .value_kind:     by_value
      - .offset:         56
        .size:           4
        .value_kind:     by_value
      - .actual_access:  read_only
        .address_space:  global
        .offset:         64
        .size:           8
        .value_kind:     global_buffer
      - .actual_access:  read_only
        .address_space:  global
        .offset:         72
        .size:           8
        .value_kind:     global_buffer
      - .actual_access:  read_only
        .address_space:  global
        .offset:         80
        .size:           8
        .value_kind:     global_buffer
      - .offset:         88
        .size:           4
        .value_kind:     by_value
      - .actual_access:  write_only
        .address_space:  global
        .offset:         96
        .size:           8
        .value_kind:     global_buffer
      - .actual_access:  read_only
        .address_space:  global
        .offset:         104
        .size:           8
        .value_kind:     global_buffer
      - .actual_access:  write_only
        .address_space:  global
        .offset:         112
        .size:           8
        .value_kind:     global_buffer
      - .address_space:  global
        .offset:         120
        .size:           8
        .value_kind:     global_buffer
      - .address_space:  global
        .offset:         128
        .size:           8
        .value_kind:     global_buffer
      - .address_space:  global
        .offset:         136
        .size:           8
        .value_kind:     global_buffer
    .group_segment_fixed_size: 0
    .kernarg_segment_align: 8
    .kernarg_segment_size: 144
    .language:       OpenCL C
    .language_version:
      - 2
      - 0
    .max_flat_workgroup_size: 32
    .name:           _ZN9rocsparseL21csr2bsr_65_inf_kernelILj32E21rocsparse_complex_numIfEilEEv20rocsparse_direction_T2_S4_S4_S4_S4_S4_21rocsparse_index_base_PKT0_PKT1_PKS4_S5_PS6_PS9_PS4_SF_SG_SE_
    .private_segment_fixed_size: 0
    .sgpr_count:     56
    .sgpr_spill_count: 0
    .symbol:         _ZN9rocsparseL21csr2bsr_65_inf_kernelILj32E21rocsparse_complex_numIfEilEEv20rocsparse_direction_T2_S4_S4_S4_S4_S4_21rocsparse_index_base_PKT0_PKT1_PKS4_S5_PS6_PS9_PS4_SF_SG_SE_.kd
    .uniform_work_group_size: 1
    .uses_dynamic_stack: false
    .vgpr_count:     42
    .vgpr_spill_count: 0
    .wavefront_size: 64
  - .agpr_count:     0
    .args:
      - .offset:         0
        .size:           8
        .value_kind:     by_value
      - .offset:         8
        .size:           8
        .value_kind:     by_value
      - .offset:         16
        .size:           8
        .value_kind:     by_value
      - .offset:         24
        .size:           8
        .value_kind:     by_value
      - .offset:         32
        .size:           4
        .value_kind:     by_value
      - .address_space:  global
        .offset:         40
        .size:           8
        .value_kind:     global_buffer
      - .address_space:  global
        .offset:         48
        .size:           8
        .value_kind:     global_buffer
      - .address_space:  global
        .offset:         56
        .size:           8
        .value_kind:     global_buffer
      - .offset:         64
        .size:           4
        .value_kind:     by_value
      - .address_space:  global
        .offset:         72
        .size:           8
        .value_kind:     global_buffer
      - .address_space:  global
        .offset:         80
        .size:           8
        .value_kind:     global_buffer
      - .address_space:  global
        .offset:         88
        .size:           8
        .value_kind:     global_buffer
      - .offset:         96
        .size:           4
        .value_kind:     hidden_block_count_x
      - .offset:         100
        .size:           4
        .value_kind:     hidden_block_count_y
      - .offset:         104
        .size:           4
        .value_kind:     hidden_block_count_z
      - .offset:         108
        .size:           2
        .value_kind:     hidden_group_size_x
      - .offset:         110
        .size:           2
        .value_kind:     hidden_group_size_y
      - .offset:         112
        .size:           2
        .value_kind:     hidden_group_size_z
      - .offset:         114
        .size:           2
        .value_kind:     hidden_remainder_x
      - .offset:         116
        .size:           2
        .value_kind:     hidden_remainder_y
      - .offset:         118
        .size:           2
        .value_kind:     hidden_remainder_z
      - .offset:         136
        .size:           8
        .value_kind:     hidden_global_offset_x
      - .offset:         144
        .size:           8
        .value_kind:     hidden_global_offset_y
      - .offset:         152
        .size:           8
        .value_kind:     hidden_global_offset_z
      - .offset:         160
        .size:           2
        .value_kind:     hidden_grid_dims
    .group_segment_fixed_size: 0
    .kernarg_segment_align: 8
    .kernarg_segment_size: 352
    .language:       OpenCL C
    .language_version:
      - 2
      - 0
    .max_flat_workgroup_size: 256
    .name:           _ZN9rocsparseL35csr2bsr_block_dim_equals_one_kernelILj256E21rocsparse_complex_numIfEllEEvT2_S3_S3_S3_21rocsparse_index_base_PKT0_PKT1_PKS3_S4_PS5_PS8_PS3_
    .private_segment_fixed_size: 0
    .sgpr_count:     24
    .sgpr_spill_count: 0
    .symbol:         _ZN9rocsparseL35csr2bsr_block_dim_equals_one_kernelILj256E21rocsparse_complex_numIfEllEEvT2_S3_S3_S3_21rocsparse_index_base_PKT0_PKT1_PKS3_S4_PS5_PS8_PS3_.kd
    .uniform_work_group_size: 1
    .uses_dynamic_stack: false
    .vgpr_count:     10
    .vgpr_spill_count: 0
    .wavefront_size: 64
  - .agpr_count:     0
    .args:
      - .offset:         0
        .size:           4
        .value_kind:     by_value
      - .offset:         8
        .size:           8
        .value_kind:     by_value
      - .offset:         16
        .size:           8
        .value_kind:     by_value
      - .offset:         24
        .size:           8
        .value_kind:     by_value
      - .offset:         32
        .size:           8
        .value_kind:     by_value
      - .offset:         40
        .size:           8
        .value_kind:     by_value
      - .offset:         48
        .size:           4
        .value_kind:     by_value
      - .actual_access:  read_only
        .address_space:  global
        .offset:         56
        .size:           8
        .value_kind:     global_buffer
      - .actual_access:  read_only
        .address_space:  global
        .offset:         64
        .size:           8
        .value_kind:     global_buffer
      - .actual_access:  read_only
        .address_space:  global
        .offset:         72
        .size:           8
        .value_kind:     global_buffer
      - .offset:         80
        .size:           4
        .value_kind:     by_value
      - .actual_access:  write_only
        .address_space:  global
        .offset:         88
        .size:           8
        .value_kind:     global_buffer
      - .actual_access:  read_only
        .address_space:  global
        .offset:         96
        .size:           8
        .value_kind:     global_buffer
      - .actual_access:  write_only
        .address_space:  global
        .offset:         104
        .size:           8
        .value_kind:     global_buffer
    .group_segment_fixed_size: 2064
    .kernarg_segment_align: 8
    .kernarg_segment_size: 112
    .language:       OpenCL C
    .language_version:
      - 2
      - 0
    .max_flat_workgroup_size: 256
    .name:           _ZN9rocsparseL42csr2bsr_wavefront_per_row_multipass_kernelILj256ELj16ELj4E21rocsparse_complex_numIfEllEEv20rocsparse_direction_T4_S4_S4_S4_S4_21rocsparse_index_base_PKT2_PKT3_PKS4_S5_PS6_PS9_PS4_
    .private_segment_fixed_size: 0
    .sgpr_count:     38
    .sgpr_spill_count: 0
    .symbol:         _ZN9rocsparseL42csr2bsr_wavefront_per_row_multipass_kernelILj256ELj16ELj4E21rocsparse_complex_numIfEllEEv20rocsparse_direction_T4_S4_S4_S4_S4_21rocsparse_index_base_PKT2_PKT3_PKS4_S5_PS6_PS9_PS4_.kd
    .uniform_work_group_size: 1
    .uses_dynamic_stack: false
    .vgpr_count:     42
    .vgpr_spill_count: 0
    .wavefront_size: 64
  - .agpr_count:     0
    .args:
      - .offset:         0
        .size:           4
        .value_kind:     by_value
      - .offset:         8
        .size:           8
        .value_kind:     by_value
      - .offset:         16
        .size:           8
        .value_kind:     by_value
      - .offset:         24
        .size:           8
        .value_kind:     by_value
      - .offset:         32
        .size:           8
        .value_kind:     by_value
      - .offset:         40
        .size:           8
        .value_kind:     by_value
      - .offset:         48
        .size:           4
        .value_kind:     by_value
      - .actual_access:  read_only
        .address_space:  global
        .offset:         56
        .size:           8
        .value_kind:     global_buffer
      - .actual_access:  read_only
        .address_space:  global
        .offset:         64
        .size:           8
        .value_kind:     global_buffer
      - .actual_access:  read_only
        .address_space:  global
        .offset:         72
        .size:           8
        .value_kind:     global_buffer
      - .offset:         80
        .size:           4
        .value_kind:     by_value
      - .actual_access:  write_only
        .address_space:  global
        .offset:         88
        .size:           8
        .value_kind:     global_buffer
      - .actual_access:  read_only
        .address_space:  global
        .offset:         96
        .size:           8
        .value_kind:     global_buffer
      - .actual_access:  write_only
        .address_space:  global
        .offset:         104
        .size:           8
        .value_kind:     global_buffer
    .group_segment_fixed_size: 2052
    .kernarg_segment_align: 8
    .kernarg_segment_size: 112
    .language:       OpenCL C
    .language_version:
      - 2
      - 0
    .max_flat_workgroup_size: 256
    .name:           _ZN9rocsparseL42csr2bsr_wavefront_per_row_multipass_kernelILj256ELj64ELj8E21rocsparse_complex_numIfEllEEv20rocsparse_direction_T4_S4_S4_S4_S4_21rocsparse_index_base_PKT2_PKT3_PKS4_S5_PS6_PS9_PS4_
    .private_segment_fixed_size: 0
    .sgpr_count:     38
    .sgpr_spill_count: 0
    .symbol:         _ZN9rocsparseL42csr2bsr_wavefront_per_row_multipass_kernelILj256ELj64ELj8E21rocsparse_complex_numIfEllEEv20rocsparse_direction_T4_S4_S4_S4_S4_21rocsparse_index_base_PKT2_PKT3_PKS4_S5_PS6_PS9_PS4_.kd
    .uniform_work_group_size: 1
    .uses_dynamic_stack: false
    .vgpr_count:     42
    .vgpr_spill_count: 0
    .wavefront_size: 64
  - .agpr_count:     0
    .args:
      - .offset:         0
        .size:           4
        .value_kind:     by_value
      - .offset:         8
        .size:           8
        .value_kind:     by_value
      - .offset:         16
        .size:           8
        .value_kind:     by_value
      - .offset:         24
        .size:           8
        .value_kind:     by_value
      - .offset:         32
        .size:           8
        .value_kind:     by_value
      - .offset:         40
        .size:           8
        .value_kind:     by_value
      - .offset:         48
        .size:           4
        .value_kind:     by_value
      - .actual_access:  read_only
        .address_space:  global
        .offset:         56
        .size:           8
        .value_kind:     global_buffer
      - .actual_access:  read_only
        .address_space:  global
        .offset:         64
        .size:           8
        .value_kind:     global_buffer
      - .actual_access:  read_only
        .address_space:  global
        .offset:         72
        .size:           8
        .value_kind:     global_buffer
      - .offset:         80
        .size:           4
        .value_kind:     by_value
      - .actual_access:  write_only
        .address_space:  global
        .offset:         88
        .size:           8
        .value_kind:     global_buffer
      - .actual_access:  read_only
        .address_space:  global
        .offset:         96
        .size:           8
        .value_kind:     global_buffer
      - .actual_access:  write_only
        .address_space:  global
        .offset:         104
        .size:           8
        .value_kind:     global_buffer
    .group_segment_fixed_size: 4104
    .kernarg_segment_align: 8
    .kernarg_segment_size: 112
    .language:       OpenCL C
    .language_version:
      - 2
      - 0
    .max_flat_workgroup_size: 256
    .name:           _ZN9rocsparseL42csr2bsr_wavefront_per_row_multipass_kernelILj256ELj32ELj8E21rocsparse_complex_numIfEllEEv20rocsparse_direction_T4_S4_S4_S4_S4_21rocsparse_index_base_PKT2_PKT3_PKS4_S5_PS6_PS9_PS4_
    .private_segment_fixed_size: 0
    .sgpr_count:     43
    .sgpr_spill_count: 0
    .symbol:         _ZN9rocsparseL42csr2bsr_wavefront_per_row_multipass_kernelILj256ELj32ELj8E21rocsparse_complex_numIfEllEEv20rocsparse_direction_T4_S4_S4_S4_S4_21rocsparse_index_base_PKT2_PKT3_PKS4_S5_PS6_PS9_PS4_.kd
    .uniform_work_group_size: 1
    .uses_dynamic_stack: false
    .vgpr_count:     48
    .vgpr_spill_count: 0
    .wavefront_size: 64
  - .agpr_count:     0
    .args:
      - .offset:         0
        .size:           4
        .value_kind:     by_value
      - .offset:         8
        .size:           8
        .value_kind:     by_value
      - .offset:         16
        .size:           8
        .value_kind:     by_value
      - .offset:         24
        .size:           8
        .value_kind:     by_value
      - .offset:         32
        .size:           8
        .value_kind:     by_value
      - .offset:         40
        .size:           8
        .value_kind:     by_value
      - .offset:         48
        .size:           4
        .value_kind:     by_value
      - .actual_access:  read_only
        .address_space:  global
        .offset:         56
        .size:           8
        .value_kind:     global_buffer
      - .actual_access:  read_only
        .address_space:  global
        .offset:         64
        .size:           8
        .value_kind:     global_buffer
      - .actual_access:  read_only
        .address_space:  global
        .offset:         72
        .size:           8
        .value_kind:     global_buffer
      - .offset:         80
        .size:           4
        .value_kind:     by_value
      - .actual_access:  write_only
        .address_space:  global
        .offset:         88
        .size:           8
        .value_kind:     global_buffer
      - .actual_access:  read_only
        .address_space:  global
        .offset:         96
        .size:           8
        .value_kind:     global_buffer
      - .actual_access:  write_only
        .address_space:  global
        .offset:         104
        .size:           8
        .value_kind:     global_buffer
    .group_segment_fixed_size: 8196
    .kernarg_segment_align: 8
    .kernarg_segment_size: 112
    .language:       OpenCL C
    .language_version:
      - 2
      - 0
    .max_flat_workgroup_size: 256
    .name:           _ZN9rocsparseL42csr2bsr_wavefront_per_row_multipass_kernelILj256ELj64ELj16E21rocsparse_complex_numIfEllEEv20rocsparse_direction_T4_S4_S4_S4_S4_21rocsparse_index_base_PKT2_PKT3_PKS4_S5_PS6_PS9_PS4_
    .private_segment_fixed_size: 0
    .sgpr_count:     49
    .sgpr_spill_count: 0
    .symbol:         _ZN9rocsparseL42csr2bsr_wavefront_per_row_multipass_kernelILj256ELj64ELj16E21rocsparse_complex_numIfEllEEv20rocsparse_direction_T4_S4_S4_S4_S4_21rocsparse_index_base_PKT2_PKT3_PKS4_S5_PS6_PS9_PS4_.kd
    .uniform_work_group_size: 1
    .uses_dynamic_stack: false
    .vgpr_count:     52
    .vgpr_spill_count: 0
    .wavefront_size: 64
  - .agpr_count:     0
    .args:
      - .offset:         0
        .size:           4
        .value_kind:     by_value
      - .offset:         8
        .size:           8
        .value_kind:     by_value
      - .offset:         16
        .size:           8
        .value_kind:     by_value
      - .offset:         24
        .size:           8
        .value_kind:     by_value
      - .offset:         32
        .size:           8
        .value_kind:     by_value
      - .offset:         40
        .size:           8
        .value_kind:     by_value
      - .offset:         48
        .size:           4
        .value_kind:     by_value
      - .actual_access:  read_only
        .address_space:  global
        .offset:         56
        .size:           8
        .value_kind:     global_buffer
      - .actual_access:  read_only
        .address_space:  global
        .offset:         64
        .size:           8
        .value_kind:     global_buffer
      - .actual_access:  read_only
        .address_space:  global
        .offset:         72
        .size:           8
        .value_kind:     global_buffer
      - .offset:         80
        .size:           4
        .value_kind:     by_value
      - .actual_access:  write_only
        .address_space:  global
        .offset:         88
        .size:           8
        .value_kind:     global_buffer
      - .actual_access:  read_only
        .address_space:  global
        .offset:         96
        .size:           8
        .value_kind:     global_buffer
      - .actual_access:  write_only
        .address_space:  global
        .offset:         104
        .size:           8
        .value_kind:     global_buffer
    .group_segment_fixed_size: 16392
    .kernarg_segment_align: 8
    .kernarg_segment_size: 112
    .language:       OpenCL C
    .language_version:
      - 2
      - 0
    .max_flat_workgroup_size: 256
    .name:           _ZN9rocsparseL42csr2bsr_wavefront_per_row_multipass_kernelILj256ELj32ELj16E21rocsparse_complex_numIfEllEEv20rocsparse_direction_T4_S4_S4_S4_S4_21rocsparse_index_base_PKT2_PKT3_PKS4_S5_PS6_PS9_PS4_
    .private_segment_fixed_size: 0
    .sgpr_count:     61
    .sgpr_spill_count: 0
    .symbol:         _ZN9rocsparseL42csr2bsr_wavefront_per_row_multipass_kernelILj256ELj32ELj16E21rocsparse_complex_numIfEllEEv20rocsparse_direction_T4_S4_S4_S4_S4_21rocsparse_index_base_PKT2_PKT3_PKS4_S5_PS6_PS9_PS4_.kd
    .uniform_work_group_size: 1
    .uses_dynamic_stack: false
    .vgpr_count:     60
    .vgpr_spill_count: 0
    .wavefront_size: 64
  - .agpr_count:     0
    .args:
      - .offset:         0
        .size:           4
        .value_kind:     by_value
      - .offset:         8
        .size:           8
        .value_kind:     by_value
      - .offset:         16
        .size:           8
        .value_kind:     by_value
      - .offset:         24
        .size:           8
        .value_kind:     by_value
      - .offset:         32
        .size:           8
        .value_kind:     by_value
      - .offset:         40
        .size:           8
        .value_kind:     by_value
      - .offset:         48
        .size:           4
        .value_kind:     by_value
      - .actual_access:  read_only
        .address_space:  global
        .offset:         56
        .size:           8
        .value_kind:     global_buffer
      - .actual_access:  read_only
        .address_space:  global
        .offset:         64
        .size:           8
        .value_kind:     global_buffer
      - .actual_access:  read_only
        .address_space:  global
        .offset:         72
        .size:           8
        .value_kind:     global_buffer
      - .offset:         80
        .size:           4
        .value_kind:     by_value
      - .actual_access:  write_only
        .address_space:  global
        .offset:         88
        .size:           8
        .value_kind:     global_buffer
      - .actual_access:  read_only
        .address_space:  global
        .offset:         96
        .size:           8
        .value_kind:     global_buffer
      - .actual_access:  write_only
        .address_space:  global
        .offset:         104
        .size:           8
        .value_kind:     global_buffer
    .group_segment_fixed_size: 8196
    .kernarg_segment_align: 8
    .kernarg_segment_size: 112
    .language:       OpenCL C
    .language_version:
      - 2
      - 0
    .max_flat_workgroup_size: 256
    .name:           _ZN9rocsparseL38csr2bsr_block_per_row_multipass_kernelILj256ELj32E21rocsparse_complex_numIfEllEEv20rocsparse_direction_T3_S4_S4_S4_S4_21rocsparse_index_base_PKT1_PKT2_PKS4_S5_PS6_PS9_PS4_
    .private_segment_fixed_size: 0
    .sgpr_count:     69
    .sgpr_spill_count: 0
    .symbol:         _ZN9rocsparseL38csr2bsr_block_per_row_multipass_kernelILj256ELj32E21rocsparse_complex_numIfEllEEv20rocsparse_direction_T3_S4_S4_S4_S4_21rocsparse_index_base_PKT1_PKT2_PKS4_S5_PS6_PS9_PS4_.kd
    .uniform_work_group_size: 1
    .uses_dynamic_stack: false
    .vgpr_count:     46
    .vgpr_spill_count: 0
    .wavefront_size: 64
  - .agpr_count:     0
    .args:
      - .offset:         0
        .size:           4
        .value_kind:     by_value
      - .offset:         8
        .size:           8
        .value_kind:     by_value
      - .offset:         16
        .size:           8
        .value_kind:     by_value
      - .offset:         24
        .size:           8
        .value_kind:     by_value
      - .offset:         32
        .size:           8
        .value_kind:     by_value
      - .offset:         40
        .size:           8
        .value_kind:     by_value
      - .offset:         48
        .size:           4
        .value_kind:     by_value
      - .actual_access:  read_only
        .address_space:  global
        .offset:         56
        .size:           8
        .value_kind:     global_buffer
      - .actual_access:  read_only
        .address_space:  global
        .offset:         64
        .size:           8
        .value_kind:     global_buffer
      - .actual_access:  read_only
        .address_space:  global
        .offset:         72
        .size:           8
        .value_kind:     global_buffer
      - .offset:         80
        .size:           4
        .value_kind:     by_value
      - .actual_access:  write_only
        .address_space:  global
        .offset:         88
        .size:           8
        .value_kind:     global_buffer
      - .actual_access:  read_only
        .address_space:  global
        .offset:         96
        .size:           8
        .value_kind:     global_buffer
      - .actual_access:  write_only
        .address_space:  global
        .offset:         104
        .size:           8
        .value_kind:     global_buffer
    .group_segment_fixed_size: 32772
    .kernarg_segment_align: 8
    .kernarg_segment_size: 112
    .language:       OpenCL C
    .language_version:
      - 2
      - 0
    .max_flat_workgroup_size: 256
    .name:           _ZN9rocsparseL38csr2bsr_block_per_row_multipass_kernelILj256ELj64E21rocsparse_complex_numIfEllEEv20rocsparse_direction_T3_S4_S4_S4_S4_21rocsparse_index_base_PKT1_PKT2_PKS4_S5_PS6_PS9_PS4_
    .private_segment_fixed_size: 0
    .sgpr_count:     106
    .sgpr_spill_count: 0
    .symbol:         _ZN9rocsparseL38csr2bsr_block_per_row_multipass_kernelILj256ELj64E21rocsparse_complex_numIfEllEEv20rocsparse_direction_T3_S4_S4_S4_S4_21rocsparse_index_base_PKT1_PKT2_PKS4_S5_PS6_PS9_PS4_.kd
    .uniform_work_group_size: 1
    .uses_dynamic_stack: false
    .vgpr_count:     71
    .vgpr_spill_count: 0
    .wavefront_size: 64
  - .agpr_count:     0
    .args:
      - .offset:         0
        .size:           4
        .value_kind:     by_value
      - .offset:         8
        .size:           8
        .value_kind:     by_value
      - .offset:         16
        .size:           8
        .value_kind:     by_value
      - .offset:         24
        .size:           8
        .value_kind:     by_value
      - .offset:         32
        .size:           8
        .value_kind:     by_value
      - .offset:         40
        .size:           8
        .value_kind:     by_value
      - .offset:         48
        .size:           8
        .value_kind:     by_value
      - .offset:         56
        .size:           4
        .value_kind:     by_value
      - .actual_access:  read_only
        .address_space:  global
        .offset:         64
        .size:           8
        .value_kind:     global_buffer
      - .actual_access:  read_only
        .address_space:  global
        .offset:         72
        .size:           8
        .value_kind:     global_buffer
      - .actual_access:  read_only
        .address_space:  global
        .offset:         80
        .size:           8
        .value_kind:     global_buffer
      - .offset:         88
        .size:           4
        .value_kind:     by_value
      - .actual_access:  write_only
        .address_space:  global
        .offset:         96
        .size:           8
        .value_kind:     global_buffer
      - .actual_access:  read_only
        .address_space:  global
        .offset:         104
        .size:           8
        .value_kind:     global_buffer
      - .actual_access:  write_only
        .address_space:  global
        .offset:         112
        .size:           8
        .value_kind:     global_buffer
      - .address_space:  global
        .offset:         120
        .size:           8
        .value_kind:     global_buffer
      - .address_space:  global
        .offset:         128
        .size:           8
        .value_kind:     global_buffer
      - .address_space:  global
        .offset:         136
        .size:           8
        .value_kind:     global_buffer
    .group_segment_fixed_size: 0
    .kernarg_segment_align: 8
    .kernarg_segment_size: 144
    .language:       OpenCL C
    .language_version:
      - 2
      - 0
    .max_flat_workgroup_size: 32
    .name:           _ZN9rocsparseL21csr2bsr_65_inf_kernelILj32E21rocsparse_complex_numIfEllEEv20rocsparse_direction_T2_S4_S4_S4_S4_S4_21rocsparse_index_base_PKT0_PKT1_PKS4_S5_PS6_PS9_PS4_SF_SG_SE_
    .private_segment_fixed_size: 0
    .sgpr_count:     56
    .sgpr_spill_count: 0
    .symbol:         _ZN9rocsparseL21csr2bsr_65_inf_kernelILj32E21rocsparse_complex_numIfEllEEv20rocsparse_direction_T2_S4_S4_S4_S4_S4_21rocsparse_index_base_PKT0_PKT1_PKS4_S5_PS6_PS9_PS4_SF_SG_SE_.kd
    .uniform_work_group_size: 1
    .uses_dynamic_stack: false
    .vgpr_count:     42
    .vgpr_spill_count: 0
    .wavefront_size: 64
  - .agpr_count:     0
    .args:
      - .offset:         0
        .size:           4
        .value_kind:     by_value
      - .offset:         4
        .size:           4
        .value_kind:     by_value
      - .offset:         8
        .size:           4
        .value_kind:     by_value
      - .offset:         12
        .size:           4
        .value_kind:     by_value
      - .offset:         16
        .size:           4
        .value_kind:     by_value
      - .address_space:  global
        .offset:         24
        .size:           8
        .value_kind:     global_buffer
      - .address_space:  global
        .offset:         32
        .size:           8
        .value_kind:     global_buffer
      - .address_space:  global
        .offset:         40
        .size:           8
        .value_kind:     global_buffer
      - .offset:         48
        .size:           4
        .value_kind:     by_value
      - .address_space:  global
        .offset:         56
        .size:           8
        .value_kind:     global_buffer
      - .address_space:  global
        .offset:         64
        .size:           8
        .value_kind:     global_buffer
      - .address_space:  global
        .offset:         72
        .size:           8
        .value_kind:     global_buffer
      - .offset:         80
        .size:           4
        .value_kind:     hidden_block_count_x
      - .offset:         84
        .size:           4
        .value_kind:     hidden_block_count_y
      - .offset:         88
        .size:           4
        .value_kind:     hidden_block_count_z
      - .offset:         92
        .size:           2
        .value_kind:     hidden_group_size_x
      - .offset:         94
        .size:           2
        .value_kind:     hidden_group_size_y
      - .offset:         96
        .size:           2
        .value_kind:     hidden_group_size_z
      - .offset:         98
        .size:           2
        .value_kind:     hidden_remainder_x
      - .offset:         100
        .size:           2
        .value_kind:     hidden_remainder_y
      - .offset:         102
        .size:           2
        .value_kind:     hidden_remainder_z
      - .offset:         120
        .size:           8
        .value_kind:     hidden_global_offset_x
      - .offset:         128
        .size:           8
        .value_kind:     hidden_global_offset_y
      - .offset:         136
        .size:           8
        .value_kind:     hidden_global_offset_z
      - .offset:         144
        .size:           2
        .value_kind:     hidden_grid_dims
    .group_segment_fixed_size: 0
    .kernarg_segment_align: 8
    .kernarg_segment_size: 336
    .language:       OpenCL C
    .language_version:
      - 2
      - 0
    .max_flat_workgroup_size: 256
    .name:           _ZN9rocsparseL35csr2bsr_block_dim_equals_one_kernelILj256EdiiEEvT2_S1_S1_S1_21rocsparse_index_base_PKT0_PKT1_PKS1_S2_PS3_PS6_PS1_
    .private_segment_fixed_size: 0
    .sgpr_count:     20
    .sgpr_spill_count: 0
    .symbol:         _ZN9rocsparseL35csr2bsr_block_dim_equals_one_kernelILj256EdiiEEvT2_S1_S1_S1_21rocsparse_index_base_PKT0_PKT1_PKS1_S2_PS3_PS6_PS1_.kd
    .uniform_work_group_size: 1
    .uses_dynamic_stack: false
    .vgpr_count:     9
    .vgpr_spill_count: 0
    .wavefront_size: 64
  - .agpr_count:     0
    .args:
      - .offset:         0
        .size:           4
        .value_kind:     by_value
      - .offset:         4
        .size:           4
        .value_kind:     by_value
      - .offset:         8
        .size:           4
        .value_kind:     by_value
      - .offset:         12
        .size:           4
        .value_kind:     by_value
      - .offset:         16
        .size:           4
        .value_kind:     by_value
      - .offset:         20
        .size:           4
        .value_kind:     by_value
      - .offset:         24
        .size:           4
        .value_kind:     by_value
      - .actual_access:  read_only
        .address_space:  global
        .offset:         32
        .size:           8
        .value_kind:     global_buffer
      - .actual_access:  read_only
        .address_space:  global
        .offset:         40
        .size:           8
        .value_kind:     global_buffer
      - .actual_access:  read_only
        .address_space:  global
        .offset:         48
        .size:           8
        .value_kind:     global_buffer
      - .offset:         56
        .size:           4
        .value_kind:     by_value
      - .actual_access:  write_only
        .address_space:  global
        .offset:         64
        .size:           8
        .value_kind:     global_buffer
      - .actual_access:  read_only
        .address_space:  global
        .offset:         72
        .size:           8
        .value_kind:     global_buffer
      - .actual_access:  write_only
        .address_space:  global
        .offset:         80
        .size:           8
        .value_kind:     global_buffer
    .group_segment_fixed_size: 2064
    .kernarg_segment_align: 8
    .kernarg_segment_size: 88
    .language:       OpenCL C
    .language_version:
      - 2
      - 0
    .max_flat_workgroup_size: 256
    .name:           _ZN9rocsparseL42csr2bsr_wavefront_per_row_multipass_kernelILj256ELj16ELj4EdiiEEv20rocsparse_direction_T4_S2_S2_S2_S2_21rocsparse_index_base_PKT2_PKT3_PKS2_S3_PS4_PS7_PS2_
    .private_segment_fixed_size: 0
    .sgpr_count:     32
    .sgpr_spill_count: 0
    .symbol:         _ZN9rocsparseL42csr2bsr_wavefront_per_row_multipass_kernelILj256ELj16ELj4EdiiEEv20rocsparse_direction_T4_S2_S2_S2_S2_21rocsparse_index_base_PKT2_PKT3_PKS2_S3_PS4_PS7_PS2_.kd
    .uniform_work_group_size: 1
    .uses_dynamic_stack: false
    .vgpr_count:     26
    .vgpr_spill_count: 0
    .wavefront_size: 64
  - .agpr_count:     0
    .args:
      - .offset:         0
        .size:           4
        .value_kind:     by_value
      - .offset:         4
        .size:           4
        .value_kind:     by_value
      - .offset:         8
        .size:           4
        .value_kind:     by_value
      - .offset:         12
        .size:           4
        .value_kind:     by_value
      - .offset:         16
        .size:           4
        .value_kind:     by_value
      - .offset:         20
        .size:           4
        .value_kind:     by_value
      - .offset:         24
        .size:           4
        .value_kind:     by_value
      - .actual_access:  read_only
        .address_space:  global
        .offset:         32
        .size:           8
        .value_kind:     global_buffer
      - .actual_access:  read_only
        .address_space:  global
        .offset:         40
        .size:           8
        .value_kind:     global_buffer
      - .actual_access:  read_only
        .address_space:  global
        .offset:         48
        .size:           8
        .value_kind:     global_buffer
      - .offset:         56
        .size:           4
        .value_kind:     by_value
      - .actual_access:  write_only
        .address_space:  global
        .offset:         64
        .size:           8
        .value_kind:     global_buffer
      - .actual_access:  read_only
        .address_space:  global
        .offset:         72
        .size:           8
        .value_kind:     global_buffer
      - .actual_access:  write_only
        .address_space:  global
        .offset:         80
        .size:           8
        .value_kind:     global_buffer
    .group_segment_fixed_size: 2056
    .kernarg_segment_align: 8
    .kernarg_segment_size: 88
    .language:       OpenCL C
    .language_version:
      - 2
      - 0
    .max_flat_workgroup_size: 256
    .name:           _ZN9rocsparseL42csr2bsr_wavefront_per_row_multipass_kernelILj256ELj64ELj8EdiiEEv20rocsparse_direction_T4_S2_S2_S2_S2_21rocsparse_index_base_PKT2_PKT3_PKS2_S3_PS4_PS7_PS2_
    .private_segment_fixed_size: 0
    .sgpr_count:     32
    .sgpr_spill_count: 0
    .symbol:         _ZN9rocsparseL42csr2bsr_wavefront_per_row_multipass_kernelILj256ELj64ELj8EdiiEEv20rocsparse_direction_T4_S2_S2_S2_S2_21rocsparse_index_base_PKT2_PKT3_PKS2_S3_PS4_PS7_PS2_.kd
    .uniform_work_group_size: 1
    .uses_dynamic_stack: false
    .vgpr_count:     26
    .vgpr_spill_count: 0
    .wavefront_size: 64
  - .agpr_count:     0
    .args:
      - .offset:         0
        .size:           4
        .value_kind:     by_value
      - .offset:         4
        .size:           4
        .value_kind:     by_value
      - .offset:         8
        .size:           4
        .value_kind:     by_value
      - .offset:         12
        .size:           4
        .value_kind:     by_value
      - .offset:         16
        .size:           4
        .value_kind:     by_value
      - .offset:         20
        .size:           4
        .value_kind:     by_value
      - .offset:         24
        .size:           4
        .value_kind:     by_value
      - .actual_access:  read_only
        .address_space:  global
        .offset:         32
        .size:           8
        .value_kind:     global_buffer
      - .actual_access:  read_only
        .address_space:  global
        .offset:         40
        .size:           8
        .value_kind:     global_buffer
      - .actual_access:  read_only
        .address_space:  global
        .offset:         48
        .size:           8
        .value_kind:     global_buffer
      - .offset:         56
        .size:           4
        .value_kind:     by_value
      - .actual_access:  write_only
        .address_space:  global
        .offset:         64
        .size:           8
        .value_kind:     global_buffer
      - .actual_access:  read_only
        .address_space:  global
        .offset:         72
        .size:           8
        .value_kind:     global_buffer
      - .actual_access:  write_only
        .address_space:  global
        .offset:         80
        .size:           8
        .value_kind:     global_buffer
    .group_segment_fixed_size: 4104
    .kernarg_segment_align: 8
    .kernarg_segment_size: 88
    .language:       OpenCL C
    .language_version:
      - 2
      - 0
    .max_flat_workgroup_size: 256
    .name:           _ZN9rocsparseL42csr2bsr_wavefront_per_row_multipass_kernelILj256ELj32ELj8EdiiEEv20rocsparse_direction_T4_S2_S2_S2_S2_21rocsparse_index_base_PKT2_PKT3_PKS2_S3_PS4_PS7_PS2_
    .private_segment_fixed_size: 0
    .sgpr_count:     36
    .sgpr_spill_count: 0
    .symbol:         _ZN9rocsparseL42csr2bsr_wavefront_per_row_multipass_kernelILj256ELj32ELj8EdiiEEv20rocsparse_direction_T4_S2_S2_S2_S2_21rocsparse_index_base_PKT2_PKT3_PKS2_S3_PS4_PS7_PS2_.kd
    .uniform_work_group_size: 1
    .uses_dynamic_stack: false
    .vgpr_count:     34
    .vgpr_spill_count: 0
    .wavefront_size: 64
  - .agpr_count:     0
    .args:
      - .offset:         0
        .size:           4
        .value_kind:     by_value
      - .offset:         4
        .size:           4
        .value_kind:     by_value
      - .offset:         8
        .size:           4
        .value_kind:     by_value
      - .offset:         12
        .size:           4
        .value_kind:     by_value
      - .offset:         16
        .size:           4
        .value_kind:     by_value
      - .offset:         20
        .size:           4
        .value_kind:     by_value
      - .offset:         24
        .size:           4
        .value_kind:     by_value
      - .actual_access:  read_only
        .address_space:  global
        .offset:         32
        .size:           8
        .value_kind:     global_buffer
      - .actual_access:  read_only
        .address_space:  global
        .offset:         40
        .size:           8
        .value_kind:     global_buffer
      - .actual_access:  read_only
        .address_space:  global
        .offset:         48
        .size:           8
        .value_kind:     global_buffer
      - .offset:         56
        .size:           4
        .value_kind:     by_value
      - .actual_access:  write_only
        .address_space:  global
        .offset:         64
        .size:           8
        .value_kind:     global_buffer
      - .actual_access:  read_only
        .address_space:  global
        .offset:         72
        .size:           8
        .value_kind:     global_buffer
      - .actual_access:  write_only
        .address_space:  global
        .offset:         80
        .size:           8
        .value_kind:     global_buffer
    .group_segment_fixed_size: 8200
    .kernarg_segment_align: 8
    .kernarg_segment_size: 88
    .language:       OpenCL C
    .language_version:
      - 2
      - 0
    .max_flat_workgroup_size: 256
    .name:           _ZN9rocsparseL42csr2bsr_wavefront_per_row_multipass_kernelILj256ELj64ELj16EdiiEEv20rocsparse_direction_T4_S2_S2_S2_S2_21rocsparse_index_base_PKT2_PKT3_PKS2_S3_PS4_PS7_PS2_
    .private_segment_fixed_size: 0
    .sgpr_count:     44
    .sgpr_spill_count: 0
    .symbol:         _ZN9rocsparseL42csr2bsr_wavefront_per_row_multipass_kernelILj256ELj64ELj16EdiiEEv20rocsparse_direction_T4_S2_S2_S2_S2_21rocsparse_index_base_PKT2_PKT3_PKS2_S3_PS4_PS7_PS2_.kd
    .uniform_work_group_size: 1
    .uses_dynamic_stack: false
    .vgpr_count:     39
    .vgpr_spill_count: 0
    .wavefront_size: 64
  - .agpr_count:     0
    .args:
      - .offset:         0
        .size:           4
        .value_kind:     by_value
      - .offset:         4
        .size:           4
        .value_kind:     by_value
      - .offset:         8
        .size:           4
        .value_kind:     by_value
      - .offset:         12
        .size:           4
        .value_kind:     by_value
      - .offset:         16
        .size:           4
        .value_kind:     by_value
      - .offset:         20
        .size:           4
        .value_kind:     by_value
      - .offset:         24
        .size:           4
        .value_kind:     by_value
      - .actual_access:  read_only
        .address_space:  global
        .offset:         32
        .size:           8
        .value_kind:     global_buffer
      - .actual_access:  read_only
        .address_space:  global
        .offset:         40
        .size:           8
        .value_kind:     global_buffer
      - .actual_access:  read_only
        .address_space:  global
        .offset:         48
        .size:           8
        .value_kind:     global_buffer
      - .offset:         56
        .size:           4
        .value_kind:     by_value
      - .actual_access:  write_only
        .address_space:  global
        .offset:         64
        .size:           8
        .value_kind:     global_buffer
      - .actual_access:  read_only
        .address_space:  global
        .offset:         72
        .size:           8
        .value_kind:     global_buffer
      - .actual_access:  write_only
        .address_space:  global
        .offset:         80
        .size:           8
        .value_kind:     global_buffer
    .group_segment_fixed_size: 16392
    .kernarg_segment_align: 8
    .kernarg_segment_size: 88
    .language:       OpenCL C
    .language_version:
      - 2
      - 0
    .max_flat_workgroup_size: 256
    .name:           _ZN9rocsparseL42csr2bsr_wavefront_per_row_multipass_kernelILj256ELj32ELj16EdiiEEv20rocsparse_direction_T4_S2_S2_S2_S2_21rocsparse_index_base_PKT2_PKT3_PKS2_S3_PS4_PS7_PS2_
    .private_segment_fixed_size: 0
    .sgpr_count:     52
    .sgpr_spill_count: 0
    .symbol:         _ZN9rocsparseL42csr2bsr_wavefront_per_row_multipass_kernelILj256ELj32ELj16EdiiEEv20rocsparse_direction_T4_S2_S2_S2_S2_21rocsparse_index_base_PKT2_PKT3_PKS2_S3_PS4_PS7_PS2_.kd
    .uniform_work_group_size: 1
    .uses_dynamic_stack: false
    .vgpr_count:     47
    .vgpr_spill_count: 0
    .wavefront_size: 64
  - .agpr_count:     0
    .args:
      - .offset:         0
        .size:           4
        .value_kind:     by_value
      - .offset:         4
        .size:           4
        .value_kind:     by_value
      - .offset:         8
        .size:           4
        .value_kind:     by_value
      - .offset:         12
        .size:           4
        .value_kind:     by_value
      - .offset:         16
        .size:           4
        .value_kind:     by_value
      - .offset:         20
        .size:           4
        .value_kind:     by_value
      - .offset:         24
        .size:           4
        .value_kind:     by_value
      - .actual_access:  read_only
        .address_space:  global
        .offset:         32
        .size:           8
        .value_kind:     global_buffer
      - .actual_access:  read_only
        .address_space:  global
        .offset:         40
        .size:           8
        .value_kind:     global_buffer
      - .actual_access:  read_only
        .address_space:  global
        .offset:         48
        .size:           8
        .value_kind:     global_buffer
      - .offset:         56
        .size:           4
        .value_kind:     by_value
      - .actual_access:  write_only
        .address_space:  global
        .offset:         64
        .size:           8
        .value_kind:     global_buffer
      - .actual_access:  read_only
        .address_space:  global
        .offset:         72
        .size:           8
        .value_kind:     global_buffer
      - .actual_access:  write_only
        .address_space:  global
        .offset:         80
        .size:           8
        .value_kind:     global_buffer
    .group_segment_fixed_size: 8200
    .kernarg_segment_align: 8
    .kernarg_segment_size: 88
    .language:       OpenCL C
    .language_version:
      - 2
      - 0
    .max_flat_workgroup_size: 256
    .name:           _ZN9rocsparseL38csr2bsr_block_per_row_multipass_kernelILj256ELj32EdiiEEv20rocsparse_direction_T3_S2_S2_S2_S2_21rocsparse_index_base_PKT1_PKT2_PKS2_S3_PS4_PS7_PS2_
    .private_segment_fixed_size: 0
    .sgpr_count:     62
    .sgpr_spill_count: 0
    .symbol:         _ZN9rocsparseL38csr2bsr_block_per_row_multipass_kernelILj256ELj32EdiiEEv20rocsparse_direction_T3_S2_S2_S2_S2_21rocsparse_index_base_PKT1_PKT2_PKS2_S3_PS4_PS7_PS2_.kd
    .uniform_work_group_size: 1
    .uses_dynamic_stack: false
    .vgpr_count:     36
    .vgpr_spill_count: 0
    .wavefront_size: 64
  - .agpr_count:     0
    .args:
      - .offset:         0
        .size:           4
        .value_kind:     by_value
      - .offset:         4
        .size:           4
        .value_kind:     by_value
      - .offset:         8
        .size:           4
        .value_kind:     by_value
      - .offset:         12
        .size:           4
        .value_kind:     by_value
      - .offset:         16
        .size:           4
        .value_kind:     by_value
      - .offset:         20
        .size:           4
        .value_kind:     by_value
      - .offset:         24
        .size:           4
        .value_kind:     by_value
      - .actual_access:  read_only
        .address_space:  global
        .offset:         32
        .size:           8
        .value_kind:     global_buffer
      - .actual_access:  read_only
        .address_space:  global
        .offset:         40
        .size:           8
        .value_kind:     global_buffer
      - .actual_access:  read_only
        .address_space:  global
        .offset:         48
        .size:           8
        .value_kind:     global_buffer
      - .offset:         56
        .size:           4
        .value_kind:     by_value
      - .actual_access:  write_only
        .address_space:  global
        .offset:         64
        .size:           8
        .value_kind:     global_buffer
      - .actual_access:  read_only
        .address_space:  global
        .offset:         72
        .size:           8
        .value_kind:     global_buffer
      - .actual_access:  write_only
        .address_space:  global
        .offset:         80
        .size:           8
        .value_kind:     global_buffer
    .group_segment_fixed_size: 32776
    .kernarg_segment_align: 8
    .kernarg_segment_size: 88
    .language:       OpenCL C
    .language_version:
      - 2
      - 0
    .max_flat_workgroup_size: 256
    .name:           _ZN9rocsparseL38csr2bsr_block_per_row_multipass_kernelILj256ELj64EdiiEEv20rocsparse_direction_T3_S2_S2_S2_S2_21rocsparse_index_base_PKT1_PKT2_PKS2_S3_PS4_PS7_PS2_
    .private_segment_fixed_size: 0
    .sgpr_count:     105
    .sgpr_spill_count: 0
    .symbol:         _ZN9rocsparseL38csr2bsr_block_per_row_multipass_kernelILj256ELj64EdiiEEv20rocsparse_direction_T3_S2_S2_S2_S2_21rocsparse_index_base_PKT1_PKT2_PKS2_S3_PS4_PS7_PS2_.kd
    .uniform_work_group_size: 1
    .uses_dynamic_stack: false
    .vgpr_count:     60
    .vgpr_spill_count: 0
    .wavefront_size: 64
  - .agpr_count:     0
    .args:
      - .offset:         0
        .size:           4
        .value_kind:     by_value
      - .offset:         4
        .size:           4
        .value_kind:     by_value
      - .offset:         8
        .size:           4
        .value_kind:     by_value
      - .offset:         12
        .size:           4
        .value_kind:     by_value
      - .offset:         16
        .size:           4
        .value_kind:     by_value
      - .offset:         20
        .size:           4
        .value_kind:     by_value
      - .offset:         24
        .size:           4
        .value_kind:     by_value
      - .offset:         28
        .size:           4
        .value_kind:     by_value
      - .actual_access:  read_only
        .address_space:  global
        .offset:         32
        .size:           8
        .value_kind:     global_buffer
      - .actual_access:  read_only
        .address_space:  global
        .offset:         40
        .size:           8
        .value_kind:     global_buffer
      - .actual_access:  read_only
        .address_space:  global
        .offset:         48
        .size:           8
        .value_kind:     global_buffer
      - .offset:         56
        .size:           4
        .value_kind:     by_value
      - .actual_access:  write_only
        .address_space:  global
        .offset:         64
        .size:           8
        .value_kind:     global_buffer
      - .actual_access:  read_only
        .address_space:  global
        .offset:         72
        .size:           8
        .value_kind:     global_buffer
      - .actual_access:  write_only
        .address_space:  global
        .offset:         80
        .size:           8
        .value_kind:     global_buffer
      - .address_space:  global
        .offset:         88
        .size:           8
        .value_kind:     global_buffer
      - .address_space:  global
        .offset:         96
        .size:           8
        .value_kind:     global_buffer
      - .address_space:  global
        .offset:         104
        .size:           8
        .value_kind:     global_buffer
    .group_segment_fixed_size: 0
    .kernarg_segment_align: 8
    .kernarg_segment_size: 112
    .language:       OpenCL C
    .language_version:
      - 2
      - 0
    .max_flat_workgroup_size: 32
    .name:           _ZN9rocsparseL21csr2bsr_65_inf_kernelILj32EdiiEEv20rocsparse_direction_T2_S2_S2_S2_S2_S2_21rocsparse_index_base_PKT0_PKT1_PKS2_S3_PS4_PS7_PS2_SD_SE_SC_
    .private_segment_fixed_size: 0
    .sgpr_count:     52
    .sgpr_spill_count: 0
    .symbol:         _ZN9rocsparseL21csr2bsr_65_inf_kernelILj32EdiiEEv20rocsparse_direction_T2_S2_S2_S2_S2_S2_21rocsparse_index_base_PKT0_PKT1_PKS2_S3_PS4_PS7_PS2_SD_SE_SC_.kd
    .uniform_work_group_size: 1
    .uses_dynamic_stack: false
    .vgpr_count:     36
    .vgpr_spill_count: 0
    .wavefront_size: 64
  - .agpr_count:     0
    .args:
      - .offset:         0
        .size:           4
        .value_kind:     by_value
      - .offset:         4
        .size:           4
        .value_kind:     by_value
      - .offset:         8
        .size:           4
        .value_kind:     by_value
      - .offset:         12
        .size:           4
        .value_kind:     by_value
      - .offset:         16
        .size:           4
        .value_kind:     by_value
      - .address_space:  global
        .offset:         24
        .size:           8
        .value_kind:     global_buffer
      - .address_space:  global
        .offset:         32
        .size:           8
        .value_kind:     global_buffer
      - .address_space:  global
        .offset:         40
        .size:           8
        .value_kind:     global_buffer
      - .offset:         48
        .size:           4
        .value_kind:     by_value
      - .address_space:  global
        .offset:         56
        .size:           8
        .value_kind:     global_buffer
      - .address_space:  global
        .offset:         64
        .size:           8
        .value_kind:     global_buffer
      - .address_space:  global
        .offset:         72
        .size:           8
        .value_kind:     global_buffer
      - .offset:         80
        .size:           4
        .value_kind:     hidden_block_count_x
      - .offset:         84
        .size:           4
        .value_kind:     hidden_block_count_y
      - .offset:         88
        .size:           4
        .value_kind:     hidden_block_count_z
      - .offset:         92
        .size:           2
        .value_kind:     hidden_group_size_x
      - .offset:         94
        .size:           2
        .value_kind:     hidden_group_size_y
      - .offset:         96
        .size:           2
        .value_kind:     hidden_group_size_z
      - .offset:         98
        .size:           2
        .value_kind:     hidden_remainder_x
      - .offset:         100
        .size:           2
        .value_kind:     hidden_remainder_y
      - .offset:         102
        .size:           2
        .value_kind:     hidden_remainder_z
      - .offset:         120
        .size:           8
        .value_kind:     hidden_global_offset_x
      - .offset:         128
        .size:           8
        .value_kind:     hidden_global_offset_y
      - .offset:         136
        .size:           8
        .value_kind:     hidden_global_offset_z
      - .offset:         144
        .size:           2
        .value_kind:     hidden_grid_dims
    .group_segment_fixed_size: 0
    .kernarg_segment_align: 8
    .kernarg_segment_size: 336
    .language:       OpenCL C
    .language_version:
      - 2
      - 0
    .max_flat_workgroup_size: 256
    .name:           _ZN9rocsparseL35csr2bsr_block_dim_equals_one_kernelILj256EdliEEvT2_S1_S1_S1_21rocsparse_index_base_PKT0_PKT1_PKS1_S2_PS3_PS6_PS1_
    .private_segment_fixed_size: 0
    .sgpr_count:     25
    .sgpr_spill_count: 0
    .symbol:         _ZN9rocsparseL35csr2bsr_block_dim_equals_one_kernelILj256EdliEEvT2_S1_S1_S1_21rocsparse_index_base_PKT0_PKT1_PKS1_S2_PS3_PS6_PS1_.kd
    .uniform_work_group_size: 1
    .uses_dynamic_stack: false
    .vgpr_count:     13
    .vgpr_spill_count: 0
    .wavefront_size: 64
  - .agpr_count:     0
    .args:
      - .offset:         0
        .size:           4
        .value_kind:     by_value
      - .offset:         4
        .size:           4
        .value_kind:     by_value
      - .offset:         8
        .size:           4
        .value_kind:     by_value
      - .offset:         12
        .size:           4
        .value_kind:     by_value
      - .offset:         16
        .size:           4
        .value_kind:     by_value
      - .offset:         20
        .size:           4
        .value_kind:     by_value
      - .offset:         24
        .size:           4
        .value_kind:     by_value
      - .actual_access:  read_only
        .address_space:  global
        .offset:         32
        .size:           8
        .value_kind:     global_buffer
      - .actual_access:  read_only
        .address_space:  global
        .offset:         40
        .size:           8
        .value_kind:     global_buffer
      - .actual_access:  read_only
        .address_space:  global
        .offset:         48
        .size:           8
        .value_kind:     global_buffer
      - .offset:         56
        .size:           4
        .value_kind:     by_value
      - .actual_access:  write_only
        .address_space:  global
        .offset:         64
        .size:           8
        .value_kind:     global_buffer
      - .actual_access:  read_only
        .address_space:  global
        .offset:         72
        .size:           8
        .value_kind:     global_buffer
      - .actual_access:  write_only
        .address_space:  global
        .offset:         80
        .size:           8
        .value_kind:     global_buffer
    .group_segment_fixed_size: 2064
    .kernarg_segment_align: 8
    .kernarg_segment_size: 88
    .language:       OpenCL C
    .language_version:
      - 2
      - 0
    .max_flat_workgroup_size: 256
    .name:           _ZN9rocsparseL42csr2bsr_wavefront_per_row_multipass_kernelILj256ELj16ELj4EdliEEv20rocsparse_direction_T4_S2_S2_S2_S2_21rocsparse_index_base_PKT2_PKT3_PKS2_S3_PS4_PS7_PS2_
    .private_segment_fixed_size: 0
    .sgpr_count:     32
    .sgpr_spill_count: 0
    .symbol:         _ZN9rocsparseL42csr2bsr_wavefront_per_row_multipass_kernelILj256ELj16ELj4EdliEEv20rocsparse_direction_T4_S2_S2_S2_S2_21rocsparse_index_base_PKT2_PKT3_PKS2_S3_PS4_PS7_PS2_.kd
    .uniform_work_group_size: 1
    .uses_dynamic_stack: false
    .vgpr_count:     34
    .vgpr_spill_count: 0
    .wavefront_size: 64
  - .agpr_count:     0
    .args:
      - .offset:         0
        .size:           4
        .value_kind:     by_value
      - .offset:         4
        .size:           4
        .value_kind:     by_value
      - .offset:         8
        .size:           4
        .value_kind:     by_value
      - .offset:         12
        .size:           4
        .value_kind:     by_value
      - .offset:         16
        .size:           4
        .value_kind:     by_value
      - .offset:         20
        .size:           4
        .value_kind:     by_value
      - .offset:         24
        .size:           4
        .value_kind:     by_value
      - .actual_access:  read_only
        .address_space:  global
        .offset:         32
        .size:           8
        .value_kind:     global_buffer
      - .actual_access:  read_only
        .address_space:  global
        .offset:         40
        .size:           8
        .value_kind:     global_buffer
      - .actual_access:  read_only
        .address_space:  global
        .offset:         48
        .size:           8
        .value_kind:     global_buffer
      - .offset:         56
        .size:           4
        .value_kind:     by_value
      - .actual_access:  write_only
        .address_space:  global
        .offset:         64
        .size:           8
        .value_kind:     global_buffer
      - .actual_access:  read_only
        .address_space:  global
        .offset:         72
        .size:           8
        .value_kind:     global_buffer
      - .actual_access:  write_only
        .address_space:  global
        .offset:         80
        .size:           8
        .value_kind:     global_buffer
    .group_segment_fixed_size: 2056
    .kernarg_segment_align: 8
    .kernarg_segment_size: 88
    .language:       OpenCL C
    .language_version:
      - 2
      - 0
    .max_flat_workgroup_size: 256
    .name:           _ZN9rocsparseL42csr2bsr_wavefront_per_row_multipass_kernelILj256ELj64ELj8EdliEEv20rocsparse_direction_T4_S2_S2_S2_S2_21rocsparse_index_base_PKT2_PKT3_PKS2_S3_PS4_PS7_PS2_
    .private_segment_fixed_size: 0
    .sgpr_count:     32
    .sgpr_spill_count: 0
    .symbol:         _ZN9rocsparseL42csr2bsr_wavefront_per_row_multipass_kernelILj256ELj64ELj8EdliEEv20rocsparse_direction_T4_S2_S2_S2_S2_21rocsparse_index_base_PKT2_PKT3_PKS2_S3_PS4_PS7_PS2_.kd
    .uniform_work_group_size: 1
    .uses_dynamic_stack: false
    .vgpr_count:     34
    .vgpr_spill_count: 0
    .wavefront_size: 64
  - .agpr_count:     0
    .args:
      - .offset:         0
        .size:           4
        .value_kind:     by_value
      - .offset:         4
        .size:           4
        .value_kind:     by_value
      - .offset:         8
        .size:           4
        .value_kind:     by_value
      - .offset:         12
        .size:           4
        .value_kind:     by_value
      - .offset:         16
        .size:           4
        .value_kind:     by_value
      - .offset:         20
        .size:           4
        .value_kind:     by_value
      - .offset:         24
        .size:           4
        .value_kind:     by_value
      - .actual_access:  read_only
        .address_space:  global
        .offset:         32
        .size:           8
        .value_kind:     global_buffer
      - .actual_access:  read_only
        .address_space:  global
        .offset:         40
        .size:           8
        .value_kind:     global_buffer
      - .actual_access:  read_only
        .address_space:  global
        .offset:         48
        .size:           8
        .value_kind:     global_buffer
      - .offset:         56
        .size:           4
        .value_kind:     by_value
      - .actual_access:  write_only
        .address_space:  global
        .offset:         64
        .size:           8
        .value_kind:     global_buffer
      - .actual_access:  read_only
        .address_space:  global
        .offset:         72
        .size:           8
        .value_kind:     global_buffer
      - .actual_access:  write_only
        .address_space:  global
        .offset:         80
        .size:           8
        .value_kind:     global_buffer
    .group_segment_fixed_size: 4104
    .kernarg_segment_align: 8
    .kernarg_segment_size: 88
    .language:       OpenCL C
    .language_version:
      - 2
      - 0
    .max_flat_workgroup_size: 256
    .name:           _ZN9rocsparseL42csr2bsr_wavefront_per_row_multipass_kernelILj256ELj32ELj8EdliEEv20rocsparse_direction_T4_S2_S2_S2_S2_21rocsparse_index_base_PKT2_PKT3_PKS2_S3_PS4_PS7_PS2_
    .private_segment_fixed_size: 0
    .sgpr_count:     36
    .sgpr_spill_count: 0
    .symbol:         _ZN9rocsparseL42csr2bsr_wavefront_per_row_multipass_kernelILj256ELj32ELj8EdliEEv20rocsparse_direction_T4_S2_S2_S2_S2_21rocsparse_index_base_PKT2_PKT3_PKS2_S3_PS4_PS7_PS2_.kd
    .uniform_work_group_size: 1
    .uses_dynamic_stack: false
    .vgpr_count:     41
    .vgpr_spill_count: 0
    .wavefront_size: 64
  - .agpr_count:     0
    .args:
      - .offset:         0
        .size:           4
        .value_kind:     by_value
      - .offset:         4
        .size:           4
        .value_kind:     by_value
      - .offset:         8
        .size:           4
        .value_kind:     by_value
      - .offset:         12
        .size:           4
        .value_kind:     by_value
      - .offset:         16
        .size:           4
        .value_kind:     by_value
      - .offset:         20
        .size:           4
        .value_kind:     by_value
      - .offset:         24
        .size:           4
        .value_kind:     by_value
      - .actual_access:  read_only
        .address_space:  global
        .offset:         32
        .size:           8
        .value_kind:     global_buffer
      - .actual_access:  read_only
        .address_space:  global
        .offset:         40
        .size:           8
        .value_kind:     global_buffer
      - .actual_access:  read_only
        .address_space:  global
        .offset:         48
        .size:           8
        .value_kind:     global_buffer
      - .offset:         56
        .size:           4
        .value_kind:     by_value
      - .actual_access:  write_only
        .address_space:  global
        .offset:         64
        .size:           8
        .value_kind:     global_buffer
      - .actual_access:  read_only
        .address_space:  global
        .offset:         72
        .size:           8
        .value_kind:     global_buffer
      - .actual_access:  write_only
        .address_space:  global
        .offset:         80
        .size:           8
        .value_kind:     global_buffer
    .group_segment_fixed_size: 8200
    .kernarg_segment_align: 8
    .kernarg_segment_size: 88
    .language:       OpenCL C
    .language_version:
      - 2
      - 0
    .max_flat_workgroup_size: 256
    .name:           _ZN9rocsparseL42csr2bsr_wavefront_per_row_multipass_kernelILj256ELj64ELj16EdliEEv20rocsparse_direction_T4_S2_S2_S2_S2_21rocsparse_index_base_PKT2_PKT3_PKS2_S3_PS4_PS7_PS2_
    .private_segment_fixed_size: 0
    .sgpr_count:     41
    .sgpr_spill_count: 0
    .symbol:         _ZN9rocsparseL42csr2bsr_wavefront_per_row_multipass_kernelILj256ELj64ELj16EdliEEv20rocsparse_direction_T4_S2_S2_S2_S2_21rocsparse_index_base_PKT2_PKT3_PKS2_S3_PS4_PS7_PS2_.kd
    .uniform_work_group_size: 1
    .uses_dynamic_stack: false
    .vgpr_count:     45
    .vgpr_spill_count: 0
    .wavefront_size: 64
  - .agpr_count:     0
    .args:
      - .offset:         0
        .size:           4
        .value_kind:     by_value
      - .offset:         4
        .size:           4
        .value_kind:     by_value
      - .offset:         8
        .size:           4
        .value_kind:     by_value
      - .offset:         12
        .size:           4
        .value_kind:     by_value
      - .offset:         16
        .size:           4
        .value_kind:     by_value
      - .offset:         20
        .size:           4
        .value_kind:     by_value
      - .offset:         24
        .size:           4
        .value_kind:     by_value
      - .actual_access:  read_only
        .address_space:  global
        .offset:         32
        .size:           8
        .value_kind:     global_buffer
      - .actual_access:  read_only
        .address_space:  global
        .offset:         40
        .size:           8
        .value_kind:     global_buffer
      - .actual_access:  read_only
        .address_space:  global
        .offset:         48
        .size:           8
        .value_kind:     global_buffer
      - .offset:         56
        .size:           4
        .value_kind:     by_value
      - .actual_access:  write_only
        .address_space:  global
        .offset:         64
        .size:           8
        .value_kind:     global_buffer
      - .actual_access:  read_only
        .address_space:  global
        .offset:         72
        .size:           8
        .value_kind:     global_buffer
      - .actual_access:  write_only
        .address_space:  global
        .offset:         80
        .size:           8
        .value_kind:     global_buffer
    .group_segment_fixed_size: 16392
    .kernarg_segment_align: 8
    .kernarg_segment_size: 88
    .language:       OpenCL C
    .language_version:
      - 2
      - 0
    .max_flat_workgroup_size: 256
    .name:           _ZN9rocsparseL42csr2bsr_wavefront_per_row_multipass_kernelILj256ELj32ELj16EdliEEv20rocsparse_direction_T4_S2_S2_S2_S2_21rocsparse_index_base_PKT2_PKT3_PKS2_S3_PS4_PS7_PS2_
    .private_segment_fixed_size: 0
    .sgpr_count:     51
    .sgpr_spill_count: 0
    .symbol:         _ZN9rocsparseL42csr2bsr_wavefront_per_row_multipass_kernelILj256ELj32ELj16EdliEEv20rocsparse_direction_T4_S2_S2_S2_S2_21rocsparse_index_base_PKT2_PKT3_PKS2_S3_PS4_PS7_PS2_.kd
    .uniform_work_group_size: 1
    .uses_dynamic_stack: false
    .vgpr_count:     54
    .vgpr_spill_count: 0
    .wavefront_size: 64
  - .agpr_count:     0
    .args:
      - .offset:         0
        .size:           4
        .value_kind:     by_value
      - .offset:         4
        .size:           4
        .value_kind:     by_value
      - .offset:         8
        .size:           4
        .value_kind:     by_value
      - .offset:         12
        .size:           4
        .value_kind:     by_value
      - .offset:         16
        .size:           4
        .value_kind:     by_value
      - .offset:         20
        .size:           4
        .value_kind:     by_value
      - .offset:         24
        .size:           4
        .value_kind:     by_value
      - .actual_access:  read_only
        .address_space:  global
        .offset:         32
        .size:           8
        .value_kind:     global_buffer
      - .actual_access:  read_only
        .address_space:  global
        .offset:         40
        .size:           8
        .value_kind:     global_buffer
      - .actual_access:  read_only
        .address_space:  global
        .offset:         48
        .size:           8
        .value_kind:     global_buffer
      - .offset:         56
        .size:           4
        .value_kind:     by_value
      - .actual_access:  write_only
        .address_space:  global
        .offset:         64
        .size:           8
        .value_kind:     global_buffer
      - .actual_access:  read_only
        .address_space:  global
        .offset:         72
        .size:           8
        .value_kind:     global_buffer
      - .actual_access:  write_only
        .address_space:  global
        .offset:         80
        .size:           8
        .value_kind:     global_buffer
    .group_segment_fixed_size: 8200
    .kernarg_segment_align: 8
    .kernarg_segment_size: 88
    .language:       OpenCL C
    .language_version:
      - 2
      - 0
    .max_flat_workgroup_size: 256
    .name:           _ZN9rocsparseL38csr2bsr_block_per_row_multipass_kernelILj256ELj32EdliEEv20rocsparse_direction_T3_S2_S2_S2_S2_21rocsparse_index_base_PKT1_PKT2_PKS2_S3_PS4_PS7_PS2_
    .private_segment_fixed_size: 0
    .sgpr_count:     62
    .sgpr_spill_count: 0
    .symbol:         _ZN9rocsparseL38csr2bsr_block_per_row_multipass_kernelILj256ELj32EdliEEv20rocsparse_direction_T3_S2_S2_S2_S2_21rocsparse_index_base_PKT1_PKT2_PKS2_S3_PS4_PS7_PS2_.kd
    .uniform_work_group_size: 1
    .uses_dynamic_stack: false
    .vgpr_count:     41
    .vgpr_spill_count: 0
    .wavefront_size: 64
  - .agpr_count:     0
    .args:
      - .offset:         0
        .size:           4
        .value_kind:     by_value
      - .offset:         4
        .size:           4
        .value_kind:     by_value
      - .offset:         8
        .size:           4
        .value_kind:     by_value
      - .offset:         12
        .size:           4
        .value_kind:     by_value
      - .offset:         16
        .size:           4
        .value_kind:     by_value
      - .offset:         20
        .size:           4
        .value_kind:     by_value
      - .offset:         24
        .size:           4
        .value_kind:     by_value
      - .actual_access:  read_only
        .address_space:  global
        .offset:         32
        .size:           8
        .value_kind:     global_buffer
      - .actual_access:  read_only
        .address_space:  global
        .offset:         40
        .size:           8
        .value_kind:     global_buffer
      - .actual_access:  read_only
        .address_space:  global
        .offset:         48
        .size:           8
        .value_kind:     global_buffer
      - .offset:         56
        .size:           4
        .value_kind:     by_value
      - .actual_access:  write_only
        .address_space:  global
        .offset:         64
        .size:           8
        .value_kind:     global_buffer
      - .actual_access:  read_only
        .address_space:  global
        .offset:         72
        .size:           8
        .value_kind:     global_buffer
      - .actual_access:  write_only
        .address_space:  global
        .offset:         80
        .size:           8
        .value_kind:     global_buffer
    .group_segment_fixed_size: 32776
    .kernarg_segment_align: 8
    .kernarg_segment_size: 88
    .language:       OpenCL C
    .language_version:
      - 2
      - 0
    .max_flat_workgroup_size: 256
    .name:           _ZN9rocsparseL38csr2bsr_block_per_row_multipass_kernelILj256ELj64EdliEEv20rocsparse_direction_T3_S2_S2_S2_S2_21rocsparse_index_base_PKT1_PKT2_PKS2_S3_PS4_PS7_PS2_
    .private_segment_fixed_size: 0
    .sgpr_count:     105
    .sgpr_spill_count: 0
    .symbol:         _ZN9rocsparseL38csr2bsr_block_per_row_multipass_kernelILj256ELj64EdliEEv20rocsparse_direction_T3_S2_S2_S2_S2_21rocsparse_index_base_PKT1_PKT2_PKS2_S3_PS4_PS7_PS2_.kd
    .uniform_work_group_size: 1
    .uses_dynamic_stack: false
    .vgpr_count:     65
    .vgpr_spill_count: 0
    .wavefront_size: 64
  - .agpr_count:     0
    .args:
      - .offset:         0
        .size:           4
        .value_kind:     by_value
      - .offset:         4
        .size:           4
        .value_kind:     by_value
      - .offset:         8
        .size:           4
        .value_kind:     by_value
      - .offset:         12
        .size:           4
        .value_kind:     by_value
      - .offset:         16
        .size:           4
        .value_kind:     by_value
      - .offset:         20
        .size:           4
        .value_kind:     by_value
      - .offset:         24
        .size:           4
        .value_kind:     by_value
      - .offset:         28
        .size:           4
        .value_kind:     by_value
      - .actual_access:  read_only
        .address_space:  global
        .offset:         32
        .size:           8
        .value_kind:     global_buffer
      - .actual_access:  read_only
        .address_space:  global
        .offset:         40
        .size:           8
        .value_kind:     global_buffer
      - .actual_access:  read_only
        .address_space:  global
        .offset:         48
        .size:           8
        .value_kind:     global_buffer
      - .offset:         56
        .size:           4
        .value_kind:     by_value
      - .actual_access:  write_only
        .address_space:  global
        .offset:         64
        .size:           8
        .value_kind:     global_buffer
      - .actual_access:  read_only
        .address_space:  global
        .offset:         72
        .size:           8
        .value_kind:     global_buffer
      - .actual_access:  write_only
        .address_space:  global
        .offset:         80
        .size:           8
        .value_kind:     global_buffer
      - .address_space:  global
        .offset:         88
        .size:           8
        .value_kind:     global_buffer
      - .address_space:  global
        .offset:         96
        .size:           8
        .value_kind:     global_buffer
      - .address_space:  global
        .offset:         104
        .size:           8
        .value_kind:     global_buffer
    .group_segment_fixed_size: 0
    .kernarg_segment_align: 8
    .kernarg_segment_size: 112
    .language:       OpenCL C
    .language_version:
      - 2
      - 0
    .max_flat_workgroup_size: 32
    .name:           _ZN9rocsparseL21csr2bsr_65_inf_kernelILj32EdliEEv20rocsparse_direction_T2_S2_S2_S2_S2_S2_21rocsparse_index_base_PKT0_PKT1_PKS2_S3_PS4_PS7_PS2_SD_SE_SC_
    .private_segment_fixed_size: 0
    .sgpr_count:     52
    .sgpr_spill_count: 0
    .symbol:         _ZN9rocsparseL21csr2bsr_65_inf_kernelILj32EdliEEv20rocsparse_direction_T2_S2_S2_S2_S2_S2_21rocsparse_index_base_PKT0_PKT1_PKS2_S3_PS4_PS7_PS2_SD_SE_SC_.kd
    .uniform_work_group_size: 1
    .uses_dynamic_stack: false
    .vgpr_count:     36
    .vgpr_spill_count: 0
    .wavefront_size: 64
  - .agpr_count:     0
    .args:
      - .offset:         0
        .size:           8
        .value_kind:     by_value
      - .offset:         8
        .size:           8
        .value_kind:     by_value
      - .offset:         16
        .size:           8
        .value_kind:     by_value
      - .offset:         24
        .size:           8
        .value_kind:     by_value
      - .offset:         32
        .size:           4
        .value_kind:     by_value
      - .address_space:  global
        .offset:         40
        .size:           8
        .value_kind:     global_buffer
      - .address_space:  global
        .offset:         48
        .size:           8
        .value_kind:     global_buffer
      - .address_space:  global
        .offset:         56
        .size:           8
        .value_kind:     global_buffer
      - .offset:         64
        .size:           4
        .value_kind:     by_value
      - .address_space:  global
        .offset:         72
        .size:           8
        .value_kind:     global_buffer
      - .address_space:  global
        .offset:         80
        .size:           8
        .value_kind:     global_buffer
      - .address_space:  global
        .offset:         88
        .size:           8
        .value_kind:     global_buffer
      - .offset:         96
        .size:           4
        .value_kind:     hidden_block_count_x
      - .offset:         100
        .size:           4
        .value_kind:     hidden_block_count_y
      - .offset:         104
        .size:           4
        .value_kind:     hidden_block_count_z
      - .offset:         108
        .size:           2
        .value_kind:     hidden_group_size_x
      - .offset:         110
        .size:           2
        .value_kind:     hidden_group_size_y
      - .offset:         112
        .size:           2
        .value_kind:     hidden_group_size_z
      - .offset:         114
        .size:           2
        .value_kind:     hidden_remainder_x
      - .offset:         116
        .size:           2
        .value_kind:     hidden_remainder_y
      - .offset:         118
        .size:           2
        .value_kind:     hidden_remainder_z
      - .offset:         136
        .size:           8
        .value_kind:     hidden_global_offset_x
      - .offset:         144
        .size:           8
        .value_kind:     hidden_global_offset_y
      - .offset:         152
        .size:           8
        .value_kind:     hidden_global_offset_z
      - .offset:         160
        .size:           2
        .value_kind:     hidden_grid_dims
    .group_segment_fixed_size: 0
    .kernarg_segment_align: 8
    .kernarg_segment_size: 352
    .language:       OpenCL C
    .language_version:
      - 2
      - 0
    .max_flat_workgroup_size: 256
    .name:           _ZN9rocsparseL35csr2bsr_block_dim_equals_one_kernelILj256EdilEEvT2_S1_S1_S1_21rocsparse_index_base_PKT0_PKT1_PKS1_S2_PS3_PS6_PS1_
    .private_segment_fixed_size: 0
    .sgpr_count:     20
    .sgpr_spill_count: 0
    .symbol:         _ZN9rocsparseL35csr2bsr_block_dim_equals_one_kernelILj256EdilEEvT2_S1_S1_S1_21rocsparse_index_base_PKT0_PKT1_PKS1_S2_PS3_PS6_PS1_.kd
    .uniform_work_group_size: 1
    .uses_dynamic_stack: false
    .vgpr_count:     10
    .vgpr_spill_count: 0
    .wavefront_size: 64
  - .agpr_count:     0
    .args:
      - .offset:         0
        .size:           4
        .value_kind:     by_value
      - .offset:         8
        .size:           8
        .value_kind:     by_value
      - .offset:         16
        .size:           8
        .value_kind:     by_value
      - .offset:         24
        .size:           8
        .value_kind:     by_value
      - .offset:         32
        .size:           8
        .value_kind:     by_value
      - .offset:         40
        .size:           8
        .value_kind:     by_value
      - .offset:         48
        .size:           4
        .value_kind:     by_value
      - .actual_access:  read_only
        .address_space:  global
        .offset:         56
        .size:           8
        .value_kind:     global_buffer
      - .actual_access:  read_only
        .address_space:  global
        .offset:         64
        .size:           8
        .value_kind:     global_buffer
      - .actual_access:  read_only
        .address_space:  global
        .offset:         72
        .size:           8
        .value_kind:     global_buffer
      - .offset:         80
        .size:           4
        .value_kind:     by_value
      - .actual_access:  write_only
        .address_space:  global
        .offset:         88
        .size:           8
        .value_kind:     global_buffer
      - .actual_access:  read_only
        .address_space:  global
        .offset:         96
        .size:           8
        .value_kind:     global_buffer
      - .actual_access:  write_only
        .address_space:  global
        .offset:         104
        .size:           8
        .value_kind:     global_buffer
    .group_segment_fixed_size: 2064
    .kernarg_segment_align: 8
    .kernarg_segment_size: 112
    .language:       OpenCL C
    .language_version:
      - 2
      - 0
    .max_flat_workgroup_size: 256
    .name:           _ZN9rocsparseL42csr2bsr_wavefront_per_row_multipass_kernelILj256ELj16ELj4EdilEEv20rocsparse_direction_T4_S2_S2_S2_S2_21rocsparse_index_base_PKT2_PKT3_PKS2_S3_PS4_PS7_PS2_
    .private_segment_fixed_size: 0
    .sgpr_count:     37
    .sgpr_spill_count: 0
    .symbol:         _ZN9rocsparseL42csr2bsr_wavefront_per_row_multipass_kernelILj256ELj16ELj4EdilEEv20rocsparse_direction_T4_S2_S2_S2_S2_21rocsparse_index_base_PKT2_PKT3_PKS2_S3_PS4_PS7_PS2_.kd
    .uniform_work_group_size: 1
    .uses_dynamic_stack: false
    .vgpr_count:     35
    .vgpr_spill_count: 0
    .wavefront_size: 64
  - .agpr_count:     0
    .args:
      - .offset:         0
        .size:           4
        .value_kind:     by_value
      - .offset:         8
        .size:           8
        .value_kind:     by_value
      - .offset:         16
        .size:           8
        .value_kind:     by_value
      - .offset:         24
        .size:           8
        .value_kind:     by_value
      - .offset:         32
        .size:           8
        .value_kind:     by_value
      - .offset:         40
        .size:           8
        .value_kind:     by_value
      - .offset:         48
        .size:           4
        .value_kind:     by_value
      - .actual_access:  read_only
        .address_space:  global
        .offset:         56
        .size:           8
        .value_kind:     global_buffer
      - .actual_access:  read_only
        .address_space:  global
        .offset:         64
        .size:           8
        .value_kind:     global_buffer
      - .actual_access:  read_only
        .address_space:  global
        .offset:         72
        .size:           8
        .value_kind:     global_buffer
      - .offset:         80
        .size:           4
        .value_kind:     by_value
      - .actual_access:  write_only
        .address_space:  global
        .offset:         88
        .size:           8
        .value_kind:     global_buffer
      - .actual_access:  read_only
        .address_space:  global
        .offset:         96
        .size:           8
        .value_kind:     global_buffer
      - .actual_access:  write_only
        .address_space:  global
        .offset:         104
        .size:           8
        .value_kind:     global_buffer
    .group_segment_fixed_size: 2056
    .kernarg_segment_align: 8
    .kernarg_segment_size: 112
    .language:       OpenCL C
    .language_version:
      - 2
      - 0
    .max_flat_workgroup_size: 256
    .name:           _ZN9rocsparseL42csr2bsr_wavefront_per_row_multipass_kernelILj256ELj64ELj8EdilEEv20rocsparse_direction_T4_S2_S2_S2_S2_21rocsparse_index_base_PKT2_PKT3_PKS2_S3_PS4_PS7_PS2_
    .private_segment_fixed_size: 0
    .sgpr_count:     37
    .sgpr_spill_count: 0
    .symbol:         _ZN9rocsparseL42csr2bsr_wavefront_per_row_multipass_kernelILj256ELj64ELj8EdilEEv20rocsparse_direction_T4_S2_S2_S2_S2_21rocsparse_index_base_PKT2_PKT3_PKS2_S3_PS4_PS7_PS2_.kd
    .uniform_work_group_size: 1
    .uses_dynamic_stack: false
    .vgpr_count:     35
    .vgpr_spill_count: 0
    .wavefront_size: 64
  - .agpr_count:     0
    .args:
      - .offset:         0
        .size:           4
        .value_kind:     by_value
      - .offset:         8
        .size:           8
        .value_kind:     by_value
      - .offset:         16
        .size:           8
        .value_kind:     by_value
      - .offset:         24
        .size:           8
        .value_kind:     by_value
      - .offset:         32
        .size:           8
        .value_kind:     by_value
      - .offset:         40
        .size:           8
        .value_kind:     by_value
      - .offset:         48
        .size:           4
        .value_kind:     by_value
      - .actual_access:  read_only
        .address_space:  global
        .offset:         56
        .size:           8
        .value_kind:     global_buffer
      - .actual_access:  read_only
        .address_space:  global
        .offset:         64
        .size:           8
        .value_kind:     global_buffer
      - .actual_access:  read_only
        .address_space:  global
        .offset:         72
        .size:           8
        .value_kind:     global_buffer
      - .offset:         80
        .size:           4
        .value_kind:     by_value
      - .actual_access:  write_only
        .address_space:  global
        .offset:         88
        .size:           8
        .value_kind:     global_buffer
      - .actual_access:  read_only
        .address_space:  global
        .offset:         96
        .size:           8
        .value_kind:     global_buffer
      - .actual_access:  write_only
        .address_space:  global
        .offset:         104
        .size:           8
        .value_kind:     global_buffer
    .group_segment_fixed_size: 4104
    .kernarg_segment_align: 8
    .kernarg_segment_size: 112
    .language:       OpenCL C
    .language_version:
      - 2
      - 0
    .max_flat_workgroup_size: 256
    .name:           _ZN9rocsparseL42csr2bsr_wavefront_per_row_multipass_kernelILj256ELj32ELj8EdilEEv20rocsparse_direction_T4_S2_S2_S2_S2_21rocsparse_index_base_PKT2_PKT3_PKS2_S3_PS4_PS7_PS2_
    .private_segment_fixed_size: 0
    .sgpr_count:     42
    .sgpr_spill_count: 0
    .symbol:         _ZN9rocsparseL42csr2bsr_wavefront_per_row_multipass_kernelILj256ELj32ELj8EdilEEv20rocsparse_direction_T4_S2_S2_S2_S2_21rocsparse_index_base_PKT2_PKT3_PKS2_S3_PS4_PS7_PS2_.kd
    .uniform_work_group_size: 1
    .uses_dynamic_stack: false
    .vgpr_count:     41
    .vgpr_spill_count: 0
    .wavefront_size: 64
  - .agpr_count:     0
    .args:
      - .offset:         0
        .size:           4
        .value_kind:     by_value
      - .offset:         8
        .size:           8
        .value_kind:     by_value
      - .offset:         16
        .size:           8
        .value_kind:     by_value
      - .offset:         24
        .size:           8
        .value_kind:     by_value
      - .offset:         32
        .size:           8
        .value_kind:     by_value
      - .offset:         40
        .size:           8
        .value_kind:     by_value
      - .offset:         48
        .size:           4
        .value_kind:     by_value
      - .actual_access:  read_only
        .address_space:  global
        .offset:         56
        .size:           8
        .value_kind:     global_buffer
      - .actual_access:  read_only
        .address_space:  global
        .offset:         64
        .size:           8
        .value_kind:     global_buffer
      - .actual_access:  read_only
        .address_space:  global
        .offset:         72
        .size:           8
        .value_kind:     global_buffer
      - .offset:         80
        .size:           4
        .value_kind:     by_value
      - .actual_access:  write_only
        .address_space:  global
        .offset:         88
        .size:           8
        .value_kind:     global_buffer
      - .actual_access:  read_only
        .address_space:  global
        .offset:         96
        .size:           8
        .value_kind:     global_buffer
      - .actual_access:  write_only
        .address_space:  global
        .offset:         104
        .size:           8
        .value_kind:     global_buffer
    .group_segment_fixed_size: 8200
    .kernarg_segment_align: 8
    .kernarg_segment_size: 112
    .language:       OpenCL C
    .language_version:
      - 2
      - 0
    .max_flat_workgroup_size: 256
    .name:           _ZN9rocsparseL42csr2bsr_wavefront_per_row_multipass_kernelILj256ELj64ELj16EdilEEv20rocsparse_direction_T4_S2_S2_S2_S2_21rocsparse_index_base_PKT2_PKT3_PKS2_S3_PS4_PS7_PS2_
    .private_segment_fixed_size: 0
    .sgpr_count:     46
    .sgpr_spill_count: 0
    .symbol:         _ZN9rocsparseL42csr2bsr_wavefront_per_row_multipass_kernelILj256ELj64ELj16EdilEEv20rocsparse_direction_T4_S2_S2_S2_S2_21rocsparse_index_base_PKT2_PKT3_PKS2_S3_PS4_PS7_PS2_.kd
    .uniform_work_group_size: 1
    .uses_dynamic_stack: false
    .vgpr_count:     45
    .vgpr_spill_count: 0
    .wavefront_size: 64
  - .agpr_count:     0
    .args:
      - .offset:         0
        .size:           4
        .value_kind:     by_value
      - .offset:         8
        .size:           8
        .value_kind:     by_value
      - .offset:         16
        .size:           8
        .value_kind:     by_value
      - .offset:         24
        .size:           8
        .value_kind:     by_value
      - .offset:         32
        .size:           8
        .value_kind:     by_value
      - .offset:         40
        .size:           8
        .value_kind:     by_value
      - .offset:         48
        .size:           4
        .value_kind:     by_value
      - .actual_access:  read_only
        .address_space:  global
        .offset:         56
        .size:           8
        .value_kind:     global_buffer
      - .actual_access:  read_only
        .address_space:  global
        .offset:         64
        .size:           8
        .value_kind:     global_buffer
      - .actual_access:  read_only
        .address_space:  global
        .offset:         72
        .size:           8
        .value_kind:     global_buffer
      - .offset:         80
        .size:           4
        .value_kind:     by_value
      - .actual_access:  write_only
        .address_space:  global
        .offset:         88
        .size:           8
        .value_kind:     global_buffer
      - .actual_access:  read_only
        .address_space:  global
        .offset:         96
        .size:           8
        .value_kind:     global_buffer
      - .actual_access:  write_only
        .address_space:  global
        .offset:         104
        .size:           8
        .value_kind:     global_buffer
    .group_segment_fixed_size: 16392
    .kernarg_segment_align: 8
    .kernarg_segment_size: 112
    .language:       OpenCL C
    .language_version:
      - 2
      - 0
    .max_flat_workgroup_size: 256
    .name:           _ZN9rocsparseL42csr2bsr_wavefront_per_row_multipass_kernelILj256ELj32ELj16EdilEEv20rocsparse_direction_T4_S2_S2_S2_S2_21rocsparse_index_base_PKT2_PKT3_PKS2_S3_PS4_PS7_PS2_
    .private_segment_fixed_size: 0
    .sgpr_count:     54
    .sgpr_spill_count: 0
    .symbol:         _ZN9rocsparseL42csr2bsr_wavefront_per_row_multipass_kernelILj256ELj32ELj16EdilEEv20rocsparse_direction_T4_S2_S2_S2_S2_21rocsparse_index_base_PKT2_PKT3_PKS2_S3_PS4_PS7_PS2_.kd
    .uniform_work_group_size: 1
    .uses_dynamic_stack: false
    .vgpr_count:     53
    .vgpr_spill_count: 0
    .wavefront_size: 64
  - .agpr_count:     0
    .args:
      - .offset:         0
        .size:           4
        .value_kind:     by_value
      - .offset:         8
        .size:           8
        .value_kind:     by_value
      - .offset:         16
        .size:           8
        .value_kind:     by_value
      - .offset:         24
        .size:           8
        .value_kind:     by_value
      - .offset:         32
        .size:           8
        .value_kind:     by_value
      - .offset:         40
        .size:           8
        .value_kind:     by_value
      - .offset:         48
        .size:           4
        .value_kind:     by_value
      - .actual_access:  read_only
        .address_space:  global
        .offset:         56
        .size:           8
        .value_kind:     global_buffer
      - .actual_access:  read_only
        .address_space:  global
        .offset:         64
        .size:           8
        .value_kind:     global_buffer
      - .actual_access:  read_only
        .address_space:  global
        .offset:         72
        .size:           8
        .value_kind:     global_buffer
      - .offset:         80
        .size:           4
        .value_kind:     by_value
      - .actual_access:  write_only
        .address_space:  global
        .offset:         88
        .size:           8
        .value_kind:     global_buffer
      - .actual_access:  read_only
        .address_space:  global
        .offset:         96
        .size:           8
        .value_kind:     global_buffer
      - .actual_access:  write_only
        .address_space:  global
        .offset:         104
        .size:           8
        .value_kind:     global_buffer
    .group_segment_fixed_size: 8200
    .kernarg_segment_align: 8
    .kernarg_segment_size: 112
    .language:       OpenCL C
    .language_version:
      - 2
      - 0
    .max_flat_workgroup_size: 256
    .name:           _ZN9rocsparseL38csr2bsr_block_per_row_multipass_kernelILj256ELj32EdilEEv20rocsparse_direction_T3_S2_S2_S2_S2_21rocsparse_index_base_PKT1_PKT2_PKS2_S3_PS4_PS7_PS2_
    .private_segment_fixed_size: 0
    .sgpr_count:     68
    .sgpr_spill_count: 0
    .symbol:         _ZN9rocsparseL38csr2bsr_block_per_row_multipass_kernelILj256ELj32EdilEEv20rocsparse_direction_T3_S2_S2_S2_S2_21rocsparse_index_base_PKT1_PKT2_PKS2_S3_PS4_PS7_PS2_.kd
    .uniform_work_group_size: 1
    .uses_dynamic_stack: false
    .vgpr_count:     40
    .vgpr_spill_count: 0
    .wavefront_size: 64
  - .agpr_count:     0
    .args:
      - .offset:         0
        .size:           4
        .value_kind:     by_value
      - .offset:         8
        .size:           8
        .value_kind:     by_value
      - .offset:         16
        .size:           8
        .value_kind:     by_value
      - .offset:         24
        .size:           8
        .value_kind:     by_value
      - .offset:         32
        .size:           8
        .value_kind:     by_value
      - .offset:         40
        .size:           8
        .value_kind:     by_value
      - .offset:         48
        .size:           4
        .value_kind:     by_value
      - .actual_access:  read_only
        .address_space:  global
        .offset:         56
        .size:           8
        .value_kind:     global_buffer
      - .actual_access:  read_only
        .address_space:  global
        .offset:         64
        .size:           8
        .value_kind:     global_buffer
      - .actual_access:  read_only
        .address_space:  global
        .offset:         72
        .size:           8
        .value_kind:     global_buffer
      - .offset:         80
        .size:           4
        .value_kind:     by_value
      - .actual_access:  write_only
        .address_space:  global
        .offset:         88
        .size:           8
        .value_kind:     global_buffer
      - .actual_access:  read_only
        .address_space:  global
        .offset:         96
        .size:           8
        .value_kind:     global_buffer
      - .actual_access:  write_only
        .address_space:  global
        .offset:         104
        .size:           8
        .value_kind:     global_buffer
    .group_segment_fixed_size: 32776
    .kernarg_segment_align: 8
    .kernarg_segment_size: 112
    .language:       OpenCL C
    .language_version:
      - 2
      - 0
    .max_flat_workgroup_size: 256
    .name:           _ZN9rocsparseL38csr2bsr_block_per_row_multipass_kernelILj256ELj64EdilEEv20rocsparse_direction_T3_S2_S2_S2_S2_21rocsparse_index_base_PKT1_PKT2_PKS2_S3_PS4_PS7_PS2_
    .private_segment_fixed_size: 0
    .sgpr_count:     106
    .sgpr_spill_count: 0
    .symbol:         _ZN9rocsparseL38csr2bsr_block_per_row_multipass_kernelILj256ELj64EdilEEv20rocsparse_direction_T3_S2_S2_S2_S2_21rocsparse_index_base_PKT1_PKT2_PKS2_S3_PS4_PS7_PS2_.kd
    .uniform_work_group_size: 1
    .uses_dynamic_stack: false
    .vgpr_count:     67
    .vgpr_spill_count: 0
    .wavefront_size: 64
  - .agpr_count:     0
    .args:
      - .offset:         0
        .size:           4
        .value_kind:     by_value
      - .offset:         8
        .size:           8
        .value_kind:     by_value
      - .offset:         16
        .size:           8
        .value_kind:     by_value
      - .offset:         24
        .size:           8
        .value_kind:     by_value
      - .offset:         32
        .size:           8
        .value_kind:     by_value
      - .offset:         40
        .size:           8
        .value_kind:     by_value
      - .offset:         48
        .size:           8
        .value_kind:     by_value
      - .offset:         56
        .size:           4
        .value_kind:     by_value
      - .actual_access:  read_only
        .address_space:  global
        .offset:         64
        .size:           8
        .value_kind:     global_buffer
      - .actual_access:  read_only
        .address_space:  global
        .offset:         72
        .size:           8
        .value_kind:     global_buffer
      - .actual_access:  read_only
        .address_space:  global
        .offset:         80
        .size:           8
        .value_kind:     global_buffer
      - .offset:         88
        .size:           4
        .value_kind:     by_value
      - .actual_access:  write_only
        .address_space:  global
        .offset:         96
        .size:           8
        .value_kind:     global_buffer
      - .actual_access:  read_only
        .address_space:  global
        .offset:         104
        .size:           8
        .value_kind:     global_buffer
      - .actual_access:  write_only
        .address_space:  global
        .offset:         112
        .size:           8
        .value_kind:     global_buffer
      - .address_space:  global
        .offset:         120
        .size:           8
        .value_kind:     global_buffer
      - .address_space:  global
        .offset:         128
        .size:           8
        .value_kind:     global_buffer
      - .address_space:  global
        .offset:         136
        .size:           8
        .value_kind:     global_buffer
    .group_segment_fixed_size: 0
    .kernarg_segment_align: 8
    .kernarg_segment_size: 144
    .language:       OpenCL C
    .language_version:
      - 2
      - 0
    .max_flat_workgroup_size: 32
    .name:           _ZN9rocsparseL21csr2bsr_65_inf_kernelILj32EdilEEv20rocsparse_direction_T2_S2_S2_S2_S2_S2_21rocsparse_index_base_PKT0_PKT1_PKS2_S3_PS4_PS7_PS2_SD_SE_SC_
    .private_segment_fixed_size: 0
    .sgpr_count:     58
    .sgpr_spill_count: 0
    .symbol:         _ZN9rocsparseL21csr2bsr_65_inf_kernelILj32EdilEEv20rocsparse_direction_T2_S2_S2_S2_S2_S2_21rocsparse_index_base_PKT0_PKT1_PKS2_S3_PS4_PS7_PS2_SD_SE_SC_.kd
    .uniform_work_group_size: 1
    .uses_dynamic_stack: false
    .vgpr_count:     46
    .vgpr_spill_count: 0
    .wavefront_size: 64
  - .agpr_count:     0
    .args:
      - .offset:         0
        .size:           8
        .value_kind:     by_value
      - .offset:         8
        .size:           8
        .value_kind:     by_value
      - .offset:         16
        .size:           8
        .value_kind:     by_value
      - .offset:         24
        .size:           8
        .value_kind:     by_value
      - .offset:         32
        .size:           4
        .value_kind:     by_value
      - .address_space:  global
        .offset:         40
        .size:           8
        .value_kind:     global_buffer
      - .address_space:  global
        .offset:         48
        .size:           8
        .value_kind:     global_buffer
      - .address_space:  global
        .offset:         56
        .size:           8
        .value_kind:     global_buffer
      - .offset:         64
        .size:           4
        .value_kind:     by_value
      - .address_space:  global
        .offset:         72
        .size:           8
        .value_kind:     global_buffer
      - .address_space:  global
        .offset:         80
        .size:           8
        .value_kind:     global_buffer
      - .address_space:  global
        .offset:         88
        .size:           8
        .value_kind:     global_buffer
      - .offset:         96
        .size:           4
        .value_kind:     hidden_block_count_x
      - .offset:         100
        .size:           4
        .value_kind:     hidden_block_count_y
      - .offset:         104
        .size:           4
        .value_kind:     hidden_block_count_z
      - .offset:         108
        .size:           2
        .value_kind:     hidden_group_size_x
      - .offset:         110
        .size:           2
        .value_kind:     hidden_group_size_y
      - .offset:         112
        .size:           2
        .value_kind:     hidden_group_size_z
      - .offset:         114
        .size:           2
        .value_kind:     hidden_remainder_x
      - .offset:         116
        .size:           2
        .value_kind:     hidden_remainder_y
      - .offset:         118
        .size:           2
        .value_kind:     hidden_remainder_z
      - .offset:         136
        .size:           8
        .value_kind:     hidden_global_offset_x
      - .offset:         144
        .size:           8
        .value_kind:     hidden_global_offset_y
      - .offset:         152
        .size:           8
        .value_kind:     hidden_global_offset_z
      - .offset:         160
        .size:           2
        .value_kind:     hidden_grid_dims
    .group_segment_fixed_size: 0
    .kernarg_segment_align: 8
    .kernarg_segment_size: 352
    .language:       OpenCL C
    .language_version:
      - 2
      - 0
    .max_flat_workgroup_size: 256
    .name:           _ZN9rocsparseL35csr2bsr_block_dim_equals_one_kernelILj256EdllEEvT2_S1_S1_S1_21rocsparse_index_base_PKT0_PKT1_PKS1_S2_PS3_PS6_PS1_
    .private_segment_fixed_size: 0
    .sgpr_count:     24
    .sgpr_spill_count: 0
    .symbol:         _ZN9rocsparseL35csr2bsr_block_dim_equals_one_kernelILj256EdllEEvT2_S1_S1_S1_21rocsparse_index_base_PKT0_PKT1_PKS1_S2_PS3_PS6_PS1_.kd
    .uniform_work_group_size: 1
    .uses_dynamic_stack: false
    .vgpr_count:     12
    .vgpr_spill_count: 0
    .wavefront_size: 64
  - .agpr_count:     0
    .args:
      - .offset:         0
        .size:           4
        .value_kind:     by_value
      - .offset:         8
        .size:           8
        .value_kind:     by_value
      - .offset:         16
        .size:           8
        .value_kind:     by_value
      - .offset:         24
        .size:           8
        .value_kind:     by_value
      - .offset:         32
        .size:           8
        .value_kind:     by_value
      - .offset:         40
        .size:           8
        .value_kind:     by_value
      - .offset:         48
        .size:           4
        .value_kind:     by_value
      - .actual_access:  read_only
        .address_space:  global
        .offset:         56
        .size:           8
        .value_kind:     global_buffer
      - .actual_access:  read_only
        .address_space:  global
        .offset:         64
        .size:           8
        .value_kind:     global_buffer
      - .actual_access:  read_only
        .address_space:  global
        .offset:         72
        .size:           8
        .value_kind:     global_buffer
      - .offset:         80
        .size:           4
        .value_kind:     by_value
      - .actual_access:  write_only
        .address_space:  global
        .offset:         88
        .size:           8
        .value_kind:     global_buffer
      - .actual_access:  read_only
        .address_space:  global
        .offset:         96
        .size:           8
        .value_kind:     global_buffer
      - .actual_access:  write_only
        .address_space:  global
        .offset:         104
        .size:           8
        .value_kind:     global_buffer
    .group_segment_fixed_size: 2064
    .kernarg_segment_align: 8
    .kernarg_segment_size: 112
    .language:       OpenCL C
    .language_version:
      - 2
      - 0
    .max_flat_workgroup_size: 256
    .name:           _ZN9rocsparseL42csr2bsr_wavefront_per_row_multipass_kernelILj256ELj16ELj4EdllEEv20rocsparse_direction_T4_S2_S2_S2_S2_21rocsparse_index_base_PKT2_PKT3_PKS2_S3_PS4_PS7_PS2_
    .private_segment_fixed_size: 0
    .sgpr_count:     38
    .sgpr_spill_count: 0
    .symbol:         _ZN9rocsparseL42csr2bsr_wavefront_per_row_multipass_kernelILj256ELj16ELj4EdllEEv20rocsparse_direction_T4_S2_S2_S2_S2_21rocsparse_index_base_PKT2_PKT3_PKS2_S3_PS4_PS7_PS2_.kd
    .uniform_work_group_size: 1
    .uses_dynamic_stack: false
    .vgpr_count:     42
    .vgpr_spill_count: 0
    .wavefront_size: 64
  - .agpr_count:     0
    .args:
      - .offset:         0
        .size:           4
        .value_kind:     by_value
      - .offset:         8
        .size:           8
        .value_kind:     by_value
      - .offset:         16
        .size:           8
        .value_kind:     by_value
      - .offset:         24
        .size:           8
        .value_kind:     by_value
      - .offset:         32
        .size:           8
        .value_kind:     by_value
      - .offset:         40
        .size:           8
        .value_kind:     by_value
      - .offset:         48
        .size:           4
        .value_kind:     by_value
      - .actual_access:  read_only
        .address_space:  global
        .offset:         56
        .size:           8
        .value_kind:     global_buffer
      - .actual_access:  read_only
        .address_space:  global
        .offset:         64
        .size:           8
        .value_kind:     global_buffer
      - .actual_access:  read_only
        .address_space:  global
        .offset:         72
        .size:           8
        .value_kind:     global_buffer
      - .offset:         80
        .size:           4
        .value_kind:     by_value
      - .actual_access:  write_only
        .address_space:  global
        .offset:         88
        .size:           8
        .value_kind:     global_buffer
      - .actual_access:  read_only
        .address_space:  global
        .offset:         96
        .size:           8
        .value_kind:     global_buffer
      - .actual_access:  write_only
        .address_space:  global
        .offset:         104
        .size:           8
        .value_kind:     global_buffer
    .group_segment_fixed_size: 2056
    .kernarg_segment_align: 8
    .kernarg_segment_size: 112
    .language:       OpenCL C
    .language_version:
      - 2
      - 0
    .max_flat_workgroup_size: 256
    .name:           _ZN9rocsparseL42csr2bsr_wavefront_per_row_multipass_kernelILj256ELj64ELj8EdllEEv20rocsparse_direction_T4_S2_S2_S2_S2_21rocsparse_index_base_PKT2_PKT3_PKS2_S3_PS4_PS7_PS2_
    .private_segment_fixed_size: 0
    .sgpr_count:     38
    .sgpr_spill_count: 0
    .symbol:         _ZN9rocsparseL42csr2bsr_wavefront_per_row_multipass_kernelILj256ELj64ELj8EdllEEv20rocsparse_direction_T4_S2_S2_S2_S2_21rocsparse_index_base_PKT2_PKT3_PKS2_S3_PS4_PS7_PS2_.kd
    .uniform_work_group_size: 1
    .uses_dynamic_stack: false
    .vgpr_count:     42
    .vgpr_spill_count: 0
    .wavefront_size: 64
  - .agpr_count:     0
    .args:
      - .offset:         0
        .size:           4
        .value_kind:     by_value
      - .offset:         8
        .size:           8
        .value_kind:     by_value
      - .offset:         16
        .size:           8
        .value_kind:     by_value
      - .offset:         24
        .size:           8
        .value_kind:     by_value
      - .offset:         32
        .size:           8
        .value_kind:     by_value
      - .offset:         40
        .size:           8
        .value_kind:     by_value
      - .offset:         48
        .size:           4
        .value_kind:     by_value
      - .actual_access:  read_only
        .address_space:  global
        .offset:         56
        .size:           8
        .value_kind:     global_buffer
      - .actual_access:  read_only
        .address_space:  global
        .offset:         64
        .size:           8
        .value_kind:     global_buffer
      - .actual_access:  read_only
        .address_space:  global
        .offset:         72
        .size:           8
        .value_kind:     global_buffer
      - .offset:         80
        .size:           4
        .value_kind:     by_value
      - .actual_access:  write_only
        .address_space:  global
        .offset:         88
        .size:           8
        .value_kind:     global_buffer
      - .actual_access:  read_only
        .address_space:  global
        .offset:         96
        .size:           8
        .value_kind:     global_buffer
      - .actual_access:  write_only
        .address_space:  global
        .offset:         104
        .size:           8
        .value_kind:     global_buffer
    .group_segment_fixed_size: 4104
    .kernarg_segment_align: 8
    .kernarg_segment_size: 112
    .language:       OpenCL C
    .language_version:
      - 2
      - 0
    .max_flat_workgroup_size: 256
    .name:           _ZN9rocsparseL42csr2bsr_wavefront_per_row_multipass_kernelILj256ELj32ELj8EdllEEv20rocsparse_direction_T4_S2_S2_S2_S2_21rocsparse_index_base_PKT2_PKT3_PKS2_S3_PS4_PS7_PS2_
    .private_segment_fixed_size: 0
    .sgpr_count:     43
    .sgpr_spill_count: 0
    .symbol:         _ZN9rocsparseL42csr2bsr_wavefront_per_row_multipass_kernelILj256ELj32ELj8EdllEEv20rocsparse_direction_T4_S2_S2_S2_S2_21rocsparse_index_base_PKT2_PKT3_PKS2_S3_PS4_PS7_PS2_.kd
    .uniform_work_group_size: 1
    .uses_dynamic_stack: false
    .vgpr_count:     48
    .vgpr_spill_count: 0
    .wavefront_size: 64
  - .agpr_count:     0
    .args:
      - .offset:         0
        .size:           4
        .value_kind:     by_value
      - .offset:         8
        .size:           8
        .value_kind:     by_value
      - .offset:         16
        .size:           8
        .value_kind:     by_value
      - .offset:         24
        .size:           8
        .value_kind:     by_value
      - .offset:         32
        .size:           8
        .value_kind:     by_value
      - .offset:         40
        .size:           8
        .value_kind:     by_value
      - .offset:         48
        .size:           4
        .value_kind:     by_value
      - .actual_access:  read_only
        .address_space:  global
        .offset:         56
        .size:           8
        .value_kind:     global_buffer
      - .actual_access:  read_only
        .address_space:  global
        .offset:         64
        .size:           8
        .value_kind:     global_buffer
      - .actual_access:  read_only
        .address_space:  global
        .offset:         72
        .size:           8
        .value_kind:     global_buffer
      - .offset:         80
        .size:           4
        .value_kind:     by_value
      - .actual_access:  write_only
        .address_space:  global
        .offset:         88
        .size:           8
        .value_kind:     global_buffer
      - .actual_access:  read_only
        .address_space:  global
        .offset:         96
        .size:           8
        .value_kind:     global_buffer
      - .actual_access:  write_only
        .address_space:  global
        .offset:         104
        .size:           8
        .value_kind:     global_buffer
    .group_segment_fixed_size: 8200
    .kernarg_segment_align: 8
    .kernarg_segment_size: 112
    .language:       OpenCL C
    .language_version:
      - 2
      - 0
    .max_flat_workgroup_size: 256
    .name:           _ZN9rocsparseL42csr2bsr_wavefront_per_row_multipass_kernelILj256ELj64ELj16EdllEEv20rocsparse_direction_T4_S2_S2_S2_S2_21rocsparse_index_base_PKT2_PKT3_PKS2_S3_PS4_PS7_PS2_
    .private_segment_fixed_size: 0
    .sgpr_count:     47
    .sgpr_spill_count: 0
    .symbol:         _ZN9rocsparseL42csr2bsr_wavefront_per_row_multipass_kernelILj256ELj64ELj16EdllEEv20rocsparse_direction_T4_S2_S2_S2_S2_21rocsparse_index_base_PKT2_PKT3_PKS2_S3_PS4_PS7_PS2_.kd
    .uniform_work_group_size: 1
    .uses_dynamic_stack: false
    .vgpr_count:     52
    .vgpr_spill_count: 0
    .wavefront_size: 64
  - .agpr_count:     0
    .args:
      - .offset:         0
        .size:           4
        .value_kind:     by_value
      - .offset:         8
        .size:           8
        .value_kind:     by_value
      - .offset:         16
        .size:           8
        .value_kind:     by_value
      - .offset:         24
        .size:           8
        .value_kind:     by_value
      - .offset:         32
        .size:           8
        .value_kind:     by_value
      - .offset:         40
        .size:           8
        .value_kind:     by_value
      - .offset:         48
        .size:           4
        .value_kind:     by_value
      - .actual_access:  read_only
        .address_space:  global
        .offset:         56
        .size:           8
        .value_kind:     global_buffer
      - .actual_access:  read_only
        .address_space:  global
        .offset:         64
        .size:           8
        .value_kind:     global_buffer
      - .actual_access:  read_only
        .address_space:  global
        .offset:         72
        .size:           8
        .value_kind:     global_buffer
      - .offset:         80
        .size:           4
        .value_kind:     by_value
      - .actual_access:  write_only
        .address_space:  global
        .offset:         88
        .size:           8
        .value_kind:     global_buffer
      - .actual_access:  read_only
        .address_space:  global
        .offset:         96
        .size:           8
        .value_kind:     global_buffer
      - .actual_access:  write_only
        .address_space:  global
        .offset:         104
        .size:           8
        .value_kind:     global_buffer
    .group_segment_fixed_size: 16392
    .kernarg_segment_align: 8
    .kernarg_segment_size: 112
    .language:       OpenCL C
    .language_version:
      - 2
      - 0
    .max_flat_workgroup_size: 256
    .name:           _ZN9rocsparseL42csr2bsr_wavefront_per_row_multipass_kernelILj256ELj32ELj16EdllEEv20rocsparse_direction_T4_S2_S2_S2_S2_21rocsparse_index_base_PKT2_PKT3_PKS2_S3_PS4_PS7_PS2_
    .private_segment_fixed_size: 0
    .sgpr_count:     55
    .sgpr_spill_count: 0
    .symbol:         _ZN9rocsparseL42csr2bsr_wavefront_per_row_multipass_kernelILj256ELj32ELj16EdllEEv20rocsparse_direction_T4_S2_S2_S2_S2_21rocsparse_index_base_PKT2_PKT3_PKS2_S3_PS4_PS7_PS2_.kd
    .uniform_work_group_size: 1
    .uses_dynamic_stack: false
    .vgpr_count:     60
    .vgpr_spill_count: 0
    .wavefront_size: 64
  - .agpr_count:     0
    .args:
      - .offset:         0
        .size:           4
        .value_kind:     by_value
      - .offset:         8
        .size:           8
        .value_kind:     by_value
      - .offset:         16
        .size:           8
        .value_kind:     by_value
      - .offset:         24
        .size:           8
        .value_kind:     by_value
      - .offset:         32
        .size:           8
        .value_kind:     by_value
      - .offset:         40
        .size:           8
        .value_kind:     by_value
      - .offset:         48
        .size:           4
        .value_kind:     by_value
      - .actual_access:  read_only
        .address_space:  global
        .offset:         56
        .size:           8
        .value_kind:     global_buffer
      - .actual_access:  read_only
        .address_space:  global
        .offset:         64
        .size:           8
        .value_kind:     global_buffer
      - .actual_access:  read_only
        .address_space:  global
        .offset:         72
        .size:           8
        .value_kind:     global_buffer
      - .offset:         80
        .size:           4
        .value_kind:     by_value
      - .actual_access:  write_only
        .address_space:  global
        .offset:         88
        .size:           8
        .value_kind:     global_buffer
      - .actual_access:  read_only
        .address_space:  global
        .offset:         96
        .size:           8
        .value_kind:     global_buffer
      - .actual_access:  write_only
        .address_space:  global
        .offset:         104
        .size:           8
        .value_kind:     global_buffer
    .group_segment_fixed_size: 8200
    .kernarg_segment_align: 8
    .kernarg_segment_size: 112
    .language:       OpenCL C
    .language_version:
      - 2
      - 0
    .max_flat_workgroup_size: 256
    .name:           _ZN9rocsparseL38csr2bsr_block_per_row_multipass_kernelILj256ELj32EdllEEv20rocsparse_direction_T3_S2_S2_S2_S2_21rocsparse_index_base_PKT1_PKT2_PKS2_S3_PS4_PS7_PS2_
    .private_segment_fixed_size: 0
    .sgpr_count:     69
    .sgpr_spill_count: 0
    .symbol:         _ZN9rocsparseL38csr2bsr_block_per_row_multipass_kernelILj256ELj32EdllEEv20rocsparse_direction_T3_S2_S2_S2_S2_21rocsparse_index_base_PKT1_PKT2_PKS2_S3_PS4_PS7_PS2_.kd
    .uniform_work_group_size: 1
    .uses_dynamic_stack: false
    .vgpr_count:     46
    .vgpr_spill_count: 0
    .wavefront_size: 64
  - .agpr_count:     0
    .args:
      - .offset:         0
        .size:           4
        .value_kind:     by_value
      - .offset:         8
        .size:           8
        .value_kind:     by_value
      - .offset:         16
        .size:           8
        .value_kind:     by_value
      - .offset:         24
        .size:           8
        .value_kind:     by_value
      - .offset:         32
        .size:           8
        .value_kind:     by_value
      - .offset:         40
        .size:           8
        .value_kind:     by_value
      - .offset:         48
        .size:           4
        .value_kind:     by_value
      - .actual_access:  read_only
        .address_space:  global
        .offset:         56
        .size:           8
        .value_kind:     global_buffer
      - .actual_access:  read_only
        .address_space:  global
        .offset:         64
        .size:           8
        .value_kind:     global_buffer
      - .actual_access:  read_only
        .address_space:  global
        .offset:         72
        .size:           8
        .value_kind:     global_buffer
      - .offset:         80
        .size:           4
        .value_kind:     by_value
      - .actual_access:  write_only
        .address_space:  global
        .offset:         88
        .size:           8
        .value_kind:     global_buffer
      - .actual_access:  read_only
        .address_space:  global
        .offset:         96
        .size:           8
        .value_kind:     global_buffer
      - .actual_access:  write_only
        .address_space:  global
        .offset:         104
        .size:           8
        .value_kind:     global_buffer
    .group_segment_fixed_size: 32776
    .kernarg_segment_align: 8
    .kernarg_segment_size: 112
    .language:       OpenCL C
    .language_version:
      - 2
      - 0
    .max_flat_workgroup_size: 256
    .name:           _ZN9rocsparseL38csr2bsr_block_per_row_multipass_kernelILj256ELj64EdllEEv20rocsparse_direction_T3_S2_S2_S2_S2_21rocsparse_index_base_PKT1_PKT2_PKS2_S3_PS4_PS7_PS2_
    .private_segment_fixed_size: 0
    .sgpr_count:     106
    .sgpr_spill_count: 0
    .symbol:         _ZN9rocsparseL38csr2bsr_block_per_row_multipass_kernelILj256ELj64EdllEEv20rocsparse_direction_T3_S2_S2_S2_S2_21rocsparse_index_base_PKT1_PKT2_PKS2_S3_PS4_PS7_PS2_.kd
    .uniform_work_group_size: 1
    .uses_dynamic_stack: false
    .vgpr_count:     71
    .vgpr_spill_count: 0
    .wavefront_size: 64
  - .agpr_count:     0
    .args:
      - .offset:         0
        .size:           4
        .value_kind:     by_value
      - .offset:         8
        .size:           8
        .value_kind:     by_value
      - .offset:         16
        .size:           8
        .value_kind:     by_value
      - .offset:         24
        .size:           8
        .value_kind:     by_value
      - .offset:         32
        .size:           8
        .value_kind:     by_value
      - .offset:         40
        .size:           8
        .value_kind:     by_value
      - .offset:         48
        .size:           8
        .value_kind:     by_value
      - .offset:         56
        .size:           4
        .value_kind:     by_value
      - .actual_access:  read_only
        .address_space:  global
        .offset:         64
        .size:           8
        .value_kind:     global_buffer
      - .actual_access:  read_only
        .address_space:  global
        .offset:         72
        .size:           8
        .value_kind:     global_buffer
      - .actual_access:  read_only
        .address_space:  global
        .offset:         80
        .size:           8
        .value_kind:     global_buffer
      - .offset:         88
        .size:           4
        .value_kind:     by_value
      - .actual_access:  write_only
        .address_space:  global
        .offset:         96
        .size:           8
        .value_kind:     global_buffer
      - .actual_access:  read_only
        .address_space:  global
        .offset:         104
        .size:           8
        .value_kind:     global_buffer
      - .actual_access:  write_only
        .address_space:  global
        .offset:         112
        .size:           8
        .value_kind:     global_buffer
      - .address_space:  global
        .offset:         120
        .size:           8
        .value_kind:     global_buffer
      - .address_space:  global
        .offset:         128
        .size:           8
        .value_kind:     global_buffer
      - .address_space:  global
        .offset:         136
        .size:           8
        .value_kind:     global_buffer
    .group_segment_fixed_size: 0
    .kernarg_segment_align: 8
    .kernarg_segment_size: 144
    .language:       OpenCL C
    .language_version:
      - 2
      - 0
    .max_flat_workgroup_size: 32
    .name:           _ZN9rocsparseL21csr2bsr_65_inf_kernelILj32EdllEEv20rocsparse_direction_T2_S2_S2_S2_S2_S2_21rocsparse_index_base_PKT0_PKT1_PKS2_S3_PS4_PS7_PS2_SD_SE_SC_
    .private_segment_fixed_size: 0
    .sgpr_count:     58
    .sgpr_spill_count: 0
    .symbol:         _ZN9rocsparseL21csr2bsr_65_inf_kernelILj32EdllEEv20rocsparse_direction_T2_S2_S2_S2_S2_S2_21rocsparse_index_base_PKT0_PKT1_PKS2_S3_PS4_PS7_PS2_SD_SE_SC_.kd
    .uniform_work_group_size: 1
    .uses_dynamic_stack: false
    .vgpr_count:     46
    .vgpr_spill_count: 0
    .wavefront_size: 64
  - .agpr_count:     0
    .args:
      - .offset:         0
        .size:           4
        .value_kind:     by_value
      - .offset:         4
        .size:           4
        .value_kind:     by_value
      - .offset:         8
        .size:           4
        .value_kind:     by_value
      - .offset:         12
        .size:           4
        .value_kind:     by_value
      - .offset:         16
        .size:           4
        .value_kind:     by_value
      - .address_space:  global
        .offset:         24
        .size:           8
        .value_kind:     global_buffer
      - .address_space:  global
        .offset:         32
        .size:           8
        .value_kind:     global_buffer
      - .address_space:  global
        .offset:         40
        .size:           8
        .value_kind:     global_buffer
      - .offset:         48
        .size:           4
        .value_kind:     by_value
      - .address_space:  global
        .offset:         56
        .size:           8
        .value_kind:     global_buffer
      - .address_space:  global
        .offset:         64
        .size:           8
        .value_kind:     global_buffer
      - .address_space:  global
        .offset:         72
        .size:           8
        .value_kind:     global_buffer
      - .offset:         80
        .size:           4
        .value_kind:     hidden_block_count_x
      - .offset:         84
        .size:           4
        .value_kind:     hidden_block_count_y
      - .offset:         88
        .size:           4
        .value_kind:     hidden_block_count_z
      - .offset:         92
        .size:           2
        .value_kind:     hidden_group_size_x
      - .offset:         94
        .size:           2
        .value_kind:     hidden_group_size_y
      - .offset:         96
        .size:           2
        .value_kind:     hidden_group_size_z
      - .offset:         98
        .size:           2
        .value_kind:     hidden_remainder_x
      - .offset:         100
        .size:           2
        .value_kind:     hidden_remainder_y
      - .offset:         102
        .size:           2
        .value_kind:     hidden_remainder_z
      - .offset:         120
        .size:           8
        .value_kind:     hidden_global_offset_x
      - .offset:         128
        .size:           8
        .value_kind:     hidden_global_offset_y
      - .offset:         136
        .size:           8
        .value_kind:     hidden_global_offset_z
      - .offset:         144
        .size:           2
        .value_kind:     hidden_grid_dims
    .group_segment_fixed_size: 0
    .kernarg_segment_align: 8
    .kernarg_segment_size: 336
    .language:       OpenCL C
    .language_version:
      - 2
      - 0
    .max_flat_workgroup_size: 256
    .name:           _ZN9rocsparseL35csr2bsr_block_dim_equals_one_kernelILj256E21rocsparse_complex_numIdEiiEEvT2_S3_S3_S3_21rocsparse_index_base_PKT0_PKT1_PKS3_S4_PS5_PS8_PS3_
    .private_segment_fixed_size: 0
    .sgpr_count:     20
    .sgpr_spill_count: 0
    .symbol:         _ZN9rocsparseL35csr2bsr_block_dim_equals_one_kernelILj256E21rocsparse_complex_numIdEiiEEvT2_S3_S3_S3_21rocsparse_index_base_PKT0_PKT1_PKS3_S4_PS5_PS8_PS3_.kd
    .uniform_work_group_size: 1
    .uses_dynamic_stack: false
    .vgpr_count:     8
    .vgpr_spill_count: 0
    .wavefront_size: 64
  - .agpr_count:     0
    .args:
      - .offset:         0
        .size:           4
        .value_kind:     by_value
      - .offset:         4
        .size:           4
        .value_kind:     by_value
      - .offset:         8
        .size:           4
        .value_kind:     by_value
      - .offset:         12
        .size:           4
        .value_kind:     by_value
      - .offset:         16
        .size:           4
        .value_kind:     by_value
      - .offset:         20
        .size:           4
        .value_kind:     by_value
      - .offset:         24
        .size:           4
        .value_kind:     by_value
      - .actual_access:  read_only
        .address_space:  global
        .offset:         32
        .size:           8
        .value_kind:     global_buffer
      - .actual_access:  read_only
        .address_space:  global
        .offset:         40
        .size:           8
        .value_kind:     global_buffer
      - .actual_access:  read_only
        .address_space:  global
        .offset:         48
        .size:           8
        .value_kind:     global_buffer
      - .offset:         56
        .size:           4
        .value_kind:     by_value
      - .actual_access:  write_only
        .address_space:  global
        .offset:         64
        .size:           8
        .value_kind:     global_buffer
      - .actual_access:  read_only
        .address_space:  global
        .offset:         72
        .size:           8
        .value_kind:     global_buffer
      - .actual_access:  write_only
        .address_space:  global
        .offset:         80
        .size:           8
        .value_kind:     global_buffer
    .group_segment_fixed_size: 4112
    .kernarg_segment_align: 8
    .kernarg_segment_size: 88
    .language:       OpenCL C
    .language_version:
      - 2
      - 0
    .max_flat_workgroup_size: 256
    .name:           _ZN9rocsparseL42csr2bsr_wavefront_per_row_multipass_kernelILj256ELj16ELj4E21rocsparse_complex_numIdEiiEEv20rocsparse_direction_T4_S4_S4_S4_S4_21rocsparse_index_base_PKT2_PKT3_PKS4_S5_PS6_PS9_PS4_
    .private_segment_fixed_size: 0
    .sgpr_count:     32
    .sgpr_spill_count: 0
    .symbol:         _ZN9rocsparseL42csr2bsr_wavefront_per_row_multipass_kernelILj256ELj16ELj4E21rocsparse_complex_numIdEiiEEv20rocsparse_direction_T4_S4_S4_S4_S4_21rocsparse_index_base_PKT2_PKT3_PKS4_S5_PS6_PS9_PS4_.kd
    .uniform_work_group_size: 1
    .uses_dynamic_stack: false
    .vgpr_count:     28
    .vgpr_spill_count: 0
    .wavefront_size: 64
  - .agpr_count:     0
    .args:
      - .offset:         0
        .size:           4
        .value_kind:     by_value
      - .offset:         4
        .size:           4
        .value_kind:     by_value
      - .offset:         8
        .size:           4
        .value_kind:     by_value
      - .offset:         12
        .size:           4
        .value_kind:     by_value
      - .offset:         16
        .size:           4
        .value_kind:     by_value
      - .offset:         20
        .size:           4
        .value_kind:     by_value
      - .offset:         24
        .size:           4
        .value_kind:     by_value
      - .actual_access:  read_only
        .address_space:  global
        .offset:         32
        .size:           8
        .value_kind:     global_buffer
      - .actual_access:  read_only
        .address_space:  global
        .offset:         40
        .size:           8
        .value_kind:     global_buffer
      - .actual_access:  read_only
        .address_space:  global
        .offset:         48
        .size:           8
        .value_kind:     global_buffer
      - .offset:         56
        .size:           4
        .value_kind:     by_value
      - .actual_access:  write_only
        .address_space:  global
        .offset:         64
        .size:           8
        .value_kind:     global_buffer
      - .actual_access:  read_only
        .address_space:  global
        .offset:         72
        .size:           8
        .value_kind:     global_buffer
      - .actual_access:  write_only
        .address_space:  global
        .offset:         80
        .size:           8
        .value_kind:     global_buffer
    .group_segment_fixed_size: 4104
    .kernarg_segment_align: 8
    .kernarg_segment_size: 88
    .language:       OpenCL C
    .language_version:
      - 2
      - 0
    .max_flat_workgroup_size: 256
    .name:           _ZN9rocsparseL42csr2bsr_wavefront_per_row_multipass_kernelILj256ELj64ELj8E21rocsparse_complex_numIdEiiEEv20rocsparse_direction_T4_S4_S4_S4_S4_21rocsparse_index_base_PKT2_PKT3_PKS4_S5_PS6_PS9_PS4_
    .private_segment_fixed_size: 0
    .sgpr_count:     32
    .sgpr_spill_count: 0
    .symbol:         _ZN9rocsparseL42csr2bsr_wavefront_per_row_multipass_kernelILj256ELj64ELj8E21rocsparse_complex_numIdEiiEEv20rocsparse_direction_T4_S4_S4_S4_S4_21rocsparse_index_base_PKT2_PKT3_PKS4_S5_PS6_PS9_PS4_.kd
    .uniform_work_group_size: 1
    .uses_dynamic_stack: false
    .vgpr_count:     28
    .vgpr_spill_count: 0
    .wavefront_size: 64
  - .agpr_count:     0
    .args:
      - .offset:         0
        .size:           4
        .value_kind:     by_value
      - .offset:         4
        .size:           4
        .value_kind:     by_value
      - .offset:         8
        .size:           4
        .value_kind:     by_value
      - .offset:         12
        .size:           4
        .value_kind:     by_value
      - .offset:         16
        .size:           4
        .value_kind:     by_value
      - .offset:         20
        .size:           4
        .value_kind:     by_value
      - .offset:         24
        .size:           4
        .value_kind:     by_value
      - .actual_access:  read_only
        .address_space:  global
        .offset:         32
        .size:           8
        .value_kind:     global_buffer
      - .actual_access:  read_only
        .address_space:  global
        .offset:         40
        .size:           8
        .value_kind:     global_buffer
      - .actual_access:  read_only
        .address_space:  global
        .offset:         48
        .size:           8
        .value_kind:     global_buffer
      - .offset:         56
        .size:           4
        .value_kind:     by_value
      - .actual_access:  write_only
        .address_space:  global
        .offset:         64
        .size:           8
        .value_kind:     global_buffer
      - .actual_access:  read_only
        .address_space:  global
        .offset:         72
        .size:           8
        .value_kind:     global_buffer
      - .actual_access:  write_only
        .address_space:  global
        .offset:         80
        .size:           8
        .value_kind:     global_buffer
    .group_segment_fixed_size: 8200
    .kernarg_segment_align: 8
    .kernarg_segment_size: 88
    .language:       OpenCL C
    .language_version:
      - 2
      - 0
    .max_flat_workgroup_size: 256
    .name:           _ZN9rocsparseL42csr2bsr_wavefront_per_row_multipass_kernelILj256ELj32ELj8E21rocsparse_complex_numIdEiiEEv20rocsparse_direction_T4_S4_S4_S4_S4_21rocsparse_index_base_PKT2_PKT3_PKS4_S5_PS6_PS9_PS4_
    .private_segment_fixed_size: 0
    .sgpr_count:     38
    .sgpr_spill_count: 0
    .symbol:         _ZN9rocsparseL42csr2bsr_wavefront_per_row_multipass_kernelILj256ELj32ELj8E21rocsparse_complex_numIdEiiEEv20rocsparse_direction_T4_S4_S4_S4_S4_21rocsparse_index_base_PKT2_PKT3_PKS4_S5_PS6_PS9_PS4_.kd
    .uniform_work_group_size: 1
    .uses_dynamic_stack: false
    .vgpr_count:     40
    .vgpr_spill_count: 0
    .wavefront_size: 64
  - .agpr_count:     0
    .args:
      - .offset:         0
        .size:           4
        .value_kind:     by_value
      - .offset:         4
        .size:           4
        .value_kind:     by_value
      - .offset:         8
        .size:           4
        .value_kind:     by_value
      - .offset:         12
        .size:           4
        .value_kind:     by_value
      - .offset:         16
        .size:           4
        .value_kind:     by_value
      - .offset:         20
        .size:           4
        .value_kind:     by_value
      - .offset:         24
        .size:           4
        .value_kind:     by_value
      - .actual_access:  read_only
        .address_space:  global
        .offset:         32
        .size:           8
        .value_kind:     global_buffer
      - .actual_access:  read_only
        .address_space:  global
        .offset:         40
        .size:           8
        .value_kind:     global_buffer
      - .actual_access:  read_only
        .address_space:  global
        .offset:         48
        .size:           8
        .value_kind:     global_buffer
      - .offset:         56
        .size:           4
        .value_kind:     by_value
      - .actual_access:  write_only
        .address_space:  global
        .offset:         64
        .size:           8
        .value_kind:     global_buffer
      - .actual_access:  read_only
        .address_space:  global
        .offset:         72
        .size:           8
        .value_kind:     global_buffer
      - .actual_access:  write_only
        .address_space:  global
        .offset:         80
        .size:           8
        .value_kind:     global_buffer
    .group_segment_fixed_size: 16392
    .kernarg_segment_align: 8
    .kernarg_segment_size: 88
    .language:       OpenCL C
    .language_version:
      - 2
      - 0
    .max_flat_workgroup_size: 256
    .name:           _ZN9rocsparseL42csr2bsr_wavefront_per_row_multipass_kernelILj256ELj64ELj16E21rocsparse_complex_numIdEiiEEv20rocsparse_direction_T4_S4_S4_S4_S4_21rocsparse_index_base_PKT2_PKT3_PKS4_S5_PS6_PS9_PS4_
    .private_segment_fixed_size: 0
    .sgpr_count:     44
    .sgpr_spill_count: 0
    .symbol:         _ZN9rocsparseL42csr2bsr_wavefront_per_row_multipass_kernelILj256ELj64ELj16E21rocsparse_complex_numIdEiiEEv20rocsparse_direction_T4_S4_S4_S4_S4_21rocsparse_index_base_PKT2_PKT3_PKS4_S5_PS6_PS9_PS4_.kd
    .uniform_work_group_size: 1
    .uses_dynamic_stack: false
    .vgpr_count:     46
    .vgpr_spill_count: 0
    .wavefront_size: 64
  - .agpr_count:     0
    .args:
      - .offset:         0
        .size:           4
        .value_kind:     by_value
      - .offset:         4
        .size:           4
        .value_kind:     by_value
      - .offset:         8
        .size:           4
        .value_kind:     by_value
      - .offset:         12
        .size:           4
        .value_kind:     by_value
      - .offset:         16
        .size:           4
        .value_kind:     by_value
      - .offset:         20
        .size:           4
        .value_kind:     by_value
      - .offset:         24
        .size:           4
        .value_kind:     by_value
      - .actual_access:  read_only
        .address_space:  global
        .offset:         32
        .size:           8
        .value_kind:     global_buffer
      - .actual_access:  read_only
        .address_space:  global
        .offset:         40
        .size:           8
        .value_kind:     global_buffer
      - .actual_access:  read_only
        .address_space:  global
        .offset:         48
        .size:           8
        .value_kind:     global_buffer
      - .offset:         56
        .size:           4
        .value_kind:     by_value
      - .actual_access:  write_only
        .address_space:  global
        .offset:         64
        .size:           8
        .value_kind:     global_buffer
      - .actual_access:  read_only
        .address_space:  global
        .offset:         72
        .size:           8
        .value_kind:     global_buffer
      - .actual_access:  write_only
        .address_space:  global
        .offset:         80
        .size:           8
        .value_kind:     global_buffer
    .group_segment_fixed_size: 32776
    .kernarg_segment_align: 8
    .kernarg_segment_size: 88
    .language:       OpenCL C
    .language_version:
      - 2
      - 0
    .max_flat_workgroup_size: 256
    .name:           _ZN9rocsparseL42csr2bsr_wavefront_per_row_multipass_kernelILj256ELj32ELj16E21rocsparse_complex_numIdEiiEEv20rocsparse_direction_T4_S4_S4_S4_S4_21rocsparse_index_base_PKT2_PKT3_PKS4_S5_PS6_PS9_PS4_
    .private_segment_fixed_size: 0
    .sgpr_count:     52
    .sgpr_spill_count: 0
    .symbol:         _ZN9rocsparseL42csr2bsr_wavefront_per_row_multipass_kernelILj256ELj32ELj16E21rocsparse_complex_numIdEiiEEv20rocsparse_direction_T4_S4_S4_S4_S4_21rocsparse_index_base_PKT2_PKT3_PKS4_S5_PS6_PS9_PS4_.kd
    .uniform_work_group_size: 1
    .uses_dynamic_stack: false
    .vgpr_count:     58
    .vgpr_spill_count: 0
    .wavefront_size: 64
  - .agpr_count:     0
    .args:
      - .offset:         0
        .size:           4
        .value_kind:     by_value
      - .offset:         4
        .size:           4
        .value_kind:     by_value
      - .offset:         8
        .size:           4
        .value_kind:     by_value
      - .offset:         12
        .size:           4
        .value_kind:     by_value
      - .offset:         16
        .size:           4
        .value_kind:     by_value
      - .offset:         20
        .size:           4
        .value_kind:     by_value
      - .offset:         24
        .size:           4
        .value_kind:     by_value
      - .actual_access:  read_only
        .address_space:  global
        .offset:         32
        .size:           8
        .value_kind:     global_buffer
      - .actual_access:  read_only
        .address_space:  global
        .offset:         40
        .size:           8
        .value_kind:     global_buffer
      - .actual_access:  read_only
        .address_space:  global
        .offset:         48
        .size:           8
        .value_kind:     global_buffer
      - .offset:         56
        .size:           4
        .value_kind:     by_value
      - .actual_access:  write_only
        .address_space:  global
        .offset:         64
        .size:           8
        .value_kind:     global_buffer
      - .actual_access:  read_only
        .address_space:  global
        .offset:         72
        .size:           8
        .value_kind:     global_buffer
      - .actual_access:  write_only
        .address_space:  global
        .offset:         80
        .size:           8
        .value_kind:     global_buffer
    .group_segment_fixed_size: 16392
    .kernarg_segment_align: 8
    .kernarg_segment_size: 88
    .language:       OpenCL C
    .language_version:
      - 2
      - 0
    .max_flat_workgroup_size: 256
    .name:           _ZN9rocsparseL38csr2bsr_block_per_row_multipass_kernelILj256ELj32E21rocsparse_complex_numIdEiiEEv20rocsparse_direction_T3_S4_S4_S4_S4_21rocsparse_index_base_PKT1_PKT2_PKS4_S5_PS6_PS9_PS4_
    .private_segment_fixed_size: 0
    .sgpr_count:     64
    .sgpr_spill_count: 0
    .symbol:         _ZN9rocsparseL38csr2bsr_block_per_row_multipass_kernelILj256ELj32E21rocsparse_complex_numIdEiiEEv20rocsparse_direction_T3_S4_S4_S4_S4_21rocsparse_index_base_PKT1_PKT2_PKS4_S5_PS6_PS9_PS4_.kd
    .uniform_work_group_size: 1
    .uses_dynamic_stack: false
    .vgpr_count:     42
    .vgpr_spill_count: 0
    .wavefront_size: 64
  - .agpr_count:     0
    .args:
      - .offset:         0
        .size:           4
        .value_kind:     by_value
      - .offset:         4
        .size:           4
        .value_kind:     by_value
      - .offset:         8
        .size:           4
        .value_kind:     by_value
      - .offset:         12
        .size:           4
        .value_kind:     by_value
      - .offset:         16
        .size:           4
        .value_kind:     by_value
      - .offset:         20
        .size:           4
        .value_kind:     by_value
      - .offset:         24
        .size:           4
        .value_kind:     by_value
      - .offset:         28
        .size:           4
        .value_kind:     by_value
      - .actual_access:  read_only
        .address_space:  global
        .offset:         32
        .size:           8
        .value_kind:     global_buffer
      - .actual_access:  read_only
        .address_space:  global
        .offset:         40
        .size:           8
        .value_kind:     global_buffer
      - .actual_access:  read_only
        .address_space:  global
        .offset:         48
        .size:           8
        .value_kind:     global_buffer
      - .offset:         56
        .size:           4
        .value_kind:     by_value
      - .actual_access:  write_only
        .address_space:  global
        .offset:         64
        .size:           8
        .value_kind:     global_buffer
      - .actual_access:  read_only
        .address_space:  global
        .offset:         72
        .size:           8
        .value_kind:     global_buffer
      - .actual_access:  write_only
        .address_space:  global
        .offset:         80
        .size:           8
        .value_kind:     global_buffer
      - .address_space:  global
        .offset:         88
        .size:           8
        .value_kind:     global_buffer
      - .address_space:  global
        .offset:         96
        .size:           8
        .value_kind:     global_buffer
      - .address_space:  global
        .offset:         104
        .size:           8
        .value_kind:     global_buffer
    .group_segment_fixed_size: 0
    .kernarg_segment_align: 8
    .kernarg_segment_size: 112
    .language:       OpenCL C
    .language_version:
      - 2
      - 0
    .max_flat_workgroup_size: 32
    .name:           _ZN9rocsparseL21csr2bsr_65_inf_kernelILj32E21rocsparse_complex_numIdEiiEEv20rocsparse_direction_T2_S4_S4_S4_S4_S4_21rocsparse_index_base_PKT0_PKT1_PKS4_S5_PS6_PS9_PS4_SF_SG_SE_
    .private_segment_fixed_size: 0
    .sgpr_count:     52
    .sgpr_spill_count: 0
    .symbol:         _ZN9rocsparseL21csr2bsr_65_inf_kernelILj32E21rocsparse_complex_numIdEiiEEv20rocsparse_direction_T2_S4_S4_S4_S4_S4_21rocsparse_index_base_PKT0_PKT1_PKS4_S5_PS6_PS9_PS4_SF_SG_SE_.kd
    .uniform_work_group_size: 1
    .uses_dynamic_stack: false
    .vgpr_count:     36
    .vgpr_spill_count: 0
    .wavefront_size: 64
  - .agpr_count:     0
    .args:
      - .offset:         0
        .size:           4
        .value_kind:     by_value
      - .offset:         4
        .size:           4
        .value_kind:     by_value
      - .offset:         8
        .size:           4
        .value_kind:     by_value
      - .offset:         12
        .size:           4
        .value_kind:     by_value
      - .offset:         16
        .size:           4
        .value_kind:     by_value
      - .address_space:  global
        .offset:         24
        .size:           8
        .value_kind:     global_buffer
      - .address_space:  global
        .offset:         32
        .size:           8
        .value_kind:     global_buffer
      - .address_space:  global
        .offset:         40
        .size:           8
        .value_kind:     global_buffer
      - .offset:         48
        .size:           4
        .value_kind:     by_value
      - .address_space:  global
        .offset:         56
        .size:           8
        .value_kind:     global_buffer
      - .address_space:  global
        .offset:         64
        .size:           8
        .value_kind:     global_buffer
      - .address_space:  global
        .offset:         72
        .size:           8
        .value_kind:     global_buffer
      - .offset:         80
        .size:           4
        .value_kind:     hidden_block_count_x
      - .offset:         84
        .size:           4
        .value_kind:     hidden_block_count_y
      - .offset:         88
        .size:           4
        .value_kind:     hidden_block_count_z
      - .offset:         92
        .size:           2
        .value_kind:     hidden_group_size_x
      - .offset:         94
        .size:           2
        .value_kind:     hidden_group_size_y
      - .offset:         96
        .size:           2
        .value_kind:     hidden_group_size_z
      - .offset:         98
        .size:           2
        .value_kind:     hidden_remainder_x
      - .offset:         100
        .size:           2
        .value_kind:     hidden_remainder_y
      - .offset:         102
        .size:           2
        .value_kind:     hidden_remainder_z
      - .offset:         120
        .size:           8
        .value_kind:     hidden_global_offset_x
      - .offset:         128
        .size:           8
        .value_kind:     hidden_global_offset_y
      - .offset:         136
        .size:           8
        .value_kind:     hidden_global_offset_z
      - .offset:         144
        .size:           2
        .value_kind:     hidden_grid_dims
    .group_segment_fixed_size: 0
    .kernarg_segment_align: 8
    .kernarg_segment_size: 336
    .language:       OpenCL C
    .language_version:
      - 2
      - 0
    .max_flat_workgroup_size: 256
    .name:           _ZN9rocsparseL35csr2bsr_block_dim_equals_one_kernelILj256E21rocsparse_complex_numIdEliEEvT2_S3_S3_S3_21rocsparse_index_base_PKT0_PKT1_PKS3_S4_PS5_PS8_PS3_
    .private_segment_fixed_size: 0
    .sgpr_count:     25
    .sgpr_spill_count: 0
    .symbol:         _ZN9rocsparseL35csr2bsr_block_dim_equals_one_kernelILj256E21rocsparse_complex_numIdEliEEvT2_S3_S3_S3_21rocsparse_index_base_PKT0_PKT1_PKS3_S4_PS5_PS8_PS3_.kd
    .uniform_work_group_size: 1
    .uses_dynamic_stack: false
    .vgpr_count:     12
    .vgpr_spill_count: 0
    .wavefront_size: 64
  - .agpr_count:     0
    .args:
      - .offset:         0
        .size:           4
        .value_kind:     by_value
      - .offset:         4
        .size:           4
        .value_kind:     by_value
      - .offset:         8
        .size:           4
        .value_kind:     by_value
      - .offset:         12
        .size:           4
        .value_kind:     by_value
      - .offset:         16
        .size:           4
        .value_kind:     by_value
      - .offset:         20
        .size:           4
        .value_kind:     by_value
      - .offset:         24
        .size:           4
        .value_kind:     by_value
      - .actual_access:  read_only
        .address_space:  global
        .offset:         32
        .size:           8
        .value_kind:     global_buffer
      - .actual_access:  read_only
        .address_space:  global
        .offset:         40
        .size:           8
        .value_kind:     global_buffer
      - .actual_access:  read_only
        .address_space:  global
        .offset:         48
        .size:           8
        .value_kind:     global_buffer
      - .offset:         56
        .size:           4
        .value_kind:     by_value
      - .actual_access:  write_only
        .address_space:  global
        .offset:         64
        .size:           8
        .value_kind:     global_buffer
      - .actual_access:  read_only
        .address_space:  global
        .offset:         72
        .size:           8
        .value_kind:     global_buffer
      - .actual_access:  write_only
        .address_space:  global
        .offset:         80
        .size:           8
        .value_kind:     global_buffer
    .group_segment_fixed_size: 4112
    .kernarg_segment_align: 8
    .kernarg_segment_size: 88
    .language:       OpenCL C
    .language_version:
      - 2
      - 0
    .max_flat_workgroup_size: 256
    .name:           _ZN9rocsparseL42csr2bsr_wavefront_per_row_multipass_kernelILj256ELj16ELj4E21rocsparse_complex_numIdEliEEv20rocsparse_direction_T4_S4_S4_S4_S4_21rocsparse_index_base_PKT2_PKT3_PKS4_S5_PS6_PS9_PS4_
    .private_segment_fixed_size: 0
    .sgpr_count:     32
    .sgpr_spill_count: 0
    .symbol:         _ZN9rocsparseL42csr2bsr_wavefront_per_row_multipass_kernelILj256ELj16ELj4E21rocsparse_complex_numIdEliEEv20rocsparse_direction_T4_S4_S4_S4_S4_21rocsparse_index_base_PKT2_PKT3_PKS4_S5_PS6_PS9_PS4_.kd
    .uniform_work_group_size: 1
    .uses_dynamic_stack: false
    .vgpr_count:     40
    .vgpr_spill_count: 0
    .wavefront_size: 64
  - .agpr_count:     0
    .args:
      - .offset:         0
        .size:           4
        .value_kind:     by_value
      - .offset:         4
        .size:           4
        .value_kind:     by_value
      - .offset:         8
        .size:           4
        .value_kind:     by_value
      - .offset:         12
        .size:           4
        .value_kind:     by_value
      - .offset:         16
        .size:           4
        .value_kind:     by_value
      - .offset:         20
        .size:           4
        .value_kind:     by_value
      - .offset:         24
        .size:           4
        .value_kind:     by_value
      - .actual_access:  read_only
        .address_space:  global
        .offset:         32
        .size:           8
        .value_kind:     global_buffer
      - .actual_access:  read_only
        .address_space:  global
        .offset:         40
        .size:           8
        .value_kind:     global_buffer
      - .actual_access:  read_only
        .address_space:  global
        .offset:         48
        .size:           8
        .value_kind:     global_buffer
      - .offset:         56
        .size:           4
        .value_kind:     by_value
      - .actual_access:  write_only
        .address_space:  global
        .offset:         64
        .size:           8
        .value_kind:     global_buffer
      - .actual_access:  read_only
        .address_space:  global
        .offset:         72
        .size:           8
        .value_kind:     global_buffer
      - .actual_access:  write_only
        .address_space:  global
        .offset:         80
        .size:           8
        .value_kind:     global_buffer
    .group_segment_fixed_size: 4104
    .kernarg_segment_align: 8
    .kernarg_segment_size: 88
    .language:       OpenCL C
    .language_version:
      - 2
      - 0
    .max_flat_workgroup_size: 256
    .name:           _ZN9rocsparseL42csr2bsr_wavefront_per_row_multipass_kernelILj256ELj64ELj8E21rocsparse_complex_numIdEliEEv20rocsparse_direction_T4_S4_S4_S4_S4_21rocsparse_index_base_PKT2_PKT3_PKS4_S5_PS6_PS9_PS4_
    .private_segment_fixed_size: 0
    .sgpr_count:     34
    .sgpr_spill_count: 0
    .symbol:         _ZN9rocsparseL42csr2bsr_wavefront_per_row_multipass_kernelILj256ELj64ELj8E21rocsparse_complex_numIdEliEEv20rocsparse_direction_T4_S4_S4_S4_S4_21rocsparse_index_base_PKT2_PKT3_PKS4_S5_PS6_PS9_PS4_.kd
    .uniform_work_group_size: 1
    .uses_dynamic_stack: false
    .vgpr_count:     40
    .vgpr_spill_count: 0
    .wavefront_size: 64
  - .agpr_count:     0
    .args:
      - .offset:         0
        .size:           4
        .value_kind:     by_value
      - .offset:         4
        .size:           4
        .value_kind:     by_value
      - .offset:         8
        .size:           4
        .value_kind:     by_value
      - .offset:         12
        .size:           4
        .value_kind:     by_value
      - .offset:         16
        .size:           4
        .value_kind:     by_value
      - .offset:         20
        .size:           4
        .value_kind:     by_value
      - .offset:         24
        .size:           4
        .value_kind:     by_value
      - .actual_access:  read_only
        .address_space:  global
        .offset:         32
        .size:           8
        .value_kind:     global_buffer
      - .actual_access:  read_only
        .address_space:  global
        .offset:         40
        .size:           8
        .value_kind:     global_buffer
      - .actual_access:  read_only
        .address_space:  global
        .offset:         48
        .size:           8
        .value_kind:     global_buffer
      - .offset:         56
        .size:           4
        .value_kind:     by_value
      - .actual_access:  write_only
        .address_space:  global
        .offset:         64
        .size:           8
        .value_kind:     global_buffer
      - .actual_access:  read_only
        .address_space:  global
        .offset:         72
        .size:           8
        .value_kind:     global_buffer
      - .actual_access:  write_only
        .address_space:  global
        .offset:         80
        .size:           8
        .value_kind:     global_buffer
    .group_segment_fixed_size: 8200
    .kernarg_segment_align: 8
    .kernarg_segment_size: 88
    .language:       OpenCL C
    .language_version:
      - 2
      - 0
    .max_flat_workgroup_size: 256
    .name:           _ZN9rocsparseL42csr2bsr_wavefront_per_row_multipass_kernelILj256ELj32ELj8E21rocsparse_complex_numIdEliEEv20rocsparse_direction_T4_S4_S4_S4_S4_21rocsparse_index_base_PKT2_PKT3_PKS4_S5_PS6_PS9_PS4_
    .private_segment_fixed_size: 0
    .sgpr_count:     36
    .sgpr_spill_count: 0
    .symbol:         _ZN9rocsparseL42csr2bsr_wavefront_per_row_multipass_kernelILj256ELj32ELj8E21rocsparse_complex_numIdEliEEv20rocsparse_direction_T4_S4_S4_S4_S4_21rocsparse_index_base_PKT2_PKT3_PKS4_S5_PS6_PS9_PS4_.kd
    .uniform_work_group_size: 1
    .uses_dynamic_stack: false
    .vgpr_count:     48
    .vgpr_spill_count: 0
    .wavefront_size: 64
  - .agpr_count:     0
    .args:
      - .offset:         0
        .size:           4
        .value_kind:     by_value
      - .offset:         4
        .size:           4
        .value_kind:     by_value
      - .offset:         8
        .size:           4
        .value_kind:     by_value
      - .offset:         12
        .size:           4
        .value_kind:     by_value
      - .offset:         16
        .size:           4
        .value_kind:     by_value
      - .offset:         20
        .size:           4
        .value_kind:     by_value
      - .offset:         24
        .size:           4
        .value_kind:     by_value
      - .actual_access:  read_only
        .address_space:  global
        .offset:         32
        .size:           8
        .value_kind:     global_buffer
      - .actual_access:  read_only
        .address_space:  global
        .offset:         40
        .size:           8
        .value_kind:     global_buffer
      - .actual_access:  read_only
        .address_space:  global
        .offset:         48
        .size:           8
        .value_kind:     global_buffer
      - .offset:         56
        .size:           4
        .value_kind:     by_value
      - .actual_access:  write_only
        .address_space:  global
        .offset:         64
        .size:           8
        .value_kind:     global_buffer
      - .actual_access:  read_only
        .address_space:  global
        .offset:         72
        .size:           8
        .value_kind:     global_buffer
      - .actual_access:  write_only
        .address_space:  global
        .offset:         80
        .size:           8
        .value_kind:     global_buffer
    .group_segment_fixed_size: 16392
    .kernarg_segment_align: 8
    .kernarg_segment_size: 88
    .language:       OpenCL C
    .language_version:
      - 2
      - 0
    .max_flat_workgroup_size: 256
    .name:           _ZN9rocsparseL42csr2bsr_wavefront_per_row_multipass_kernelILj256ELj64ELj16E21rocsparse_complex_numIdEliEEv20rocsparse_direction_T4_S4_S4_S4_S4_21rocsparse_index_base_PKT2_PKT3_PKS4_S5_PS6_PS9_PS4_
    .private_segment_fixed_size: 0
    .sgpr_count:     43
    .sgpr_spill_count: 0
    .symbol:         _ZN9rocsparseL42csr2bsr_wavefront_per_row_multipass_kernelILj256ELj64ELj16E21rocsparse_complex_numIdEliEEv20rocsparse_direction_T4_S4_S4_S4_S4_21rocsparse_index_base_PKT2_PKT3_PKS4_S5_PS6_PS9_PS4_.kd
    .uniform_work_group_size: 1
    .uses_dynamic_stack: false
    .vgpr_count:     54
    .vgpr_spill_count: 0
    .wavefront_size: 64
  - .agpr_count:     0
    .args:
      - .offset:         0
        .size:           4
        .value_kind:     by_value
      - .offset:         4
        .size:           4
        .value_kind:     by_value
      - .offset:         8
        .size:           4
        .value_kind:     by_value
      - .offset:         12
        .size:           4
        .value_kind:     by_value
      - .offset:         16
        .size:           4
        .value_kind:     by_value
      - .offset:         20
        .size:           4
        .value_kind:     by_value
      - .offset:         24
        .size:           4
        .value_kind:     by_value
      - .actual_access:  read_only
        .address_space:  global
        .offset:         32
        .size:           8
        .value_kind:     global_buffer
      - .actual_access:  read_only
        .address_space:  global
        .offset:         40
        .size:           8
        .value_kind:     global_buffer
      - .actual_access:  read_only
        .address_space:  global
        .offset:         48
        .size:           8
        .value_kind:     global_buffer
      - .offset:         56
        .size:           4
        .value_kind:     by_value
      - .actual_access:  write_only
        .address_space:  global
        .offset:         64
        .size:           8
        .value_kind:     global_buffer
      - .actual_access:  read_only
        .address_space:  global
        .offset:         72
        .size:           8
        .value_kind:     global_buffer
      - .actual_access:  write_only
        .address_space:  global
        .offset:         80
        .size:           8
        .value_kind:     global_buffer
    .group_segment_fixed_size: 32776
    .kernarg_segment_align: 8
    .kernarg_segment_size: 88
    .language:       OpenCL C
    .language_version:
      - 2
      - 0
    .max_flat_workgroup_size: 256
    .name:           _ZN9rocsparseL42csr2bsr_wavefront_per_row_multipass_kernelILj256ELj32ELj16E21rocsparse_complex_numIdEliEEv20rocsparse_direction_T4_S4_S4_S4_S4_21rocsparse_index_base_PKT2_PKT3_PKS4_S5_PS6_PS9_PS4_
    .private_segment_fixed_size: 0
    .sgpr_count:     51
    .sgpr_spill_count: 0
    .symbol:         _ZN9rocsparseL42csr2bsr_wavefront_per_row_multipass_kernelILj256ELj32ELj16E21rocsparse_complex_numIdEliEEv20rocsparse_direction_T4_S4_S4_S4_S4_21rocsparse_index_base_PKT2_PKT3_PKS4_S5_PS6_PS9_PS4_.kd
    .uniform_work_group_size: 1
    .uses_dynamic_stack: false
    .vgpr_count:     66
    .vgpr_spill_count: 0
    .wavefront_size: 64
  - .agpr_count:     0
    .args:
      - .offset:         0
        .size:           4
        .value_kind:     by_value
      - .offset:         4
        .size:           4
        .value_kind:     by_value
      - .offset:         8
        .size:           4
        .value_kind:     by_value
      - .offset:         12
        .size:           4
        .value_kind:     by_value
      - .offset:         16
        .size:           4
        .value_kind:     by_value
      - .offset:         20
        .size:           4
        .value_kind:     by_value
      - .offset:         24
        .size:           4
        .value_kind:     by_value
      - .actual_access:  read_only
        .address_space:  global
        .offset:         32
        .size:           8
        .value_kind:     global_buffer
      - .actual_access:  read_only
        .address_space:  global
        .offset:         40
        .size:           8
        .value_kind:     global_buffer
      - .actual_access:  read_only
        .address_space:  global
        .offset:         48
        .size:           8
        .value_kind:     global_buffer
      - .offset:         56
        .size:           4
        .value_kind:     by_value
      - .actual_access:  write_only
        .address_space:  global
        .offset:         64
        .size:           8
        .value_kind:     global_buffer
      - .actual_access:  read_only
        .address_space:  global
        .offset:         72
        .size:           8
        .value_kind:     global_buffer
      - .actual_access:  write_only
        .address_space:  global
        .offset:         80
        .size:           8
        .value_kind:     global_buffer
    .group_segment_fixed_size: 16392
    .kernarg_segment_align: 8
    .kernarg_segment_size: 88
    .language:       OpenCL C
    .language_version:
      - 2
      - 0
    .max_flat_workgroup_size: 256
    .name:           _ZN9rocsparseL38csr2bsr_block_per_row_multipass_kernelILj256ELj32E21rocsparse_complex_numIdEliEEv20rocsparse_direction_T3_S4_S4_S4_S4_21rocsparse_index_base_PKT1_PKT2_PKS4_S5_PS6_PS9_PS4_
    .private_segment_fixed_size: 0
    .sgpr_count:     64
    .sgpr_spill_count: 0
    .symbol:         _ZN9rocsparseL38csr2bsr_block_per_row_multipass_kernelILj256ELj32E21rocsparse_complex_numIdEliEEv20rocsparse_direction_T3_S4_S4_S4_S4_21rocsparse_index_base_PKT1_PKT2_PKS4_S5_PS6_PS9_PS4_.kd
    .uniform_work_group_size: 1
    .uses_dynamic_stack: false
    .vgpr_count:     50
    .vgpr_spill_count: 0
    .wavefront_size: 64
  - .agpr_count:     0
    .args:
      - .offset:         0
        .size:           4
        .value_kind:     by_value
      - .offset:         4
        .size:           4
        .value_kind:     by_value
      - .offset:         8
        .size:           4
        .value_kind:     by_value
      - .offset:         12
        .size:           4
        .value_kind:     by_value
      - .offset:         16
        .size:           4
        .value_kind:     by_value
      - .offset:         20
        .size:           4
        .value_kind:     by_value
      - .offset:         24
        .size:           4
        .value_kind:     by_value
      - .offset:         28
        .size:           4
        .value_kind:     by_value
      - .actual_access:  read_only
        .address_space:  global
        .offset:         32
        .size:           8
        .value_kind:     global_buffer
      - .actual_access:  read_only
        .address_space:  global
        .offset:         40
        .size:           8
        .value_kind:     global_buffer
      - .actual_access:  read_only
        .address_space:  global
        .offset:         48
        .size:           8
        .value_kind:     global_buffer
      - .offset:         56
        .size:           4
        .value_kind:     by_value
      - .actual_access:  write_only
        .address_space:  global
        .offset:         64
        .size:           8
        .value_kind:     global_buffer
      - .actual_access:  read_only
        .address_space:  global
        .offset:         72
        .size:           8
        .value_kind:     global_buffer
      - .actual_access:  write_only
        .address_space:  global
        .offset:         80
        .size:           8
        .value_kind:     global_buffer
      - .address_space:  global
        .offset:         88
        .size:           8
        .value_kind:     global_buffer
      - .address_space:  global
        .offset:         96
        .size:           8
        .value_kind:     global_buffer
      - .address_space:  global
        .offset:         104
        .size:           8
        .value_kind:     global_buffer
    .group_segment_fixed_size: 0
    .kernarg_segment_align: 8
    .kernarg_segment_size: 112
    .language:       OpenCL C
    .language_version:
      - 2
      - 0
    .max_flat_workgroup_size: 32
    .name:           _ZN9rocsparseL21csr2bsr_65_inf_kernelILj32E21rocsparse_complex_numIdEliEEv20rocsparse_direction_T2_S4_S4_S4_S4_S4_21rocsparse_index_base_PKT0_PKT1_PKS4_S5_PS6_PS9_PS4_SF_SG_SE_
    .private_segment_fixed_size: 0
    .sgpr_count:     52
    .sgpr_spill_count: 0
    .symbol:         _ZN9rocsparseL21csr2bsr_65_inf_kernelILj32E21rocsparse_complex_numIdEliEEv20rocsparse_direction_T2_S4_S4_S4_S4_S4_21rocsparse_index_base_PKT0_PKT1_PKS4_S5_PS6_PS9_PS4_SF_SG_SE_.kd
    .uniform_work_group_size: 1
    .uses_dynamic_stack: false
    .vgpr_count:     40
    .vgpr_spill_count: 0
    .wavefront_size: 64
  - .agpr_count:     0
    .args:
      - .offset:         0
        .size:           8
        .value_kind:     by_value
      - .offset:         8
        .size:           8
        .value_kind:     by_value
      - .offset:         16
        .size:           8
        .value_kind:     by_value
      - .offset:         24
        .size:           8
        .value_kind:     by_value
      - .offset:         32
        .size:           4
        .value_kind:     by_value
      - .address_space:  global
        .offset:         40
        .size:           8
        .value_kind:     global_buffer
      - .address_space:  global
        .offset:         48
        .size:           8
        .value_kind:     global_buffer
      - .address_space:  global
        .offset:         56
        .size:           8
        .value_kind:     global_buffer
      - .offset:         64
        .size:           4
        .value_kind:     by_value
      - .address_space:  global
        .offset:         72
        .size:           8
        .value_kind:     global_buffer
      - .address_space:  global
        .offset:         80
        .size:           8
        .value_kind:     global_buffer
      - .address_space:  global
        .offset:         88
        .size:           8
        .value_kind:     global_buffer
      - .offset:         96
        .size:           4
        .value_kind:     hidden_block_count_x
      - .offset:         100
        .size:           4
        .value_kind:     hidden_block_count_y
      - .offset:         104
        .size:           4
        .value_kind:     hidden_block_count_z
      - .offset:         108
        .size:           2
        .value_kind:     hidden_group_size_x
      - .offset:         110
        .size:           2
        .value_kind:     hidden_group_size_y
      - .offset:         112
        .size:           2
        .value_kind:     hidden_group_size_z
      - .offset:         114
        .size:           2
        .value_kind:     hidden_remainder_x
      - .offset:         116
        .size:           2
        .value_kind:     hidden_remainder_y
      - .offset:         118
        .size:           2
        .value_kind:     hidden_remainder_z
      - .offset:         136
        .size:           8
        .value_kind:     hidden_global_offset_x
      - .offset:         144
        .size:           8
        .value_kind:     hidden_global_offset_y
      - .offset:         152
        .size:           8
        .value_kind:     hidden_global_offset_z
      - .offset:         160
        .size:           2
        .value_kind:     hidden_grid_dims
    .group_segment_fixed_size: 0
    .kernarg_segment_align: 8
    .kernarg_segment_size: 352
    .language:       OpenCL C
    .language_version:
      - 2
      - 0
    .max_flat_workgroup_size: 256
    .name:           _ZN9rocsparseL35csr2bsr_block_dim_equals_one_kernelILj256E21rocsparse_complex_numIdEilEEvT2_S3_S3_S3_21rocsparse_index_base_PKT0_PKT1_PKS3_S4_PS5_PS8_PS3_
    .private_segment_fixed_size: 0
    .sgpr_count:     20
    .sgpr_spill_count: 0
    .symbol:         _ZN9rocsparseL35csr2bsr_block_dim_equals_one_kernelILj256E21rocsparse_complex_numIdEilEEvT2_S3_S3_S3_21rocsparse_index_base_PKT0_PKT1_PKS3_S4_PS5_PS8_PS3_.kd
    .uniform_work_group_size: 1
    .uses_dynamic_stack: false
    .vgpr_count:     8
    .vgpr_spill_count: 0
    .wavefront_size: 64
  - .agpr_count:     0
    .args:
      - .offset:         0
        .size:           4
        .value_kind:     by_value
      - .offset:         8
        .size:           8
        .value_kind:     by_value
      - .offset:         16
        .size:           8
        .value_kind:     by_value
      - .offset:         24
        .size:           8
        .value_kind:     by_value
      - .offset:         32
        .size:           8
        .value_kind:     by_value
      - .offset:         40
        .size:           8
        .value_kind:     by_value
      - .offset:         48
        .size:           4
        .value_kind:     by_value
      - .actual_access:  read_only
        .address_space:  global
        .offset:         56
        .size:           8
        .value_kind:     global_buffer
      - .actual_access:  read_only
        .address_space:  global
        .offset:         64
        .size:           8
        .value_kind:     global_buffer
      - .actual_access:  read_only
        .address_space:  global
        .offset:         72
        .size:           8
        .value_kind:     global_buffer
      - .offset:         80
        .size:           4
        .value_kind:     by_value
      - .actual_access:  write_only
        .address_space:  global
        .offset:         88
        .size:           8
        .value_kind:     global_buffer
      - .actual_access:  read_only
        .address_space:  global
        .offset:         96
        .size:           8
        .value_kind:     global_buffer
      - .actual_access:  write_only
        .address_space:  global
        .offset:         104
        .size:           8
        .value_kind:     global_buffer
    .group_segment_fixed_size: 4112
    .kernarg_segment_align: 8
    .kernarg_segment_size: 112
    .language:       OpenCL C
    .language_version:
      - 2
      - 0
    .max_flat_workgroup_size: 256
    .name:           _ZN9rocsparseL42csr2bsr_wavefront_per_row_multipass_kernelILj256ELj16ELj4E21rocsparse_complex_numIdEilEEv20rocsparse_direction_T4_S4_S4_S4_S4_21rocsparse_index_base_PKT2_PKT3_PKS4_S5_PS6_PS9_PS4_
    .private_segment_fixed_size: 0
    .sgpr_count:     37
    .sgpr_spill_count: 0
    .symbol:         _ZN9rocsparseL42csr2bsr_wavefront_per_row_multipass_kernelILj256ELj16ELj4E21rocsparse_complex_numIdEilEEv20rocsparse_direction_T4_S4_S4_S4_S4_21rocsparse_index_base_PKT2_PKT3_PKS4_S5_PS6_PS9_PS4_.kd
    .uniform_work_group_size: 1
    .uses_dynamic_stack: false
    .vgpr_count:     37
    .vgpr_spill_count: 0
    .wavefront_size: 64
  - .agpr_count:     0
    .args:
      - .offset:         0
        .size:           4
        .value_kind:     by_value
      - .offset:         8
        .size:           8
        .value_kind:     by_value
      - .offset:         16
        .size:           8
        .value_kind:     by_value
      - .offset:         24
        .size:           8
        .value_kind:     by_value
      - .offset:         32
        .size:           8
        .value_kind:     by_value
      - .offset:         40
        .size:           8
        .value_kind:     by_value
      - .offset:         48
        .size:           4
        .value_kind:     by_value
      - .actual_access:  read_only
        .address_space:  global
        .offset:         56
        .size:           8
        .value_kind:     global_buffer
      - .actual_access:  read_only
        .address_space:  global
        .offset:         64
        .size:           8
        .value_kind:     global_buffer
      - .actual_access:  read_only
        .address_space:  global
        .offset:         72
        .size:           8
        .value_kind:     global_buffer
      - .offset:         80
        .size:           4
        .value_kind:     by_value
      - .actual_access:  write_only
        .address_space:  global
        .offset:         88
        .size:           8
        .value_kind:     global_buffer
      - .actual_access:  read_only
        .address_space:  global
        .offset:         96
        .size:           8
        .value_kind:     global_buffer
      - .actual_access:  write_only
        .address_space:  global
        .offset:         104
        .size:           8
        .value_kind:     global_buffer
    .group_segment_fixed_size: 4104
    .kernarg_segment_align: 8
    .kernarg_segment_size: 112
    .language:       OpenCL C
    .language_version:
      - 2
      - 0
    .max_flat_workgroup_size: 256
    .name:           _ZN9rocsparseL42csr2bsr_wavefront_per_row_multipass_kernelILj256ELj64ELj8E21rocsparse_complex_numIdEilEEv20rocsparse_direction_T4_S4_S4_S4_S4_21rocsparse_index_base_PKT2_PKT3_PKS4_S5_PS6_PS9_PS4_
    .private_segment_fixed_size: 0
    .sgpr_count:     37
    .sgpr_spill_count: 0
    .symbol:         _ZN9rocsparseL42csr2bsr_wavefront_per_row_multipass_kernelILj256ELj64ELj8E21rocsparse_complex_numIdEilEEv20rocsparse_direction_T4_S4_S4_S4_S4_21rocsparse_index_base_PKT2_PKT3_PKS4_S5_PS6_PS9_PS4_.kd
    .uniform_work_group_size: 1
    .uses_dynamic_stack: false
    .vgpr_count:     37
    .vgpr_spill_count: 0
    .wavefront_size: 64
  - .agpr_count:     0
    .args:
      - .offset:         0
        .size:           4
        .value_kind:     by_value
      - .offset:         8
        .size:           8
        .value_kind:     by_value
      - .offset:         16
        .size:           8
        .value_kind:     by_value
      - .offset:         24
        .size:           8
        .value_kind:     by_value
      - .offset:         32
        .size:           8
        .value_kind:     by_value
      - .offset:         40
        .size:           8
        .value_kind:     by_value
      - .offset:         48
        .size:           4
        .value_kind:     by_value
      - .actual_access:  read_only
        .address_space:  global
        .offset:         56
        .size:           8
        .value_kind:     global_buffer
      - .actual_access:  read_only
        .address_space:  global
        .offset:         64
        .size:           8
        .value_kind:     global_buffer
      - .actual_access:  read_only
        .address_space:  global
        .offset:         72
        .size:           8
        .value_kind:     global_buffer
      - .offset:         80
        .size:           4
        .value_kind:     by_value
      - .actual_access:  write_only
        .address_space:  global
        .offset:         88
        .size:           8
        .value_kind:     global_buffer
      - .actual_access:  read_only
        .address_space:  global
        .offset:         96
        .size:           8
        .value_kind:     global_buffer
      - .actual_access:  write_only
        .address_space:  global
        .offset:         104
        .size:           8
        .value_kind:     global_buffer
    .group_segment_fixed_size: 8200
    .kernarg_segment_align: 8
    .kernarg_segment_size: 112
    .language:       OpenCL C
    .language_version:
      - 2
      - 0
    .max_flat_workgroup_size: 256
    .name:           _ZN9rocsparseL42csr2bsr_wavefront_per_row_multipass_kernelILj256ELj32ELj8E21rocsparse_complex_numIdEilEEv20rocsparse_direction_T4_S4_S4_S4_S4_21rocsparse_index_base_PKT2_PKT3_PKS4_S5_PS6_PS9_PS4_
    .private_segment_fixed_size: 0
    .sgpr_count:     42
    .sgpr_spill_count: 0
    .symbol:         _ZN9rocsparseL42csr2bsr_wavefront_per_row_multipass_kernelILj256ELj32ELj8E21rocsparse_complex_numIdEilEEv20rocsparse_direction_T4_S4_S4_S4_S4_21rocsparse_index_base_PKT2_PKT3_PKS4_S5_PS6_PS9_PS4_.kd
    .uniform_work_group_size: 1
    .uses_dynamic_stack: false
    .vgpr_count:     44
    .vgpr_spill_count: 0
    .wavefront_size: 64
  - .agpr_count:     0
    .args:
      - .offset:         0
        .size:           4
        .value_kind:     by_value
      - .offset:         8
        .size:           8
        .value_kind:     by_value
      - .offset:         16
        .size:           8
        .value_kind:     by_value
      - .offset:         24
        .size:           8
        .value_kind:     by_value
      - .offset:         32
        .size:           8
        .value_kind:     by_value
      - .offset:         40
        .size:           8
        .value_kind:     by_value
      - .offset:         48
        .size:           4
        .value_kind:     by_value
      - .actual_access:  read_only
        .address_space:  global
        .offset:         56
        .size:           8
        .value_kind:     global_buffer
      - .actual_access:  read_only
        .address_space:  global
        .offset:         64
        .size:           8
        .value_kind:     global_buffer
      - .actual_access:  read_only
        .address_space:  global
        .offset:         72
        .size:           8
        .value_kind:     global_buffer
      - .offset:         80
        .size:           4
        .value_kind:     by_value
      - .actual_access:  write_only
        .address_space:  global
        .offset:         88
        .size:           8
        .value_kind:     global_buffer
      - .actual_access:  read_only
        .address_space:  global
        .offset:         96
        .size:           8
        .value_kind:     global_buffer
      - .actual_access:  write_only
        .address_space:  global
        .offset:         104
        .size:           8
        .value_kind:     global_buffer
    .group_segment_fixed_size: 16392
    .kernarg_segment_align: 8
    .kernarg_segment_size: 112
    .language:       OpenCL C
    .language_version:
      - 2
      - 0
    .max_flat_workgroup_size: 256
    .name:           _ZN9rocsparseL42csr2bsr_wavefront_per_row_multipass_kernelILj256ELj64ELj16E21rocsparse_complex_numIdEilEEv20rocsparse_direction_T4_S4_S4_S4_S4_21rocsparse_index_base_PKT2_PKT3_PKS4_S5_PS6_PS9_PS4_
    .private_segment_fixed_size: 0
    .sgpr_count:     46
    .sgpr_spill_count: 0
    .symbol:         _ZN9rocsparseL42csr2bsr_wavefront_per_row_multipass_kernelILj256ELj64ELj16E21rocsparse_complex_numIdEilEEv20rocsparse_direction_T4_S4_S4_S4_S4_21rocsparse_index_base_PKT2_PKT3_PKS4_S5_PS6_PS9_PS4_.kd
    .uniform_work_group_size: 1
    .uses_dynamic_stack: false
    .vgpr_count:     51
    .vgpr_spill_count: 0
    .wavefront_size: 64
  - .agpr_count:     0
    .args:
      - .offset:         0
        .size:           4
        .value_kind:     by_value
      - .offset:         8
        .size:           8
        .value_kind:     by_value
      - .offset:         16
        .size:           8
        .value_kind:     by_value
      - .offset:         24
        .size:           8
        .value_kind:     by_value
      - .offset:         32
        .size:           8
        .value_kind:     by_value
      - .offset:         40
        .size:           8
        .value_kind:     by_value
      - .offset:         48
        .size:           4
        .value_kind:     by_value
      - .actual_access:  read_only
        .address_space:  global
        .offset:         56
        .size:           8
        .value_kind:     global_buffer
      - .actual_access:  read_only
        .address_space:  global
        .offset:         64
        .size:           8
        .value_kind:     global_buffer
      - .actual_access:  read_only
        .address_space:  global
        .offset:         72
        .size:           8
        .value_kind:     global_buffer
      - .offset:         80
        .size:           4
        .value_kind:     by_value
      - .actual_access:  write_only
        .address_space:  global
        .offset:         88
        .size:           8
        .value_kind:     global_buffer
      - .actual_access:  read_only
        .address_space:  global
        .offset:         96
        .size:           8
        .value_kind:     global_buffer
      - .actual_access:  write_only
        .address_space:  global
        .offset:         104
        .size:           8
        .value_kind:     global_buffer
    .group_segment_fixed_size: 32776
    .kernarg_segment_align: 8
    .kernarg_segment_size: 112
    .language:       OpenCL C
    .language_version:
      - 2
      - 0
    .max_flat_workgroup_size: 256
    .name:           _ZN9rocsparseL42csr2bsr_wavefront_per_row_multipass_kernelILj256ELj32ELj16E21rocsparse_complex_numIdEilEEv20rocsparse_direction_T4_S4_S4_S4_S4_21rocsparse_index_base_PKT2_PKT3_PKS4_S5_PS6_PS9_PS4_
    .private_segment_fixed_size: 0
    .sgpr_count:     54
    .sgpr_spill_count: 0
    .symbol:         _ZN9rocsparseL42csr2bsr_wavefront_per_row_multipass_kernelILj256ELj32ELj16E21rocsparse_complex_numIdEilEEv20rocsparse_direction_T4_S4_S4_S4_S4_21rocsparse_index_base_PKT2_PKT3_PKS4_S5_PS6_PS9_PS4_.kd
    .uniform_work_group_size: 1
    .uses_dynamic_stack: false
    .vgpr_count:     66
    .vgpr_spill_count: 0
    .wavefront_size: 64
  - .agpr_count:     0
    .args:
      - .offset:         0
        .size:           4
        .value_kind:     by_value
      - .offset:         8
        .size:           8
        .value_kind:     by_value
      - .offset:         16
        .size:           8
        .value_kind:     by_value
      - .offset:         24
        .size:           8
        .value_kind:     by_value
      - .offset:         32
        .size:           8
        .value_kind:     by_value
      - .offset:         40
        .size:           8
        .value_kind:     by_value
      - .offset:         48
        .size:           4
        .value_kind:     by_value
      - .actual_access:  read_only
        .address_space:  global
        .offset:         56
        .size:           8
        .value_kind:     global_buffer
      - .actual_access:  read_only
        .address_space:  global
        .offset:         64
        .size:           8
        .value_kind:     global_buffer
      - .actual_access:  read_only
        .address_space:  global
        .offset:         72
        .size:           8
        .value_kind:     global_buffer
      - .offset:         80
        .size:           4
        .value_kind:     by_value
      - .actual_access:  write_only
        .address_space:  global
        .offset:         88
        .size:           8
        .value_kind:     global_buffer
      - .actual_access:  read_only
        .address_space:  global
        .offset:         96
        .size:           8
        .value_kind:     global_buffer
      - .actual_access:  write_only
        .address_space:  global
        .offset:         104
        .size:           8
        .value_kind:     global_buffer
    .group_segment_fixed_size: 16392
    .kernarg_segment_align: 8
    .kernarg_segment_size: 112
    .language:       OpenCL C
    .language_version:
      - 2
      - 0
    .max_flat_workgroup_size: 256
    .name:           _ZN9rocsparseL38csr2bsr_block_per_row_multipass_kernelILj256ELj32E21rocsparse_complex_numIdEilEEv20rocsparse_direction_T3_S4_S4_S4_S4_21rocsparse_index_base_PKT1_PKT2_PKS4_S5_PS6_PS9_PS4_
    .private_segment_fixed_size: 0
    .sgpr_count:     70
    .sgpr_spill_count: 0
    .symbol:         _ZN9rocsparseL38csr2bsr_block_per_row_multipass_kernelILj256ELj32E21rocsparse_complex_numIdEilEEv20rocsparse_direction_T3_S4_S4_S4_S4_21rocsparse_index_base_PKT1_PKT2_PKS4_S5_PS6_PS9_PS4_.kd
    .uniform_work_group_size: 1
    .uses_dynamic_stack: false
    .vgpr_count:     46
    .vgpr_spill_count: 0
    .wavefront_size: 64
  - .agpr_count:     0
    .args:
      - .offset:         0
        .size:           4
        .value_kind:     by_value
      - .offset:         8
        .size:           8
        .value_kind:     by_value
      - .offset:         16
        .size:           8
        .value_kind:     by_value
      - .offset:         24
        .size:           8
        .value_kind:     by_value
      - .offset:         32
        .size:           8
        .value_kind:     by_value
      - .offset:         40
        .size:           8
        .value_kind:     by_value
      - .offset:         48
        .size:           8
        .value_kind:     by_value
      - .offset:         56
        .size:           4
        .value_kind:     by_value
      - .actual_access:  read_only
        .address_space:  global
        .offset:         64
        .size:           8
        .value_kind:     global_buffer
      - .actual_access:  read_only
        .address_space:  global
        .offset:         72
        .size:           8
        .value_kind:     global_buffer
      - .actual_access:  read_only
        .address_space:  global
        .offset:         80
        .size:           8
        .value_kind:     global_buffer
      - .offset:         88
        .size:           4
        .value_kind:     by_value
      - .actual_access:  write_only
        .address_space:  global
        .offset:         96
        .size:           8
        .value_kind:     global_buffer
      - .actual_access:  read_only
        .address_space:  global
        .offset:         104
        .size:           8
        .value_kind:     global_buffer
      - .actual_access:  write_only
        .address_space:  global
        .offset:         112
        .size:           8
        .value_kind:     global_buffer
      - .address_space:  global
        .offset:         120
        .size:           8
        .value_kind:     global_buffer
      - .address_space:  global
        .offset:         128
        .size:           8
        .value_kind:     global_buffer
      - .address_space:  global
        .offset:         136
        .size:           8
        .value_kind:     global_buffer
    .group_segment_fixed_size: 0
    .kernarg_segment_align: 8
    .kernarg_segment_size: 144
    .language:       OpenCL C
    .language_version:
      - 2
      - 0
    .max_flat_workgroup_size: 32
    .name:           _ZN9rocsparseL21csr2bsr_65_inf_kernelILj32E21rocsparse_complex_numIdEilEEv20rocsparse_direction_T2_S4_S4_S4_S4_S4_21rocsparse_index_base_PKT0_PKT1_PKS4_S5_PS6_PS9_PS4_SF_SG_SE_
    .private_segment_fixed_size: 0
    .sgpr_count:     58
    .sgpr_spill_count: 0
    .symbol:         _ZN9rocsparseL21csr2bsr_65_inf_kernelILj32E21rocsparse_complex_numIdEilEEv20rocsparse_direction_T2_S4_S4_S4_S4_S4_21rocsparse_index_base_PKT0_PKT1_PKS4_S5_PS6_PS9_PS4_SF_SG_SE_.kd
    .uniform_work_group_size: 1
    .uses_dynamic_stack: false
    .vgpr_count:     46
    .vgpr_spill_count: 0
    .wavefront_size: 64
  - .agpr_count:     0
    .args:
      - .offset:         0
        .size:           8
        .value_kind:     by_value
      - .offset:         8
        .size:           8
        .value_kind:     by_value
      - .offset:         16
        .size:           8
        .value_kind:     by_value
      - .offset:         24
        .size:           8
        .value_kind:     by_value
      - .offset:         32
        .size:           4
        .value_kind:     by_value
      - .address_space:  global
        .offset:         40
        .size:           8
        .value_kind:     global_buffer
      - .address_space:  global
        .offset:         48
        .size:           8
        .value_kind:     global_buffer
      - .address_space:  global
        .offset:         56
        .size:           8
        .value_kind:     global_buffer
      - .offset:         64
        .size:           4
        .value_kind:     by_value
      - .address_space:  global
        .offset:         72
        .size:           8
        .value_kind:     global_buffer
      - .address_space:  global
        .offset:         80
        .size:           8
        .value_kind:     global_buffer
      - .address_space:  global
        .offset:         88
        .size:           8
        .value_kind:     global_buffer
      - .offset:         96
        .size:           4
        .value_kind:     hidden_block_count_x
      - .offset:         100
        .size:           4
        .value_kind:     hidden_block_count_y
      - .offset:         104
        .size:           4
        .value_kind:     hidden_block_count_z
      - .offset:         108
        .size:           2
        .value_kind:     hidden_group_size_x
      - .offset:         110
        .size:           2
        .value_kind:     hidden_group_size_y
      - .offset:         112
        .size:           2
        .value_kind:     hidden_group_size_z
      - .offset:         114
        .size:           2
        .value_kind:     hidden_remainder_x
      - .offset:         116
        .size:           2
        .value_kind:     hidden_remainder_y
      - .offset:         118
        .size:           2
        .value_kind:     hidden_remainder_z
      - .offset:         136
        .size:           8
        .value_kind:     hidden_global_offset_x
      - .offset:         144
        .size:           8
        .value_kind:     hidden_global_offset_y
      - .offset:         152
        .size:           8
        .value_kind:     hidden_global_offset_z
      - .offset:         160
        .size:           2
        .value_kind:     hidden_grid_dims
    .group_segment_fixed_size: 0
    .kernarg_segment_align: 8
    .kernarg_segment_size: 352
    .language:       OpenCL C
    .language_version:
      - 2
      - 0
    .max_flat_workgroup_size: 256
    .name:           _ZN9rocsparseL35csr2bsr_block_dim_equals_one_kernelILj256E21rocsparse_complex_numIdEllEEvT2_S3_S3_S3_21rocsparse_index_base_PKT0_PKT1_PKS3_S4_PS5_PS8_PS3_
    .private_segment_fixed_size: 0
    .sgpr_count:     26
    .sgpr_spill_count: 0
    .symbol:         _ZN9rocsparseL35csr2bsr_block_dim_equals_one_kernelILj256E21rocsparse_complex_numIdEllEEvT2_S3_S3_S3_21rocsparse_index_base_PKT0_PKT1_PKS3_S4_PS5_PS8_PS3_.kd
    .uniform_work_group_size: 1
    .uses_dynamic_stack: false
    .vgpr_count:     12
    .vgpr_spill_count: 0
    .wavefront_size: 64
  - .agpr_count:     0
    .args:
      - .offset:         0
        .size:           4
        .value_kind:     by_value
      - .offset:         8
        .size:           8
        .value_kind:     by_value
      - .offset:         16
        .size:           8
        .value_kind:     by_value
      - .offset:         24
        .size:           8
        .value_kind:     by_value
      - .offset:         32
        .size:           8
        .value_kind:     by_value
      - .offset:         40
        .size:           8
        .value_kind:     by_value
      - .offset:         48
        .size:           4
        .value_kind:     by_value
      - .actual_access:  read_only
        .address_space:  global
        .offset:         56
        .size:           8
        .value_kind:     global_buffer
      - .actual_access:  read_only
        .address_space:  global
        .offset:         64
        .size:           8
        .value_kind:     global_buffer
      - .actual_access:  read_only
        .address_space:  global
        .offset:         72
        .size:           8
        .value_kind:     global_buffer
      - .offset:         80
        .size:           4
        .value_kind:     by_value
      - .actual_access:  write_only
        .address_space:  global
        .offset:         88
        .size:           8
        .value_kind:     global_buffer
      - .actual_access:  read_only
        .address_space:  global
        .offset:         96
        .size:           8
        .value_kind:     global_buffer
      - .actual_access:  write_only
        .address_space:  global
        .offset:         104
        .size:           8
        .value_kind:     global_buffer
    .group_segment_fixed_size: 4112
    .kernarg_segment_align: 8
    .kernarg_segment_size: 112
    .language:       OpenCL C
    .language_version:
      - 2
      - 0
    .max_flat_workgroup_size: 256
    .name:           _ZN9rocsparseL42csr2bsr_wavefront_per_row_multipass_kernelILj256ELj16ELj4E21rocsparse_complex_numIdEllEEv20rocsparse_direction_T4_S4_S4_S4_S4_21rocsparse_index_base_PKT2_PKT3_PKS4_S5_PS6_PS9_PS4_
    .private_segment_fixed_size: 0
    .sgpr_count:     38
    .sgpr_spill_count: 0
    .symbol:         _ZN9rocsparseL42csr2bsr_wavefront_per_row_multipass_kernelILj256ELj16ELj4E21rocsparse_complex_numIdEllEEv20rocsparse_direction_T4_S4_S4_S4_S4_21rocsparse_index_base_PKT2_PKT3_PKS4_S5_PS6_PS9_PS4_.kd
    .uniform_work_group_size: 1
    .uses_dynamic_stack: false
    .vgpr_count:     44
    .vgpr_spill_count: 0
    .wavefront_size: 64
  - .agpr_count:     0
    .args:
      - .offset:         0
        .size:           4
        .value_kind:     by_value
      - .offset:         8
        .size:           8
        .value_kind:     by_value
      - .offset:         16
        .size:           8
        .value_kind:     by_value
      - .offset:         24
        .size:           8
        .value_kind:     by_value
      - .offset:         32
        .size:           8
        .value_kind:     by_value
      - .offset:         40
        .size:           8
        .value_kind:     by_value
      - .offset:         48
        .size:           4
        .value_kind:     by_value
      - .actual_access:  read_only
        .address_space:  global
        .offset:         56
        .size:           8
        .value_kind:     global_buffer
      - .actual_access:  read_only
        .address_space:  global
        .offset:         64
        .size:           8
        .value_kind:     global_buffer
      - .actual_access:  read_only
        .address_space:  global
        .offset:         72
        .size:           8
        .value_kind:     global_buffer
      - .offset:         80
        .size:           4
        .value_kind:     by_value
      - .actual_access:  write_only
        .address_space:  global
        .offset:         88
        .size:           8
        .value_kind:     global_buffer
      - .actual_access:  read_only
        .address_space:  global
        .offset:         96
        .size:           8
        .value_kind:     global_buffer
      - .actual_access:  write_only
        .address_space:  global
        .offset:         104
        .size:           8
        .value_kind:     global_buffer
    .group_segment_fixed_size: 4104
    .kernarg_segment_align: 8
    .kernarg_segment_size: 112
    .language:       OpenCL C
    .language_version:
      - 2
      - 0
    .max_flat_workgroup_size: 256
    .name:           _ZN9rocsparseL42csr2bsr_wavefront_per_row_multipass_kernelILj256ELj64ELj8E21rocsparse_complex_numIdEllEEv20rocsparse_direction_T4_S4_S4_S4_S4_21rocsparse_index_base_PKT2_PKT3_PKS4_S5_PS6_PS9_PS4_
    .private_segment_fixed_size: 0
    .sgpr_count:     41
    .sgpr_spill_count: 0
    .symbol:         _ZN9rocsparseL42csr2bsr_wavefront_per_row_multipass_kernelILj256ELj64ELj8E21rocsparse_complex_numIdEllEEv20rocsparse_direction_T4_S4_S4_S4_S4_21rocsparse_index_base_PKT2_PKT3_PKS4_S5_PS6_PS9_PS4_.kd
    .uniform_work_group_size: 1
    .uses_dynamic_stack: false
    .vgpr_count:     44
    .vgpr_spill_count: 0
    .wavefront_size: 64
  - .agpr_count:     0
    .args:
      - .offset:         0
        .size:           4
        .value_kind:     by_value
      - .offset:         8
        .size:           8
        .value_kind:     by_value
      - .offset:         16
        .size:           8
        .value_kind:     by_value
      - .offset:         24
        .size:           8
        .value_kind:     by_value
      - .offset:         32
        .size:           8
        .value_kind:     by_value
      - .offset:         40
        .size:           8
        .value_kind:     by_value
      - .offset:         48
        .size:           4
        .value_kind:     by_value
      - .actual_access:  read_only
        .address_space:  global
        .offset:         56
        .size:           8
        .value_kind:     global_buffer
      - .actual_access:  read_only
        .address_space:  global
        .offset:         64
        .size:           8
        .value_kind:     global_buffer
      - .actual_access:  read_only
        .address_space:  global
        .offset:         72
        .size:           8
        .value_kind:     global_buffer
      - .offset:         80
        .size:           4
        .value_kind:     by_value
      - .actual_access:  write_only
        .address_space:  global
        .offset:         88
        .size:           8
        .value_kind:     global_buffer
      - .actual_access:  read_only
        .address_space:  global
        .offset:         96
        .size:           8
        .value_kind:     global_buffer
      - .actual_access:  write_only
        .address_space:  global
        .offset:         104
        .size:           8
        .value_kind:     global_buffer
    .group_segment_fixed_size: 8200
    .kernarg_segment_align: 8
    .kernarg_segment_size: 112
    .language:       OpenCL C
    .language_version:
      - 2
      - 0
    .max_flat_workgroup_size: 256
    .name:           _ZN9rocsparseL42csr2bsr_wavefront_per_row_multipass_kernelILj256ELj32ELj8E21rocsparse_complex_numIdEllEEv20rocsparse_direction_T4_S4_S4_S4_S4_21rocsparse_index_base_PKT2_PKT3_PKS4_S5_PS6_PS9_PS4_
    .private_segment_fixed_size: 0
    .sgpr_count:     43
    .sgpr_spill_count: 0
    .symbol:         _ZN9rocsparseL42csr2bsr_wavefront_per_row_multipass_kernelILj256ELj32ELj8E21rocsparse_complex_numIdEllEEv20rocsparse_direction_T4_S4_S4_S4_S4_21rocsparse_index_base_PKT2_PKT3_PKS4_S5_PS6_PS9_PS4_.kd
    .uniform_work_group_size: 1
    .uses_dynamic_stack: false
    .vgpr_count:     52
    .vgpr_spill_count: 0
    .wavefront_size: 64
  - .agpr_count:     0
    .args:
      - .offset:         0
        .size:           4
        .value_kind:     by_value
      - .offset:         8
        .size:           8
        .value_kind:     by_value
      - .offset:         16
        .size:           8
        .value_kind:     by_value
      - .offset:         24
        .size:           8
        .value_kind:     by_value
      - .offset:         32
        .size:           8
        .value_kind:     by_value
      - .offset:         40
        .size:           8
        .value_kind:     by_value
      - .offset:         48
        .size:           4
        .value_kind:     by_value
      - .actual_access:  read_only
        .address_space:  global
        .offset:         56
        .size:           8
        .value_kind:     global_buffer
      - .actual_access:  read_only
        .address_space:  global
        .offset:         64
        .size:           8
        .value_kind:     global_buffer
      - .actual_access:  read_only
        .address_space:  global
        .offset:         72
        .size:           8
        .value_kind:     global_buffer
      - .offset:         80
        .size:           4
        .value_kind:     by_value
      - .actual_access:  write_only
        .address_space:  global
        .offset:         88
        .size:           8
        .value_kind:     global_buffer
      - .actual_access:  read_only
        .address_space:  global
        .offset:         96
        .size:           8
        .value_kind:     global_buffer
      - .actual_access:  write_only
        .address_space:  global
        .offset:         104
        .size:           8
        .value_kind:     global_buffer
    .group_segment_fixed_size: 16392
    .kernarg_segment_align: 8
    .kernarg_segment_size: 112
    .language:       OpenCL C
    .language_version:
      - 2
      - 0
    .max_flat_workgroup_size: 256
    .name:           _ZN9rocsparseL42csr2bsr_wavefront_per_row_multipass_kernelILj256ELj64ELj16E21rocsparse_complex_numIdEllEEv20rocsparse_direction_T4_S4_S4_S4_S4_21rocsparse_index_base_PKT2_PKT3_PKS4_S5_PS6_PS9_PS4_
    .private_segment_fixed_size: 0
    .sgpr_count:     47
    .sgpr_spill_count: 0
    .symbol:         _ZN9rocsparseL42csr2bsr_wavefront_per_row_multipass_kernelILj256ELj64ELj16E21rocsparse_complex_numIdEllEEv20rocsparse_direction_T4_S4_S4_S4_S4_21rocsparse_index_base_PKT2_PKT3_PKS4_S5_PS6_PS9_PS4_.kd
    .uniform_work_group_size: 1
    .uses_dynamic_stack: false
    .vgpr_count:     58
    .vgpr_spill_count: 0
    .wavefront_size: 64
  - .agpr_count:     0
    .args:
      - .offset:         0
        .size:           4
        .value_kind:     by_value
      - .offset:         8
        .size:           8
        .value_kind:     by_value
      - .offset:         16
        .size:           8
        .value_kind:     by_value
      - .offset:         24
        .size:           8
        .value_kind:     by_value
      - .offset:         32
        .size:           8
        .value_kind:     by_value
      - .offset:         40
        .size:           8
        .value_kind:     by_value
      - .offset:         48
        .size:           4
        .value_kind:     by_value
      - .actual_access:  read_only
        .address_space:  global
        .offset:         56
        .size:           8
        .value_kind:     global_buffer
      - .actual_access:  read_only
        .address_space:  global
        .offset:         64
        .size:           8
        .value_kind:     global_buffer
      - .actual_access:  read_only
        .address_space:  global
        .offset:         72
        .size:           8
        .value_kind:     global_buffer
      - .offset:         80
        .size:           4
        .value_kind:     by_value
      - .actual_access:  write_only
        .address_space:  global
        .offset:         88
        .size:           8
        .value_kind:     global_buffer
      - .actual_access:  read_only
        .address_space:  global
        .offset:         96
        .size:           8
        .value_kind:     global_buffer
      - .actual_access:  write_only
        .address_space:  global
        .offset:         104
        .size:           8
        .value_kind:     global_buffer
    .group_segment_fixed_size: 32776
    .kernarg_segment_align: 8
    .kernarg_segment_size: 112
    .language:       OpenCL C
    .language_version:
      - 2
      - 0
    .max_flat_workgroup_size: 256
    .name:           _ZN9rocsparseL42csr2bsr_wavefront_per_row_multipass_kernelILj256ELj32ELj16E21rocsparse_complex_numIdEllEEv20rocsparse_direction_T4_S4_S4_S4_S4_21rocsparse_index_base_PKT2_PKT3_PKS4_S5_PS6_PS9_PS4_
    .private_segment_fixed_size: 0
    .sgpr_count:     55
    .sgpr_spill_count: 0
    .symbol:         _ZN9rocsparseL42csr2bsr_wavefront_per_row_multipass_kernelILj256ELj32ELj16E21rocsparse_complex_numIdEllEEv20rocsparse_direction_T4_S4_S4_S4_S4_21rocsparse_index_base_PKT2_PKT3_PKS4_S5_PS6_PS9_PS4_.kd
    .uniform_work_group_size: 1
    .uses_dynamic_stack: false
    .vgpr_count:     74
    .vgpr_spill_count: 0
    .wavefront_size: 64
  - .agpr_count:     0
    .args:
      - .offset:         0
        .size:           4
        .value_kind:     by_value
      - .offset:         8
        .size:           8
        .value_kind:     by_value
      - .offset:         16
        .size:           8
        .value_kind:     by_value
      - .offset:         24
        .size:           8
        .value_kind:     by_value
      - .offset:         32
        .size:           8
        .value_kind:     by_value
      - .offset:         40
        .size:           8
        .value_kind:     by_value
      - .offset:         48
        .size:           4
        .value_kind:     by_value
      - .actual_access:  read_only
        .address_space:  global
        .offset:         56
        .size:           8
        .value_kind:     global_buffer
      - .actual_access:  read_only
        .address_space:  global
        .offset:         64
        .size:           8
        .value_kind:     global_buffer
      - .actual_access:  read_only
        .address_space:  global
        .offset:         72
        .size:           8
        .value_kind:     global_buffer
      - .offset:         80
        .size:           4
        .value_kind:     by_value
      - .actual_access:  write_only
        .address_space:  global
        .offset:         88
        .size:           8
        .value_kind:     global_buffer
      - .actual_access:  read_only
        .address_space:  global
        .offset:         96
        .size:           8
        .value_kind:     global_buffer
      - .actual_access:  write_only
        .address_space:  global
        .offset:         104
        .size:           8
        .value_kind:     global_buffer
    .group_segment_fixed_size: 16392
    .kernarg_segment_align: 8
    .kernarg_segment_size: 112
    .language:       OpenCL C
    .language_version:
      - 2
      - 0
    .max_flat_workgroup_size: 256
    .name:           _ZN9rocsparseL38csr2bsr_block_per_row_multipass_kernelILj256ELj32E21rocsparse_complex_numIdEllEEv20rocsparse_direction_T3_S4_S4_S4_S4_21rocsparse_index_base_PKT1_PKT2_PKS4_S5_PS6_PS9_PS4_
    .private_segment_fixed_size: 0
    .sgpr_count:     71
    .sgpr_spill_count: 0
    .symbol:         _ZN9rocsparseL38csr2bsr_block_per_row_multipass_kernelILj256ELj32E21rocsparse_complex_numIdEllEEv20rocsparse_direction_T3_S4_S4_S4_S4_21rocsparse_index_base_PKT1_PKT2_PKS4_S5_PS6_PS9_PS4_.kd
    .uniform_work_group_size: 1
    .uses_dynamic_stack: false
    .vgpr_count:     52
    .vgpr_spill_count: 0
    .wavefront_size: 64
  - .agpr_count:     0
    .args:
      - .offset:         0
        .size:           4
        .value_kind:     by_value
      - .offset:         8
        .size:           8
        .value_kind:     by_value
      - .offset:         16
        .size:           8
        .value_kind:     by_value
      - .offset:         24
        .size:           8
        .value_kind:     by_value
      - .offset:         32
        .size:           8
        .value_kind:     by_value
      - .offset:         40
        .size:           8
        .value_kind:     by_value
      - .offset:         48
        .size:           8
        .value_kind:     by_value
      - .offset:         56
        .size:           4
        .value_kind:     by_value
      - .actual_access:  read_only
        .address_space:  global
        .offset:         64
        .size:           8
        .value_kind:     global_buffer
      - .actual_access:  read_only
        .address_space:  global
        .offset:         72
        .size:           8
        .value_kind:     global_buffer
      - .actual_access:  read_only
        .address_space:  global
        .offset:         80
        .size:           8
        .value_kind:     global_buffer
      - .offset:         88
        .size:           4
        .value_kind:     by_value
      - .actual_access:  write_only
        .address_space:  global
        .offset:         96
        .size:           8
        .value_kind:     global_buffer
      - .actual_access:  read_only
        .address_space:  global
        .offset:         104
        .size:           8
        .value_kind:     global_buffer
      - .actual_access:  write_only
        .address_space:  global
        .offset:         112
        .size:           8
        .value_kind:     global_buffer
      - .address_space:  global
        .offset:         120
        .size:           8
        .value_kind:     global_buffer
      - .address_space:  global
        .offset:         128
        .size:           8
        .value_kind:     global_buffer
      - .address_space:  global
        .offset:         136
        .size:           8
        .value_kind:     global_buffer
    .group_segment_fixed_size: 0
    .kernarg_segment_align: 8
    .kernarg_segment_size: 144
    .language:       OpenCL C
    .language_version:
      - 2
      - 0
    .max_flat_workgroup_size: 32
    .name:           _ZN9rocsparseL21csr2bsr_65_inf_kernelILj32E21rocsparse_complex_numIdEllEEv20rocsparse_direction_T2_S4_S4_S4_S4_S4_21rocsparse_index_base_PKT0_PKT1_PKS4_S5_PS6_PS9_PS4_SF_SG_SE_
    .private_segment_fixed_size: 0
    .sgpr_count:     58
    .sgpr_spill_count: 0
    .symbol:         _ZN9rocsparseL21csr2bsr_65_inf_kernelILj32E21rocsparse_complex_numIdEllEEv20rocsparse_direction_T2_S4_S4_S4_S4_S4_21rocsparse_index_base_PKT0_PKT1_PKS4_S5_PS6_PS9_PS4_SF_SG_SE_.kd
    .uniform_work_group_size: 1
    .uses_dynamic_stack: false
    .vgpr_count:     46
    .vgpr_spill_count: 0
    .wavefront_size: 64
amdhsa.target:   amdgcn-amd-amdhsa--gfx942
amdhsa.version:
  - 1
  - 2
...

	.end_amdgpu_metadata
